;; amdgpu-corpus repo=ggml-org/llama.cpp kind=compiled arch=gfx1100 opt=O3
	.text
	.amdgcn_target "amdgcn-amd-amdhsa--gfx1100"
	.amdhsa_code_object_version 6
	.section	.text._ZL15flash_attn_tileILi128ELi128ELi8ELi8ELb0EEvPKcS1_S1_S1_S1_PKiPfP15HIP_vector_typeIfLj2EEffffjfiS5_IjLj3EEiiiiiiiiiiiliiliiiiil,"axG",@progbits,_ZL15flash_attn_tileILi128ELi128ELi8ELi8ELb0EEvPKcS1_S1_S1_S1_PKiPfP15HIP_vector_typeIfLj2EEffffjfiS5_IjLj3EEiiiiiiiiiiiliiliiiiil,comdat
	.globl	_ZL15flash_attn_tileILi128ELi128ELi8ELi8ELb0EEvPKcS1_S1_S1_S1_PKiPfP15HIP_vector_typeIfLj2EEffffjfiS5_IjLj3EEiiiiiiiiiiiliiliiiiil ; -- Begin function _ZL15flash_attn_tileILi128ELi128ELi8ELi8ELb0EEvPKcS1_S1_S1_S1_PKiPfP15HIP_vector_typeIfLj2EEffffjfiS5_IjLj3EEiiiiiiiiiiiliiliiiiil
	.p2align	8
	.type	_ZL15flash_attn_tileILi128ELi128ELi8ELi8ELb0EEvPKcS1_S1_S1_S1_PKiPfP15HIP_vector_typeIfLj2EEffffjfiS5_IjLj3EEiiiiiiiiiiiliiliiiiil,@function
_ZL15flash_attn_tileILi128ELi128ELi8ELi8ELb0EEvPKcS1_S1_S1_S1_PKiPfP15HIP_vector_typeIfLj2EEffffjfiS5_IjLj3EEiiiiiiiiiiiliiliiiiil: ; @_ZL15flash_attn_tileILi128ELi128ELi8ELi8ELb0EEvPKcS1_S1_S1_S1_PKiPfP15HIP_vector_typeIfLj2EEffffjfiS5_IjLj3EEiiiiiiiiiiiliiliiiiil
; %bb.0:
	s_clause 0x1
	s_load_b128 s[60:63], s[0:1], 0x5c
	s_load_b64 s[66:67], s[0:1], 0x80
	s_mov_b64 s[68:69], 0
	s_waitcnt lgkmcnt(0)
	s_ashr_i32 s2, s63, 31
	s_delay_alu instid0(SALU_CYCLE_1) | instskip(NEXT) | instid1(SALU_CYCLE_1)
	s_lshr_b32 s2, s2, 29
	s_add_i32 s2, s63, s2
	s_delay_alu instid0(SALU_CYCLE_1) | instskip(NEXT) | instid1(SALU_CYCLE_1)
	s_ashr_i32 s2, s2, 3
	v_cvt_f32_u32_e32 v1, s2
	s_sub_i32 s4, 0, s2
	s_delay_alu instid0(VALU_DEP_1) | instskip(SKIP_2) | instid1(VALU_DEP_1)
	v_rcp_iflag_f32_e32 v1, v1
	s_waitcnt_depctr 0xfff
	v_mul_f32_e32 v1, 0x4f7ffffe, v1
	v_cvt_u32_f32_e32 v1, v1
	s_delay_alu instid0(VALU_DEP_1) | instskip(NEXT) | instid1(VALU_DEP_1)
	v_readfirstlane_b32 s3, v1
	s_mul_i32 s4, s4, s3
	s_delay_alu instid0(SALU_CYCLE_1) | instskip(NEXT) | instid1(SALU_CYCLE_1)
	s_mul_hi_u32 s4, s3, s4
	s_add_i32 s3, s3, s4
	s_delay_alu instid0(SALU_CYCLE_1) | instskip(NEXT) | instid1(SALU_CYCLE_1)
	s_mul_hi_u32 s3, s15, s3
	s_mul_i32 s4, s3, s2
	s_add_i32 s5, s3, 1
	s_sub_i32 s4, s15, s4
	s_delay_alu instid0(SALU_CYCLE_1)
	s_sub_i32 s6, s4, s2
	s_cmp_ge_u32 s4, s2
	s_cselect_b32 s3, s5, s3
	s_cselect_b32 s4, s6, s4
	s_add_i32 s5, s3, 1
	s_cmp_ge_u32 s4, s2
	s_cselect_b32 s70, s5, s3
	s_abs_i32 s2, s67
	s_abs_i32 s7, s63
	v_cvt_f32_u32_e32 v1, s2
	s_sub_i32 s4, 0, s2
	s_lshl_b32 s5, s15, 3
	s_mul_i32 s6, s70, s63
	s_delay_alu instid0(VALU_DEP_1) | instskip(SKIP_3) | instid1(VALU_DEP_1)
	v_rcp_iflag_f32_e32 v1, v1
	s_sub_i32 s64, s5, s6
	s_waitcnt_depctr 0xfff
	v_mul_f32_e32 v1, 0x4f7ffffe, v1
	v_cvt_u32_f32_e32 v1, v1
	s_delay_alu instid0(VALU_DEP_1) | instskip(NEXT) | instid1(VALU_DEP_1)
	v_readfirstlane_b32 s3, v1
	s_mul_i32 s4, s4, s3
	s_delay_alu instid0(SALU_CYCLE_1) | instskip(NEXT) | instid1(SALU_CYCLE_1)
	s_mul_hi_u32 s4, s3, s4
	s_add_i32 s3, s3, s4
	s_xor_b32 s4, s63, s67
	s_mul_hi_u32 s3, s7, s3
	s_ashr_i32 s4, s4, 31
	s_mul_i32 s5, s3, s2
	s_add_i32 s6, s3, 1
	s_sub_i32 s5, s7, s5
	s_delay_alu instid0(SALU_CYCLE_1)
	s_sub_i32 s7, s5, s2
	s_cmp_ge_u32 s5, s2
	s_cselect_b32 s3, s6, s3
	s_cselect_b32 s5, s7, s5
	s_add_i32 s6, s3, 1
	s_cmp_ge_u32 s5, s2
	s_cselect_b32 s2, s6, s3
	s_delay_alu instid0(SALU_CYCLE_1) | instskip(NEXT) | instid1(SALU_CYCLE_1)
	s_xor_b32 s2, s2, s4
	s_sub_i32 s9, s2, s4
	s_clause 0x1
	s_load_b512 s[44:59], s[0:1], 0x0
	s_load_b64 s[2:3], s[0:1], 0xb8
	s_abs_i32 s8, s9
	s_delay_alu instid0(SALU_CYCLE_1) | instskip(NEXT) | instid1(VALU_DEP_1)
	v_cvt_f32_u32_e32 v1, s8
	v_rcp_iflag_f32_e32 v1, v1
	s_waitcnt_depctr 0xfff
	v_mul_f32_e32 v1, 0x4f7ffffe, v1
	s_waitcnt lgkmcnt(0)
	s_cmp_eq_u64 s[50:51], 0
	s_delay_alu instid0(VALU_DEP_1) | instskip(NEXT) | instid1(VALU_DEP_1)
	v_cvt_u32_f32_e32 v1, v1
	v_readfirstlane_b32 s10, v1
	s_cbranch_scc1 .LBB0_2
; %bb.1:
	s_abs_i32 s2, s2
	s_abs_i32 s6, s70
	v_cvt_f32_u32_e32 v1, s2
	s_sub_i32 s5, 0, s2
	s_delay_alu instid0(VALU_DEP_1) | instskip(SKIP_2) | instid1(VALU_DEP_1)
	v_rcp_iflag_f32_e32 v1, v1
	s_waitcnt_depctr 0xfff
	v_mul_f32_e32 v1, 0x4f7ffffe, v1
	v_cvt_u32_f32_e32 v1, v1
	s_delay_alu instid0(VALU_DEP_1) | instskip(NEXT) | instid1(VALU_DEP_1)
	v_readfirstlane_b32 s4, v1
	s_mul_i32 s5, s5, s4
	s_delay_alu instid0(SALU_CYCLE_1) | instskip(NEXT) | instid1(SALU_CYCLE_1)
	s_mul_hi_u32 s5, s4, s5
	s_add_i32 s7, s4, s5
	s_load_b64 s[4:5], s[0:1], 0xc8
	s_mul_hi_u32 s7, s6, s7
	s_delay_alu instid0(SALU_CYCLE_1) | instskip(NEXT) | instid1(SALU_CYCLE_1)
	s_mul_i32 s7, s7, s2
	s_sub_i32 s6, s6, s7
	s_ashr_i32 s7, s70, 31
	s_sub_i32 s11, s6, s2
	s_cmp_ge_u32 s6, s2
	s_cselect_b32 s6, s11, s6
	s_delay_alu instid0(SALU_CYCLE_1) | instskip(SKIP_2) | instid1(SALU_CYCLE_1)
	s_sub_i32 s11, s6, s2
	s_cmp_ge_u32 s6, s2
	s_cselect_b32 s2, s11, s6
	s_xor_b32 s2, s2, s7
	s_delay_alu instid0(SALU_CYCLE_1)
	s_sub_i32 s2, s2, s7
	s_waitcnt lgkmcnt(0)
	s_mul_i32 s5, s2, s5
	s_mul_hi_u32 s6, s2, s4
	s_ashr_i32 s7, s2, 31
	s_add_i32 s5, s6, s5
	s_mul_i32 s7, s7, s4
	s_mul_i32 s2, s2, s4
	s_add_i32 s5, s5, s7
	s_add_u32 s68, s50, s2
	s_addc_u32 s69, s51, s5
.LBB0_2:
	v_bfe_u32 v8, v0, 10, 10
	s_load_b128 s[4:7], s[0:1], 0x70
	v_and_b32_e32 v173, 0x3ff, v0
	s_delay_alu instid0(VALU_DEP_2) | instskip(SKIP_1) | instid1(VALU_DEP_3)
	v_lshl_add_u32 v172, s13, 3, v8
	v_lshlrev_b32_e32 v184, 11, v8
	v_lshlrev_b32_e32 v9, 4, v173
	s_delay_alu instid0(VALU_DEP_3) | instskip(NEXT) | instid1(VALU_DEP_1)
	v_mul_hi_u32 v1, s60, v172
	v_add_nc_u32_e32 v1, v172, v1
	s_waitcnt lgkmcnt(0)
	s_mul_i32 s2, s70, s6
	s_mul_i32 s6, s64, s5
	s_delay_alu instid0(VALU_DEP_1)
	v_lshrrev_b32_e32 v1, s61, v1
	s_ashr_i32 s7, s2, 31
	s_add_u32 s2, s44, s2
	s_addc_u32 s7, s45, s7
	s_ashr_i32 s11, s6, 31
	v_mul_lo_u32 v1, v1, s62
	s_add_u32 s2, s2, s6
	s_addc_u32 s11, s7, s11
	s_ashr_i32 s6, s4, 31
	s_ashr_i32 s7, s5, 31
	v_alignbit_b32 v3, s6, s4, 2
	s_lshr_b32 s4, s6, 2
	s_mov_b32 s6, s5
	v_sub_nc_u32_e32 v10, v172, v1
	s_lshr_b64 s[16:17], s[6:7], 2
	s_lshr_b32 s6, s7, 2
	s_lshl_b64 s[16:17], s[16:17], 3
	s_delay_alu instid0(VALU_DEP_1) | instskip(NEXT) | instid1(VALU_DEP_1)
	v_mad_u64_u32 v[1:2], null, v3, v10, 0
	v_mad_u64_u32 v[3:4], null, s4, v10, v[2:3]
	s_and_b32 s4, s5, -4
	s_delay_alu instid0(VALU_DEP_1) | instskip(NEXT) | instid1(VALU_DEP_1)
	v_mov_b32_e32 v2, v3
	v_lshlrev_b64 v[0:1], 2, v[1:2]
	v_alignbit_b32 v2, s7, s5, 2
	s_and_b32 s5, s7, 0x3fffffff
	s_delay_alu instid0(SALU_CYCLE_1) | instskip(SKIP_1) | instid1(VALU_DEP_2)
	s_lshl_b64 s[18:19], s[4:5], 2
	s_cmp_eq_u64 s[54:55], 0
	v_add_co_u32 v0, vcc_lo, s2, v0
	v_add_co_ci_u32_e32 v1, vcc_lo, s11, v1, vcc_lo
	s_load_b32 s2, s[0:1], 0x40
	s_delay_alu instid0(VALU_DEP_2) | instskip(NEXT) | instid1(VALU_DEP_2)
	v_add_co_u32 v0, vcc_lo, v0, v9
	v_add_co_ci_u32_e32 v1, vcc_lo, 0, v1, vcc_lo
	s_delay_alu instid0(VALU_DEP_2) | instskip(NEXT) | instid1(VALU_DEP_2)
	v_add_co_u32 v4, vcc_lo, v0, s4
	v_mad_u64_u32 v[23:24], null, v2, 20, v[0:1]
	v_mad_u64_u32 v[19:20], null, v2, 12, v[0:1]
	;; [unrolled: 1-line block ×4, first 2 shown]
	s_delay_alu instid0(VALU_DEP_4) | instskip(SKIP_2) | instid1(VALU_DEP_3)
	v_mov_b32_e32 v21, v24
	v_add_co_ci_u32_e32 v5, vcc_lo, s7, v1, vcc_lo
	v_add_co_u32 v11, vcc_lo, v0, s16
	v_mad_u64_u32 v[25:26], null, s6, 12, v[20:21]
	v_mov_b32_e32 v22, v28
	v_add_co_ci_u32_e32 v12, vcc_lo, s17, v1, vcc_lo
	v_add_co_u32 v15, vcc_lo, v0, s18
	v_add_co_ci_u32_e32 v16, vcc_lo, s19, v1, vcc_lo
	v_mov_b32_e32 v20, v25
	v_mad_u64_u32 v[28:29], null, s6, 20, v[21:22]
	v_mad_u64_u32 v[29:30], null, s6, 24, v[22:23]
	v_mov_b32_e32 v24, v32
	s_clause 0x3
	global_load_b128 v[0:3], v[0:1], off
	global_load_b128 v[4:7], v[4:5], off
	;; [unrolled: 1-line block ×4, first 2 shown]
	v_lshl_or_b32 v39, v173, 3, v184
	v_mad_u64_u32 v[32:33], null, s6, 28, v[24:25]
	v_mov_b32_e32 v24, v28
	v_mov_b32_e32 v28, v29
	s_clause 0x3
	global_load_b128 v[19:22], v[19:20], off
	global_load_b128 v[23:26], v[23:24], off
	;; [unrolled: 1-line block ×4, first 2 shown]
	s_waitcnt vmcnt(7) lgkmcnt(0)
	v_fma_mixlo_f16 v35, v0, s2, 0
	v_fma_mixlo_f16 v36, v2, s2, 0
	s_waitcnt vmcnt(6)
	v_fma_mixlo_f16 v0, v4, s2, 0
	s_waitcnt vmcnt(5)
	;; [unrolled: 2-line block ×3, first 2 shown]
	v_fma_mixlo_f16 v37, v15, s2, 0
	v_fma_mixhi_f16 v35, v1, s2, 0
	v_fma_mixlo_f16 v1, v6, s2, 0
	v_fma_mixhi_f16 v36, v3, s2, 0
	;; [unrolled: 2-line block ×3, first 2 shown]
	s_waitcnt vmcnt(3)
	v_fma_mixlo_f16 v4, v19, s2, 0
	v_fma_mixlo_f16 v5, v21, s2, 0
	;; [unrolled: 1-line block ×3, first 2 shown]
	v_fma_mixhi_f16 v1, v7, s2, 0
	s_waitcnt vmcnt(2)
	v_fma_mixlo_f16 v6, v23, s2, 0
	v_fma_mixlo_f16 v7, v25, s2, 0
	v_fma_mixhi_f16 v3, v14, s2, 0
	v_fma_mixhi_f16 v2, v12, s2, 0
	s_waitcnt vmcnt(1)
	v_fma_mixlo_f16 v11, v27, s2, 0
	v_fma_mixlo_f16 v12, v29, s2, 0
	s_waitcnt vmcnt(0)
	v_fma_mixlo_f16 v13, v31, s2, 0
	v_fma_mixlo_f16 v14, v33, s2, 0
	v_fma_mixhi_f16 v5, v22, s2, 0
	v_fma_mixhi_f16 v4, v20, s2, 0
	;; [unrolled: 1-line block ×10, first 2 shown]
	ds_store_2addr_b64 v39, v[35:36], v[0:1] offset1:32
	ds_store_2addr_b64 v39, v[2:3], v[4:5] offset0:64 offset1:96
	ds_store_2addr_b64 v39, v[37:38], v[6:7] offset0:128 offset1:160
	;; [unrolled: 1-line block ×3, first 2 shown]
	s_waitcnt lgkmcnt(0)
	s_barrier
	buffer_gl0_inv
	s_cbranch_scc1 .LBB0_4
; %bb.3:
	s_load_b32 s2, s[0:1], 0xd0
	s_mov_b32 s5, 0
	s_waitcnt lgkmcnt(0)
	s_mul_i32 s2, s2, s70
	s_delay_alu instid0(SALU_CYCLE_1) | instskip(NEXT) | instid1(SALU_CYCLE_1)
	s_add_i32 s4, s2, s13
	s_lshl_b64 s[4:5], s[4:5], 2
	s_delay_alu instid0(SALU_CYCLE_1)
	s_add_u32 s4, s54, s4
	s_addc_u32 s5, s55, s5
	s_load_b32 s66, s[4:5], 0x0
.LBB0_4:
	v_mbcnt_lo_u32_b32 v187, -1, 0
	s_lshl_b32 s51, s14, 6
	s_waitcnt lgkmcnt(0)
	s_cmp_lt_i32 s51, s66
	s_cbranch_scc1 .LBB0_6
; %bb.5:
	v_mbcnt_lo_u32_b32 v12, -1, 0
	v_mov_b32_e32 v11, 32
	s_mov_b32 s2, 0
	s_mov_b32 s4, 0xfeffffff
	s_delay_alu instid0(VALU_DEP_2)
	v_xor_b32_e32 v190, 16, v12
	v_xor_b32_e32 v189, 8, v12
	;; [unrolled: 1-line block ×5, first 2 shown]
	s_branch .LBB0_7
.LBB0_6:
	s_mov_b32 s2, -1
                                        ; implicit-def: $sgpr4
                                        ; implicit-def: $vgpr12
                                        ; implicit-def: $vgpr11
                                        ; implicit-def: $vgpr190
                                        ; implicit-def: $vgpr189
                                        ; implicit-def: $vgpr188
                                        ; implicit-def: $vgpr186
                                        ; implicit-def: $vgpr185
.LBB0_7:
	s_delay_alu instid0(SALU_CYCLE_1) | instskip(SKIP_2) | instid1(VALU_DEP_3)
	v_cndmask_b32_e64 v0, 0, 1, s2
	v_dual_mov_b32 v7, s4 :: v_dual_mov_b32 v204, s2
	v_dual_mov_b32 v40, s2 :: v_dual_lshlrev_b32 v183, 2, v173
	v_cmp_ne_u32_e32 vcc_lo, 1, v0
	v_dual_mov_b32 v6, s4 :: v_dual_mov_b32 v5, s4
	v_dual_mov_b32 v4, s4 :: v_dual_mov_b32 v3, s4
	;; [unrolled: 1-line block ×14, first 2 shown]
	v_mov_b32_e32 v27, s2
	s_cbranch_vccnz .LBB0_11
; %bb.8:
	s_clause 0x1
	s_load_b128 s[4:7], s[0:1], 0x98
	s_load_b64 s[12:13], s[0:1], 0x8c
	s_sub_i32 s2, 0, s8
	s_abs_i32 s11, s64
	s_mul_i32 s2, s2, s10
	v_lshrrev_b32_e32 v0, 3, v173
	s_mul_hi_u32 s2, s10, s2
	v_lshrrev_b32_e32 v3, 4, v173
	s_add_i32 s10, s10, s2
	s_ashr_i32 s2, s3, 1
	s_mul_hi_u32 s3, s11, s10
	s_ashr_i32 s10, s70, 31
	s_ashr_i32 s15, s64, 31
	;; [unrolled: 1-line block ×3, first 2 shown]
	s_load_b64 s[16:17], s[0:1], 0xa8
	s_mul_i32 s18, s3, s8
	v_dual_mov_b32 v26, 0 :: v_dual_and_b32 v11, 28, v183
	v_lshl_add_u32 v0, v8, 2, v0
	v_lshl_add_u32 v6, v8, 1, v3
	s_waitcnt lgkmcnt(0)
	s_ashr_i32 s60, s6, 2
	s_mul_i32 s5, s70, s5
	s_mul_hi_u32 s6, s70, s4
	s_ashr_i32 s61, s12, 2
	s_mul_i32 s12, s10, s4
	s_add_i32 s5, s6, s5
	s_mul_i32 s4, s70, s4
	s_add_i32 s5, s5, s12
	s_add_u32 s4, s46, s4
	s_addc_u32 s5, s47, s5
	s_xor_b32 s6, s15, s9
	s_sub_i32 s9, s11, s18
	s_add_i32 s11, s3, 1
	s_sub_i32 s12, s9, s8
	s_cmp_ge_u32 s9, s8
	v_dual_mov_b32 v27, 0 :: v_dual_lshlrev_b32 v2, 2, v11
	v_dual_mov_b32 v29, 0 :: v_dual_and_b32 v12, 60, v183
	s_cselect_b32 s3, s11, s3
	s_cselect_b32 s9, s12, s9
	v_mul_lo_u32 v1, s61, v0
	v_mul_lo_u32 v5, s60, v6
	s_add_i32 s11, s3, 1
	s_cmp_ge_u32 s9, s8
	v_mad_u32_u24 v0, 0x90, v0, v2
	v_lshlrev_b32_e32 v7, 2, v12
	s_cselect_b32 s3, s11, s3
	s_mul_i32 s8, s70, s17
	s_xor_b32 s3, s3, s6
	v_dual_mov_b32 v28, 0 :: v_dual_add_nc_u32 v191, 0x4000, v0
	s_sub_i32 s3, s3, s6
	v_lshl_add_u32 v3, s61, 5, v1
	v_dual_mov_b32 v31, 0 :: v_dual_add_nc_u32 v192, 0x5200, v0
	v_lshl_or_b32 v0, v6, 8, v7
	v_lshl_add_u32 v7, s60, 4, v5
	s_mul_i32 s9, s3, s13
	s_mul_hi_u32 s6, s70, s16
	s_ashr_i32 s11, s9, 31
	s_add_u32 s65, s4, s9
	v_ashrrev_i32_e32 v2, 31, v1
	v_ashrrev_i32_e32 v4, 31, v3
	v_lshl_add_u32 v194, v8, 10, 0x6400
	v_ashrrev_i32_e32 v6, 31, v5
	v_ashrrev_i32_e32 v8, 31, v7
	s_mul_i32 s10, s10, s16
	s_addc_u32 s67, s5, s11
	s_add_i32 s4, s6, s8
	v_lshl_or_b32 v197, v173, 3, 0x4000
	s_mul_i32 s5, s70, s16
	s_add_i32 s4, s4, s10
	s_mul_i32 s3, s3, s7
	v_mad_u64_u32 v[174:175], null, v10, s2, v[173:174]
	s_add_u32 s5, s48, s5
	s_addc_u32 s4, s49, s4
	s_ashr_i32 s6, s3, 31
	v_lshlrev_b64 v[175:176], 2, v[1:2]
	v_lshlrev_b64 v[177:178], 2, v[3:4]
	;; [unrolled: 1-line block ×4, first 2 shown]
	s_add_u32 s71, s5, s3
	v_mul_u32_u24_e32 v193, 0x90, v173
	v_dual_mov_b32 v30, 0 :: v_dual_add_nc_u32 v195, 0x4000, v0
	v_dual_mov_b32 v33, 0 :: v_dual_add_nc_u32 v196, 0x5000, v0
	v_mov_b32_e32 v0, 0xfeffffff
	v_dual_mov_b32 v35, 0 :: v_dual_lshlrev_b32 v198, 2, v11
	v_xor_b32_e32 v190, 16, v187
	v_xor_b32_e32 v189, 8, v187
	;; [unrolled: 1-line block ×5, first 2 shown]
	v_dual_mov_b32 v32, 0 :: v_dual_add_nc_u32 v199, v194, v9
	v_dual_mov_b32 v37, 0 :: v_dual_lshlrev_b32 v200, 2, v12
	v_dual_mov_b32 v34, 0 :: v_dual_add_nc_u32 v201, 0x800, v197
	v_dual_mov_b32 v39, 0 :: v_dual_add_nc_u32 v202, 0x1000, v197
	;; [unrolled: 1-line block ×3, first 2 shown]
	v_dual_mov_b32 v38, 0 :: v_dual_mov_b32 v41, 0
	v_dual_mov_b32 v40, 0 :: v_dual_mov_b32 v1, 0xfeffffff
	;; [unrolled: 1-line block ×9, first 2 shown]
	s_addc_u32 s72, s4, s6
	s_add_u32 s54, s0, 0xd0
	s_addc_u32 s55, s1, 0
.LBB0_9:                                ; =>This Inner Loop Header: Depth=1
	s_mul_hi_i32 s7, s51, s61
	s_mul_i32 s6, s51, s61
	v_cmp_gt_i32_e64 s3, 32, v188
	v_cmp_gt_i32_e64 s4, 32, v186
	;; [unrolled: 1-line block ×3, first 2 shown]
	v_dual_mov_b32 v50, v0 :: v_dual_mov_b32 v51, 0
	v_add_nc_u32_e32 v0, s51, v174
	v_cmp_gt_i32_e64 s2, 32, v189
	v_cmp_gt_i32_e32 vcc_lo, 32, v190
	s_lshl_b64 s[6:7], s[6:7], 2
	s_mul_hi_i32 s9, s51, s60
	s_mul_i32 s8, s51, s60
	s_add_u32 s6, s65, s6
	v_dual_mov_b32 v44, v6 :: v_dual_mov_b32 v45, v5
	v_dual_mov_b32 v46, v4 :: v_dual_mov_b32 v47, v3
	v_cndmask_b32_e64 v4, v187, v188, s3
	v_cndmask_b32_e64 v5, v187, v186, s4
	;; [unrolled: 1-line block ×3, first 2 shown]
	s_addc_u32 s3, s67, s7
	s_lshl_b64 s[4:5], s[8:9], 2
	v_dual_mov_b32 v48, v2 :: v_dual_mov_b32 v49, v1
	v_cndmask_b32_e64 v3, v187, v189, s2
	v_ashrrev_i32_e32 v1, 31, v0
	v_add_co_u32 v8, s2, s6, v175
	s_delay_alu instid0(VALU_DEP_3)
	v_dual_cndmask_b32 v2, v187, v190 :: v_dual_lshlrev_b32 v71, 2, v3
	v_add_co_u32 v9, vcc_lo, s6, v177
	s_add_u32 s4, s71, s4
	v_dual_mov_b32 v42, v205 :: v_dual_mov_b32 v43, v7
	v_add_co_ci_u32_e64 v7, s2, s3, v176, s2
	v_add_co_ci_u32_e32 v10, vcc_lo, s3, v178, vcc_lo
	s_addc_u32 s3, s72, s5
	v_add_co_u32 v12, s2, s4, v179
	v_add_co_u32 v11, vcc_lo, s4, v181
	v_lshlrev_b32_e32 v70, 2, v4
	v_lshlrev_b32_e32 v69, 2, v5
	v_lshlrev_b64 v[4:5], 1, v[0:1]
	v_add_co_ci_u32_e64 v1, s2, s3, v180, s2
	v_add_co_ci_u32_e32 v13, vcc_lo, s3, v182, vcc_lo
	v_add_co_u32 v8, s2, v8, v198
	v_lshlrev_b32_e32 v68, 2, v6
	v_add_co_u32 v6, vcc_lo, v9, v198
	v_add_co_ci_u32_e64 v9, s2, 0, v7, s2
	v_add_co_ci_u32_e32 v7, vcc_lo, 0, v10, vcc_lo
	v_lshlrev_b32_e32 v72, 2, v2
	v_add_co_u32 v0, vcc_lo, v11, v200
	v_add_co_u32 v2, s2, v12, v200
	s_delay_alu instid0(VALU_DEP_1)
	v_add_co_ci_u32_e64 v3, s2, 0, v1, s2
	v_add_co_ci_u32_e32 v1, vcc_lo, 0, v13, vcc_lo
	s_clause 0x1
	global_load_b128 v[10:13], v[8:9], off
	global_load_b128 v[73:76], v[6:7], off
	s_or_b32 s6, s51, 32
	v_add_co_u32 v4, vcc_lo, s68, v4
	s_mul_hi_i32 s5, s6, s60
	s_mul_i32 s4, s6, s60
	v_add_co_ci_u32_e32 v5, vcc_lo, s69, v5, vcc_lo
	s_lshl_b64 s[4:5], s[4:5], 2
	v_dual_mov_b32 v52, 0 :: v_dual_mov_b32 v53, 0
	s_add_u32 s3, s71, s4
	s_addc_u32 s4, s72, s5
	v_add_co_u32 v14, s2, s3, v179
	v_add_co_u32 v15, s3, s3, v181
	v_add_co_ci_u32_e64 v17, vcc_lo, s4, v180, s2
	v_add_co_ci_u32_e64 v77, vcc_lo, s4, v182, s3
	s_delay_alu instid0(VALU_DEP_3) | instskip(SKIP_1) | instid1(VALU_DEP_1)
	v_add_co_u32 v16, vcc_lo, v15, v200
	v_add_co_u32 v18, s2, v14, v200
	v_add_co_ci_u32_e64 v19, s2, 0, v17, s2
	s_delay_alu instid0(VALU_DEP_4)
	v_add_co_ci_u32_e32 v17, vcc_lo, 0, v77, vcc_lo
	v_dual_mov_b32 v54, 0 :: v_dual_mov_b32 v55, 0
	v_dual_mov_b32 v56, 0 :: v_dual_mov_b32 v57, 0
	;; [unrolled: 1-line block ×10, first 2 shown]
	s_waitcnt vmcnt(1)
	ds_store_b128 v191, v[10:13]
	s_waitcnt vmcnt(0)
	ds_store_b128 v192, v[73:76]
	s_waitcnt lgkmcnt(0)
	s_barrier
	buffer_gl0_inv
	ds_load_b128 v[10:13], v193 offset:16384
	ds_load_b128 v[73:76], v184
	ds_load_b128 v[77:80], v184 offset:256
	ds_load_b128 v[81:84], v184 offset:512
	;; [unrolled: 1-line block ×8, first 2 shown]
	s_waitcnt lgkmcnt(8)
	;;#ASMSTART
	v_dot2_f32_f16 v51, v10, v73, v51
	;;#ASMEND
	;;#ASMSTART
	v_dot2_f32_f16 v51, v11, v74, v51
	;;#ASMEND
	;;#ASMSTART
	v_dot2_f32_f16 v51, v12, v75, v51
	;;#ASMEND
	;;#ASMSTART
	v_dot2_f32_f16 v51, v13, v76, v51
	;;#ASMEND
	s_waitcnt lgkmcnt(7)
	;;#ASMSTART
	v_dot2_f32_f16 v52, v10, v77, v52
	;;#ASMEND
	;;#ASMSTART
	v_dot2_f32_f16 v52, v11, v78, v52
	;;#ASMEND
	;;#ASMSTART
	v_dot2_f32_f16 v52, v12, v79, v52
	;;#ASMEND
	;;#ASMSTART
	v_dot2_f32_f16 v52, v13, v80, v52
	;;#ASMEND
	s_waitcnt lgkmcnt(6)
	;;#ASMSTART
	v_dot2_f32_f16 v53, v10, v81, v53
	;;#ASMEND
	;;#ASMSTART
	v_dot2_f32_f16 v53, v11, v82, v53
	;;#ASMEND
	;;#ASMSTART
	v_dot2_f32_f16 v53, v12, v83, v53
	;;#ASMEND
	;;#ASMSTART
	v_dot2_f32_f16 v53, v13, v84, v53
	;;#ASMEND
	s_waitcnt lgkmcnt(5)
	;;#ASMSTART
	v_dot2_f32_f16 v54, v10, v85, v54
	;;#ASMEND
	;;#ASMSTART
	v_dot2_f32_f16 v54, v11, v86, v54
	;;#ASMEND
	;;#ASMSTART
	v_dot2_f32_f16 v54, v12, v87, v54
	;;#ASMEND
	;;#ASMSTART
	v_dot2_f32_f16 v54, v13, v88, v54
	;;#ASMEND
	s_waitcnt lgkmcnt(3)
	;;#ASMSTART
	v_dot2_f32_f16 v55, v10, v93, v55
	;;#ASMEND
	;;#ASMSTART
	v_dot2_f32_f16 v55, v11, v94, v55
	;;#ASMEND
	;;#ASMSTART
	v_dot2_f32_f16 v55, v12, v95, v55
	;;#ASMEND
	;;#ASMSTART
	v_dot2_f32_f16 v55, v13, v96, v55
	;;#ASMEND
	s_waitcnt lgkmcnt(2)
	;;#ASMSTART
	v_dot2_f32_f16 v56, v10, v97, v56
	;;#ASMEND
	;;#ASMSTART
	v_dot2_f32_f16 v56, v11, v98, v56
	;;#ASMEND
	;;#ASMSTART
	v_dot2_f32_f16 v56, v12, v99, v56
	;;#ASMEND
	;;#ASMSTART
	v_dot2_f32_f16 v56, v13, v100, v56
	;;#ASMEND
	s_waitcnt lgkmcnt(1)
	;;#ASMSTART
	v_dot2_f32_f16 v57, v10, v101, v57
	;;#ASMEND
	;;#ASMSTART
	v_dot2_f32_f16 v57, v11, v102, v57
	;;#ASMEND
	;;#ASMSTART
	v_dot2_f32_f16 v57, v12, v103, v57
	;;#ASMEND
	;;#ASMSTART
	v_dot2_f32_f16 v57, v13, v104, v57
	;;#ASMEND
	s_waitcnt lgkmcnt(0)
	;;#ASMSTART
	v_dot2_f32_f16 v58, v10, v105, v58
	;;#ASMEND
	;;#ASMSTART
	v_dot2_f32_f16 v58, v11, v106, v58
	;;#ASMEND
	;;#ASMSTART
	v_dot2_f32_f16 v58, v12, v107, v58
	;;#ASMEND
	;;#ASMSTART
	v_dot2_f32_f16 v58, v13, v108, v58
	;;#ASMEND
	;;#ASMSTART
	v_dot2_f32_f16 v59, v89, v73, v59
	;;#ASMEND
	;;#ASMSTART
	v_dot2_f32_f16 v59, v90, v74, v59
	;;#ASMEND
	;; [unrolled: 3-line block ×32, first 2 shown]
	ds_load_b128 v[10:13], v193 offset:16400
	ds_load_b128 v[73:76], v184 offset:16
	;; [unrolled: 1-line block ×10, first 2 shown]
	s_waitcnt lgkmcnt(8)
	;;#ASMSTART
	v_dot2_f32_f16 v51, v10, v73, v51
	;;#ASMEND
	;;#ASMSTART
	v_dot2_f32_f16 v51, v11, v74, v51
	;;#ASMEND
	;;#ASMSTART
	v_dot2_f32_f16 v51, v12, v75, v51
	;;#ASMEND
	;;#ASMSTART
	v_dot2_f32_f16 v51, v13, v76, v51
	;;#ASMEND
	s_waitcnt lgkmcnt(7)
	;;#ASMSTART
	v_dot2_f32_f16 v52, v10, v77, v52
	;;#ASMEND
	;;#ASMSTART
	v_dot2_f32_f16 v52, v11, v78, v52
	;;#ASMEND
	;;#ASMSTART
	v_dot2_f32_f16 v52, v12, v79, v52
	;;#ASMEND
	;;#ASMSTART
	v_dot2_f32_f16 v52, v13, v80, v52
	;;#ASMEND
	;; [unrolled: 13-line block ×8, first 2 shown]
	;;#ASMSTART
	v_dot2_f32_f16 v59, v89, v73, v59
	;;#ASMEND
	;;#ASMSTART
	v_dot2_f32_f16 v59, v90, v74, v59
	;;#ASMEND
	;;#ASMSTART
	v_dot2_f32_f16 v59, v91, v75, v59
	;;#ASMEND
	;;#ASMSTART
	v_dot2_f32_f16 v59, v92, v76, v59
	;;#ASMEND
	;;#ASMSTART
	v_dot2_f32_f16 v60, v89, v77, v60
	;;#ASMEND
	;;#ASMSTART
	v_dot2_f32_f16 v60, v90, v78, v60
	;;#ASMEND
	;;#ASMSTART
	v_dot2_f32_f16 v60, v91, v79, v60
	;;#ASMEND
	;;#ASMSTART
	v_dot2_f32_f16 v60, v92, v80, v60
	;;#ASMEND
	;;#ASMSTART
	v_dot2_f32_f16 v61, v89, v81, v61
	;;#ASMEND
	;;#ASMSTART
	v_dot2_f32_f16 v61, v90, v82, v61
	;;#ASMEND
	;;#ASMSTART
	v_dot2_f32_f16 v61, v91, v83, v61
	;;#ASMEND
	;;#ASMSTART
	v_dot2_f32_f16 v61, v92, v84, v61
	;;#ASMEND
	;;#ASMSTART
	v_dot2_f32_f16 v62, v89, v85, v62
	;;#ASMEND
	;;#ASMSTART
	v_dot2_f32_f16 v62, v90, v86, v62
	;;#ASMEND
	;;#ASMSTART
	v_dot2_f32_f16 v62, v91, v87, v62
	;;#ASMEND
	;;#ASMSTART
	v_dot2_f32_f16 v62, v92, v88, v62
	;;#ASMEND
	;;#ASMSTART
	v_dot2_f32_f16 v63, v89, v93, v63
	;;#ASMEND
	;;#ASMSTART
	v_dot2_f32_f16 v63, v90, v94, v63
	;;#ASMEND
	;;#ASMSTART
	v_dot2_f32_f16 v63, v91, v95, v63
	;;#ASMEND
	;;#ASMSTART
	v_dot2_f32_f16 v63, v92, v96, v63
	;;#ASMEND
	;;#ASMSTART
	v_dot2_f32_f16 v64, v89, v97, v64
	;;#ASMEND
	;;#ASMSTART
	v_dot2_f32_f16 v64, v90, v98, v64
	;;#ASMEND
	;;#ASMSTART
	v_dot2_f32_f16 v64, v91, v99, v64
	;;#ASMEND
	;;#ASMSTART
	v_dot2_f32_f16 v64, v92, v100, v64
	;;#ASMEND
	;;#ASMSTART
	v_dot2_f32_f16 v65, v89, v101, v65
	;;#ASMEND
	;;#ASMSTART
	v_dot2_f32_f16 v65, v90, v102, v65
	;;#ASMEND
	;;#ASMSTART
	v_dot2_f32_f16 v65, v91, v103, v65
	;;#ASMEND
	;;#ASMSTART
	v_dot2_f32_f16 v65, v92, v104, v65
	;;#ASMEND
	;;#ASMSTART
	v_dot2_f32_f16 v66, v89, v105, v66
	;;#ASMEND
	;;#ASMSTART
	v_dot2_f32_f16 v66, v90, v106, v66
	;;#ASMEND
	;;#ASMSTART
	v_dot2_f32_f16 v66, v91, v107, v66
	;;#ASMEND
	;;#ASMSTART
	v_dot2_f32_f16 v66, v92, v108, v66
	;;#ASMEND
	ds_load_b128 v[10:13], v193 offset:16416
	ds_load_b128 v[73:76], v184 offset:32
	ds_load_b128 v[77:80], v184 offset:288
	ds_load_b128 v[81:84], v184 offset:544
	ds_load_b128 v[85:88], v184 offset:800
	ds_load_b128 v[89:92], v193 offset:21024
	ds_load_b128 v[93:96], v184 offset:1056
	ds_load_b128 v[97:100], v184 offset:1312
	ds_load_b128 v[101:104], v184 offset:1568
	ds_load_b128 v[105:108], v184 offset:1824
	s_waitcnt lgkmcnt(8)
	;;#ASMSTART
	v_dot2_f32_f16 v51, v10, v73, v51
	;;#ASMEND
	;;#ASMSTART
	v_dot2_f32_f16 v51, v11, v74, v51
	;;#ASMEND
	;;#ASMSTART
	v_dot2_f32_f16 v51, v12, v75, v51
	;;#ASMEND
	;;#ASMSTART
	v_dot2_f32_f16 v51, v13, v76, v51
	;;#ASMEND
	s_waitcnt lgkmcnt(7)
	;;#ASMSTART
	v_dot2_f32_f16 v52, v10, v77, v52
	;;#ASMEND
	;;#ASMSTART
	v_dot2_f32_f16 v52, v11, v78, v52
	;;#ASMEND
	;;#ASMSTART
	v_dot2_f32_f16 v52, v12, v79, v52
	;;#ASMEND
	;;#ASMSTART
	v_dot2_f32_f16 v52, v13, v80, v52
	;;#ASMEND
	;; [unrolled: 13-line block ×8, first 2 shown]
	;;#ASMSTART
	v_dot2_f32_f16 v59, v89, v73, v59
	;;#ASMEND
	;;#ASMSTART
	v_dot2_f32_f16 v59, v90, v74, v59
	;;#ASMEND
	;; [unrolled: 3-line block ×32, first 2 shown]
	ds_load_b128 v[10:13], v193 offset:16432
	ds_load_b128 v[73:76], v184 offset:48
	;; [unrolled: 1-line block ×10, first 2 shown]
	s_waitcnt lgkmcnt(8)
	;;#ASMSTART
	v_dot2_f32_f16 v51, v10, v73, v51
	;;#ASMEND
	;;#ASMSTART
	v_dot2_f32_f16 v51, v11, v74, v51
	;;#ASMEND
	;;#ASMSTART
	v_dot2_f32_f16 v51, v12, v75, v51
	;;#ASMEND
	;;#ASMSTART
	v_dot2_f32_f16 v51, v13, v76, v51
	;;#ASMEND
	s_waitcnt lgkmcnt(7)
	;;#ASMSTART
	v_dot2_f32_f16 v52, v10, v77, v52
	;;#ASMEND
	;;#ASMSTART
	v_dot2_f32_f16 v52, v11, v78, v52
	;;#ASMEND
	;;#ASMSTART
	v_dot2_f32_f16 v52, v12, v79, v52
	;;#ASMEND
	;;#ASMSTART
	v_dot2_f32_f16 v52, v13, v80, v52
	;;#ASMEND
	;; [unrolled: 13-line block ×8, first 2 shown]
	;;#ASMSTART
	v_dot2_f32_f16 v59, v89, v73, v59
	;;#ASMEND
	;;#ASMSTART
	v_dot2_f32_f16 v59, v90, v74, v59
	;;#ASMEND
	;; [unrolled: 3-line block ×32, first 2 shown]
	ds_load_b128 v[10:13], v193 offset:16448
	ds_load_b128 v[73:76], v184 offset:64
	;; [unrolled: 1-line block ×10, first 2 shown]
	s_waitcnt lgkmcnt(8)
	;;#ASMSTART
	v_dot2_f32_f16 v51, v10, v73, v51
	;;#ASMEND
	;;#ASMSTART
	v_dot2_f32_f16 v51, v11, v74, v51
	;;#ASMEND
	;;#ASMSTART
	v_dot2_f32_f16 v51, v12, v75, v51
	;;#ASMEND
	;;#ASMSTART
	v_dot2_f32_f16 v51, v13, v76, v51
	;;#ASMEND
	s_waitcnt lgkmcnt(7)
	;;#ASMSTART
	v_dot2_f32_f16 v52, v10, v77, v52
	;;#ASMEND
	;;#ASMSTART
	v_dot2_f32_f16 v52, v11, v78, v52
	;;#ASMEND
	;;#ASMSTART
	v_dot2_f32_f16 v52, v12, v79, v52
	;;#ASMEND
	;;#ASMSTART
	v_dot2_f32_f16 v52, v13, v80, v52
	;;#ASMEND
	;; [unrolled: 13-line block ×8, first 2 shown]
	;;#ASMSTART
	v_dot2_f32_f16 v59, v89, v73, v59
	;;#ASMEND
	;;#ASMSTART
	v_dot2_f32_f16 v59, v90, v74, v59
	;;#ASMEND
	;; [unrolled: 3-line block ×32, first 2 shown]
	ds_load_b128 v[10:13], v193 offset:16464
	ds_load_b128 v[73:76], v184 offset:80
	;; [unrolled: 1-line block ×10, first 2 shown]
	s_waitcnt lgkmcnt(8)
	;;#ASMSTART
	v_dot2_f32_f16 v51, v10, v73, v51
	;;#ASMEND
	;;#ASMSTART
	v_dot2_f32_f16 v51, v11, v74, v51
	;;#ASMEND
	;;#ASMSTART
	v_dot2_f32_f16 v51, v12, v75, v51
	;;#ASMEND
	;;#ASMSTART
	v_dot2_f32_f16 v51, v13, v76, v51
	;;#ASMEND
	s_waitcnt lgkmcnt(7)
	;;#ASMSTART
	v_dot2_f32_f16 v52, v10, v77, v52
	;;#ASMEND
	;;#ASMSTART
	v_dot2_f32_f16 v52, v11, v78, v52
	;;#ASMEND
	;;#ASMSTART
	v_dot2_f32_f16 v52, v12, v79, v52
	;;#ASMEND
	;;#ASMSTART
	v_dot2_f32_f16 v52, v13, v80, v52
	;;#ASMEND
	;; [unrolled: 13-line block ×8, first 2 shown]
	;;#ASMSTART
	v_dot2_f32_f16 v59, v89, v73, v59
	;;#ASMEND
	;;#ASMSTART
	v_dot2_f32_f16 v59, v90, v74, v59
	;;#ASMEND
	;; [unrolled: 3-line block ×32, first 2 shown]
	ds_load_b128 v[10:13], v193 offset:16480
	ds_load_b128 v[73:76], v184 offset:96
	;; [unrolled: 1-line block ×10, first 2 shown]
	s_waitcnt lgkmcnt(8)
	;;#ASMSTART
	v_dot2_f32_f16 v51, v10, v73, v51
	;;#ASMEND
	;;#ASMSTART
	v_dot2_f32_f16 v51, v11, v74, v51
	;;#ASMEND
	;;#ASMSTART
	v_dot2_f32_f16 v51, v12, v75, v51
	;;#ASMEND
	;;#ASMSTART
	v_dot2_f32_f16 v51, v13, v76, v51
	;;#ASMEND
	s_waitcnt lgkmcnt(7)
	;;#ASMSTART
	v_dot2_f32_f16 v52, v10, v77, v52
	;;#ASMEND
	;;#ASMSTART
	v_dot2_f32_f16 v52, v11, v78, v52
	;;#ASMEND
	;;#ASMSTART
	v_dot2_f32_f16 v52, v12, v79, v52
	;;#ASMEND
	;;#ASMSTART
	v_dot2_f32_f16 v52, v13, v80, v52
	;;#ASMEND
	;; [unrolled: 13-line block ×8, first 2 shown]
	;;#ASMSTART
	v_dot2_f32_f16 v59, v89, v73, v59
	;;#ASMEND
	;;#ASMSTART
	v_dot2_f32_f16 v59, v90, v74, v59
	;;#ASMEND
	;; [unrolled: 3-line block ×32, first 2 shown]
	ds_load_b128 v[10:13], v193 offset:16496
	ds_load_b128 v[73:76], v184 offset:112
	;; [unrolled: 1-line block ×10, first 2 shown]
	s_waitcnt lgkmcnt(8)
	;;#ASMSTART
	v_dot2_f32_f16 v51, v10, v73, v51
	;;#ASMEND
	;;#ASMSTART
	v_dot2_f32_f16 v51, v11, v74, v51
	;;#ASMEND
	;;#ASMSTART
	v_dot2_f32_f16 v51, v12, v75, v51
	;;#ASMEND
	;;#ASMSTART
	v_dot2_f32_f16 v51, v13, v76, v51
	;;#ASMEND
	s_waitcnt lgkmcnt(7)
	;;#ASMSTART
	v_dot2_f32_f16 v52, v10, v77, v52
	;;#ASMEND
	;;#ASMSTART
	v_dot2_f32_f16 v52, v11, v78, v52
	;;#ASMEND
	;;#ASMSTART
	v_dot2_f32_f16 v52, v12, v79, v52
	;;#ASMEND
	;;#ASMSTART
	v_dot2_f32_f16 v52, v13, v80, v52
	;;#ASMEND
	;; [unrolled: 13-line block ×8, first 2 shown]
	;;#ASMSTART
	v_dot2_f32_f16 v59, v89, v73, v59
	;;#ASMEND
	;;#ASMSTART
	v_dot2_f32_f16 v59, v90, v74, v59
	;;#ASMEND
	;; [unrolled: 3-line block ×32, first 2 shown]
	s_barrier
	buffer_gl0_inv
	s_clause 0x1
	global_load_b128 v[8:11], v[8:9], off offset:128
	global_load_b128 v[12:15], v[6:7], off offset:128
	s_waitcnt vmcnt(1)
	ds_store_b128 v191, v[8:11]
	s_waitcnt vmcnt(0)
	ds_store_b128 v192, v[12:15]
	s_waitcnt lgkmcnt(0)
	s_barrier
	buffer_gl0_inv
	ds_load_b128 v[6:9], v193 offset:16384
	ds_load_b128 v[10:13], v184 offset:128
	;; [unrolled: 1-line block ×10, first 2 shown]
	s_waitcnt lgkmcnt(8)
	;;#ASMSTART
	v_dot2_f32_f16 v51, v6, v10, v51
	;;#ASMEND
	;;#ASMSTART
	v_dot2_f32_f16 v51, v7, v11, v51
	;;#ASMEND
	;;#ASMSTART
	v_dot2_f32_f16 v51, v8, v12, v51
	;;#ASMEND
	;;#ASMSTART
	v_dot2_f32_f16 v51, v9, v13, v51
	;;#ASMEND
	s_waitcnt lgkmcnt(7)
	;;#ASMSTART
	v_dot2_f32_f16 v52, v6, v73, v52
	;;#ASMEND
	;;#ASMSTART
	v_dot2_f32_f16 v52, v7, v74, v52
	;;#ASMEND
	;;#ASMSTART
	v_dot2_f32_f16 v52, v8, v75, v52
	;;#ASMEND
	;;#ASMSTART
	v_dot2_f32_f16 v52, v9, v76, v52
	;;#ASMEND
	;; [unrolled: 13-line block ×8, first 2 shown]
	;;#ASMSTART
	v_dot2_f32_f16 v59, v85, v10, v59
	;;#ASMEND
	;;#ASMSTART
	v_dot2_f32_f16 v59, v86, v11, v59
	;;#ASMEND
	;; [unrolled: 3-line block ×32, first 2 shown]
	ds_load_b128 v[6:9], v193 offset:16400
	ds_load_b128 v[10:13], v184 offset:144
	;; [unrolled: 1-line block ×10, first 2 shown]
	s_waitcnt lgkmcnt(8)
	;;#ASMSTART
	v_dot2_f32_f16 v51, v6, v10, v51
	;;#ASMEND
	;;#ASMSTART
	v_dot2_f32_f16 v51, v7, v11, v51
	;;#ASMEND
	;;#ASMSTART
	v_dot2_f32_f16 v51, v8, v12, v51
	;;#ASMEND
	;;#ASMSTART
	v_dot2_f32_f16 v51, v9, v13, v51
	;;#ASMEND
	s_waitcnt lgkmcnt(7)
	;;#ASMSTART
	v_dot2_f32_f16 v52, v6, v73, v52
	;;#ASMEND
	;;#ASMSTART
	v_dot2_f32_f16 v52, v7, v74, v52
	;;#ASMEND
	;;#ASMSTART
	v_dot2_f32_f16 v52, v8, v75, v52
	;;#ASMEND
	;;#ASMSTART
	v_dot2_f32_f16 v52, v9, v76, v52
	;;#ASMEND
	;; [unrolled: 13-line block ×8, first 2 shown]
	;;#ASMSTART
	v_dot2_f32_f16 v59, v85, v10, v59
	;;#ASMEND
	;;#ASMSTART
	v_dot2_f32_f16 v59, v86, v11, v59
	;;#ASMEND
	;; [unrolled: 3-line block ×32, first 2 shown]
	ds_load_b128 v[6:9], v193 offset:16416
	ds_load_b128 v[10:13], v184 offset:160
	;; [unrolled: 1-line block ×10, first 2 shown]
	s_waitcnt lgkmcnt(8)
	;;#ASMSTART
	v_dot2_f32_f16 v51, v6, v10, v51
	;;#ASMEND
	;;#ASMSTART
	v_dot2_f32_f16 v51, v7, v11, v51
	;;#ASMEND
	;;#ASMSTART
	v_dot2_f32_f16 v51, v8, v12, v51
	;;#ASMEND
	;;#ASMSTART
	v_dot2_f32_f16 v51, v9, v13, v51
	;;#ASMEND
	s_waitcnt lgkmcnt(7)
	;;#ASMSTART
	v_dot2_f32_f16 v52, v6, v73, v52
	;;#ASMEND
	;;#ASMSTART
	v_dot2_f32_f16 v52, v7, v74, v52
	;;#ASMEND
	;;#ASMSTART
	v_dot2_f32_f16 v52, v8, v75, v52
	;;#ASMEND
	;;#ASMSTART
	v_dot2_f32_f16 v52, v9, v76, v52
	;;#ASMEND
	;; [unrolled: 13-line block ×8, first 2 shown]
	;;#ASMSTART
	v_dot2_f32_f16 v59, v85, v10, v59
	;;#ASMEND
	;;#ASMSTART
	v_dot2_f32_f16 v59, v86, v11, v59
	;;#ASMEND
	;; [unrolled: 3-line block ×32, first 2 shown]
	ds_load_b128 v[6:9], v193 offset:16432
	ds_load_b128 v[10:13], v184 offset:176
	;; [unrolled: 1-line block ×10, first 2 shown]
	s_waitcnt lgkmcnt(8)
	;;#ASMSTART
	v_dot2_f32_f16 v51, v6, v10, v51
	;;#ASMEND
	;;#ASMSTART
	v_dot2_f32_f16 v51, v7, v11, v51
	;;#ASMEND
	;;#ASMSTART
	v_dot2_f32_f16 v51, v8, v12, v51
	;;#ASMEND
	;;#ASMSTART
	v_dot2_f32_f16 v51, v9, v13, v51
	;;#ASMEND
	s_waitcnt lgkmcnt(7)
	;;#ASMSTART
	v_dot2_f32_f16 v52, v6, v73, v52
	;;#ASMEND
	;;#ASMSTART
	v_dot2_f32_f16 v52, v7, v74, v52
	;;#ASMEND
	;;#ASMSTART
	v_dot2_f32_f16 v52, v8, v75, v52
	;;#ASMEND
	;;#ASMSTART
	v_dot2_f32_f16 v52, v9, v76, v52
	;;#ASMEND
	;; [unrolled: 13-line block ×8, first 2 shown]
	;;#ASMSTART
	v_dot2_f32_f16 v59, v85, v10, v59
	;;#ASMEND
	;;#ASMSTART
	v_dot2_f32_f16 v59, v86, v11, v59
	;;#ASMEND
	;; [unrolled: 3-line block ×32, first 2 shown]
	ds_load_b128 v[6:9], v193 offset:16448
	ds_load_b128 v[10:13], v184 offset:192
	;; [unrolled: 1-line block ×10, first 2 shown]
	s_waitcnt lgkmcnt(8)
	;;#ASMSTART
	v_dot2_f32_f16 v51, v6, v10, v51
	;;#ASMEND
	;;#ASMSTART
	v_dot2_f32_f16 v51, v7, v11, v51
	;;#ASMEND
	;;#ASMSTART
	v_dot2_f32_f16 v51, v8, v12, v51
	;;#ASMEND
	;;#ASMSTART
	v_dot2_f32_f16 v51, v9, v13, v51
	;;#ASMEND
	s_waitcnt lgkmcnt(7)
	;;#ASMSTART
	v_dot2_f32_f16 v52, v6, v73, v52
	;;#ASMEND
	;;#ASMSTART
	v_dot2_f32_f16 v52, v7, v74, v52
	;;#ASMEND
	;;#ASMSTART
	v_dot2_f32_f16 v52, v8, v75, v52
	;;#ASMEND
	;;#ASMSTART
	v_dot2_f32_f16 v52, v9, v76, v52
	;;#ASMEND
	;; [unrolled: 13-line block ×8, first 2 shown]
	;;#ASMSTART
	v_dot2_f32_f16 v59, v85, v10, v59
	;;#ASMEND
	;;#ASMSTART
	v_dot2_f32_f16 v59, v86, v11, v59
	;;#ASMEND
	;; [unrolled: 3-line block ×32, first 2 shown]
	ds_load_b128 v[6:9], v193 offset:16464
	ds_load_b128 v[10:13], v184 offset:208
	;; [unrolled: 1-line block ×10, first 2 shown]
	s_waitcnt lgkmcnt(8)
	;;#ASMSTART
	v_dot2_f32_f16 v51, v6, v10, v51
	;;#ASMEND
	;;#ASMSTART
	v_dot2_f32_f16 v51, v7, v11, v51
	;;#ASMEND
	;;#ASMSTART
	v_dot2_f32_f16 v51, v8, v12, v51
	;;#ASMEND
	;;#ASMSTART
	v_dot2_f32_f16 v51, v9, v13, v51
	;;#ASMEND
	s_waitcnt lgkmcnt(7)
	;;#ASMSTART
	v_dot2_f32_f16 v52, v6, v73, v52
	;;#ASMEND
	;;#ASMSTART
	v_dot2_f32_f16 v52, v7, v74, v52
	;;#ASMEND
	;;#ASMSTART
	v_dot2_f32_f16 v52, v8, v75, v52
	;;#ASMEND
	;;#ASMSTART
	v_dot2_f32_f16 v52, v9, v76, v52
	;;#ASMEND
	;; [unrolled: 13-line block ×8, first 2 shown]
	;;#ASMSTART
	v_dot2_f32_f16 v59, v85, v10, v59
	;;#ASMEND
	;;#ASMSTART
	v_dot2_f32_f16 v59, v86, v11, v59
	;;#ASMEND
	;; [unrolled: 3-line block ×32, first 2 shown]
	ds_load_b128 v[6:9], v193 offset:16480
	ds_load_b128 v[10:13], v184 offset:224
	;; [unrolled: 1-line block ×10, first 2 shown]
	s_waitcnt lgkmcnt(8)
	;;#ASMSTART
	v_dot2_f32_f16 v51, v6, v10, v51
	;;#ASMEND
	;;#ASMSTART
	v_dot2_f32_f16 v51, v7, v11, v51
	;;#ASMEND
	;;#ASMSTART
	v_dot2_f32_f16 v51, v8, v12, v51
	;;#ASMEND
	;;#ASMSTART
	v_dot2_f32_f16 v51, v9, v13, v51
	;;#ASMEND
	s_waitcnt lgkmcnt(7)
	;;#ASMSTART
	v_dot2_f32_f16 v52, v6, v73, v52
	;;#ASMEND
	;;#ASMSTART
	v_dot2_f32_f16 v52, v7, v74, v52
	;;#ASMEND
	;;#ASMSTART
	v_dot2_f32_f16 v52, v8, v75, v52
	;;#ASMEND
	;;#ASMSTART
	v_dot2_f32_f16 v52, v9, v76, v52
	;;#ASMEND
	;; [unrolled: 13-line block ×8, first 2 shown]
	;;#ASMSTART
	v_dot2_f32_f16 v59, v85, v10, v59
	;;#ASMEND
	;;#ASMSTART
	v_dot2_f32_f16 v59, v86, v11, v59
	;;#ASMEND
	;; [unrolled: 3-line block ×32, first 2 shown]
	ds_load_b128 v[6:9], v193 offset:16496
	ds_load_b128 v[10:13], v184 offset:240
	;; [unrolled: 1-line block ×10, first 2 shown]
	s_waitcnt lgkmcnt(8)
	;;#ASMSTART
	v_dot2_f32_f16 v51, v6, v10, v51
	;;#ASMEND
	;;#ASMSTART
	v_dot2_f32_f16 v51, v7, v11, v51
	;;#ASMEND
	;;#ASMSTART
	v_dot2_f32_f16 v51, v8, v12, v51
	;;#ASMEND
	;;#ASMSTART
	v_dot2_f32_f16 v51, v9, v13, v51
	;;#ASMEND
	s_waitcnt lgkmcnt(7)
	;;#ASMSTART
	v_dot2_f32_f16 v52, v6, v73, v52
	;;#ASMEND
	;;#ASMSTART
	v_dot2_f32_f16 v52, v7, v74, v52
	;;#ASMEND
	;;#ASMSTART
	v_dot2_f32_f16 v52, v8, v75, v52
	;;#ASMEND
	;;#ASMSTART
	v_dot2_f32_f16 v52, v9, v76, v52
	;;#ASMEND
	;; [unrolled: 13-line block ×8, first 2 shown]
	;;#ASMSTART
	v_dot2_f32_f16 v59, v85, v10, v59
	;;#ASMEND
	;;#ASMSTART
	v_dot2_f32_f16 v59, v86, v11, v59
	;;#ASMEND
	;; [unrolled: 3-line block ×32, first 2 shown]
	s_clause 0x1
	flat_load_u16 v6, v[4:5]
	flat_load_u16 v4, v[4:5] offset:64
	s_waitcnt vmcnt(0) lgkmcnt(0)
	s_barrier
	buffer_gl0_inv
	s_clause 0x1
	global_load_b128 v[8:11], v[2:3], off
	global_load_b128 v[12:15], v[0:1], off
	v_cvt_f32_f16_e32 v0, v6
	v_cvt_f32_f16_e32 v1, v4
	s_delay_alu instid0(VALU_DEP_2) | instskip(NEXT) | instid1(VALU_DEP_2)
	v_add_f32_e32 v52, v52, v0
	v_dual_add_f32 v60, v60, v1 :: v_dual_add_f32 v55, v55, v0
	v_add_f32_e32 v51, v51, v0
	v_dual_add_f32 v59, v59, v1 :: v_dual_add_f32 v54, v54, v0
	;; [unrolled: 2-line block ×4, first 2 shown]
	v_add_f32_e32 v65, v65, v1
	v_add_f32_e32 v64, v64, v1
	v_dual_add_f32 v66, v66, v1 :: v_dual_add_f32 v3, 0x40051340, v60
	v_add_f32_e32 v1, 0x40051340, v52
	v_dual_add_f32 v58, v58, v0 :: v_dual_add_f32 v5, 0x40051340, v54
	v_dual_add_f32 v0, 0x40051340, v51 :: v_dual_add_f32 v7, 0x40051340, v62
	;; [unrolled: 1-line block ×5, first 2 shown]
	v_max3_f32 v1, v49, v1, v3
	s_delay_alu instid0(VALU_DEP_4)
	v_max3_f32 v0, v50, v0, v2
	v_max3_f32 v2, v47, v5, v7
	v_dual_add_f32 v74, 0x40051340, v56 :: v_dual_add_f32 v79, 0x40051340, v65
	v_max3_f32 v5, v46, v73, v75
	ds_bpermute_b32 v73, v72, v1
	v_add_f32_e32 v76, 0x40051340, v64
	v_max3_f32 v3, v48, v4, v6
	v_max3_f32 v7, v44, v77, v79
	ds_bpermute_b32 v75, v72, v2
	s_waitcnt lgkmcnt(1)
	v_dual_add_f32 v78, 0x40051340, v58 :: v_dual_max_f32 v73, v73, v73
	v_max3_f32 v4, v45, v74, v76
	ds_bpermute_b32 v74, v72, v0
	ds_bpermute_b32 v76, v72, v3
	s_waitcnt lgkmcnt(2)
	v_max_f32_e32 v75, v75, v75
	v_max_f32_e32 v1, v1, v73
	ds_bpermute_b32 v77, v72, v4
	v_add_f32_e32 v80, 0x40051340, v66
	s_waitcnt lgkmcnt(0)
	v_dual_max_f32 v76, v76, v76 :: v_dual_max_f32 v77, v77, v77
	s_delay_alu instid0(VALU_DEP_2)
	v_max3_f32 v6, v43, v78, v80
	ds_bpermute_b32 v78, v72, v5
	v_max_f32_e32 v3, v3, v76
	ds_bpermute_b32 v79, v72, v6
	ds_bpermute_b32 v72, v72, v7
	v_max_f32_e32 v74, v74, v74
	s_waitcnt lgkmcnt(1)
	v_dual_max_f32 v78, v78, v78 :: v_dual_max_f32 v79, v79, v79
	s_waitcnt lgkmcnt(0)
	s_delay_alu instid0(VALU_DEP_1) | instskip(NEXT) | instid1(VALU_DEP_1)
	v_dual_max_f32 v72, v72, v72 :: v_dual_max_f32 v5, v5, v78
	v_dual_max_f32 v0, v0, v74 :: v_dual_max_f32 v7, v7, v72
	ds_bpermute_b32 v72, v71, v1
	ds_bpermute_b32 v73, v71, v0
	v_max_f32_e32 v2, v2, v75
	ds_bpermute_b32 v75, v71, v3
	v_max_f32_e32 v4, v4, v77
	ds_bpermute_b32 v77, v71, v5
	s_waitcnt lgkmcnt(2)
	v_dual_max_f32 v6, v6, v79 :: v_dual_max_f32 v73, v73, v73
	ds_bpermute_b32 v74, v71, v2
	s_waitcnt lgkmcnt(2)
	v_max_f32_e32 v75, v75, v75
	ds_bpermute_b32 v76, v71, v4
	s_waitcnt lgkmcnt(2)
	v_max_f32_e32 v77, v77, v77
	ds_bpermute_b32 v78, v71, v6
	ds_bpermute_b32 v71, v71, v7
	v_dual_max_f32 v72, v72, v72 :: v_dual_max_f32 v3, v3, v75
	s_waitcnt lgkmcnt(2)
	v_dual_max_f32 v5, v5, v77 :: v_dual_max_f32 v76, v76, v76
	s_waitcnt lgkmcnt(0)
	v_dual_max_f32 v78, v78, v78 :: v_dual_max_f32 v71, v71, v71
	v_dual_max_f32 v74, v74, v74 :: v_dual_max_f32 v1, v1, v72
	s_delay_alu instid0(VALU_DEP_2)
	v_dual_max_f32 v0, v0, v73 :: v_dual_max_f32 v7, v7, v71
	ds_bpermute_b32 v71, v70, v1
	v_max_f32_e32 v2, v2, v74
	ds_bpermute_b32 v72, v70, v0
	ds_bpermute_b32 v74, v70, v3
	s_waitcnt lgkmcnt(2)
	v_max_f32_e32 v71, v71, v71
	ds_bpermute_b32 v73, v70, v2
	v_max_f32_e32 v4, v4, v76
	ds_bpermute_b32 v76, v70, v5
	s_waitcnt lgkmcnt(2)
	v_dual_max_f32 v74, v74, v74 :: v_dual_max_f32 v1, v1, v71
	s_delay_alu instid0(VALU_DEP_1)
	v_max_f32_e32 v3, v3, v74
	s_waitcnt lgkmcnt(1)
	v_max_f32_e32 v73, v73, v73
	ds_bpermute_b32 v75, v70, v4
	v_max_f32_e32 v6, v6, v78
	s_waitcnt lgkmcnt(1)
	v_max_f32_e32 v76, v76, v76
	s_delay_alu instid0(VALU_DEP_1)
	v_max_f32_e32 v5, v5, v76
	s_waitcnt lgkmcnt(0)
	v_max_f32_e32 v75, v75, v75
	ds_bpermute_b32 v77, v70, v6
	ds_bpermute_b32 v70, v70, v7
	s_waitcnt lgkmcnt(1)
	v_dual_max_f32 v72, v72, v72 :: v_dual_max_f32 v77, v77, v77
	s_waitcnt lgkmcnt(0)
	v_max_f32_e32 v70, v70, v70
	s_delay_alu instid0(VALU_DEP_1)
	v_dual_max_f32 v0, v0, v72 :: v_dual_max_f32 v7, v7, v70
	ds_bpermute_b32 v71, v69, v0
	v_max_f32_e32 v2, v2, v73
	ds_bpermute_b32 v73, v69, v3
	v_max_f32_e32 v4, v4, v75
	;; [unrolled: 2-line block ×3, first 2 shown]
	ds_bpermute_b32 v70, v69, v1
	s_waitcnt lgkmcnt(3)
	v_max_f32_e32 v71, v71, v71
	ds_bpermute_b32 v72, v69, v2
	s_waitcnt lgkmcnt(3)
	v_max_f32_e32 v73, v73, v73
	;; [unrolled: 3-line block ×3, first 2 shown]
	ds_bpermute_b32 v76, v69, v6
	ds_bpermute_b32 v69, v69, v7
	s_waitcnt lgkmcnt(4)
	v_max_f32_e32 v70, v70, v70
	v_max_f32_e32 v0, v0, v71
	;; [unrolled: 1-line block ×3, first 2 shown]
	ds_bpermute_b32 v5, v68, v0
	s_waitcnt lgkmcnt(1)
	v_dual_max_f32 v74, v74, v74 :: v_dual_max_f32 v69, v69, v69
	v_dual_max_f32 v72, v72, v72 :: v_dual_max_f32 v1, v1, v70
	v_max_f32_e32 v70, v3, v73
	s_delay_alu instid0(VALU_DEP_3)
	v_dual_max_f32 v76, v76, v76 :: v_dual_max_f32 v69, v7, v69
	ds_bpermute_b32 v3, v68, v1
	s_waitcnt lgkmcnt(1)
	v_dual_max_f32 v2, v2, v72 :: v_dual_max_f32 v5, v5, v5
	s_waitcnt lgkmcnt(0)
	v_max_f32_e32 v3, v3, v3
	ds_bpermute_b32 v7, v68, v2
	v_max_f32_e32 v4, v4, v74
	ds_bpermute_b32 v74, v68, v71
	;; [unrolled: 2-line block ×3, first 2 shown]
	v_sub_f32_e32 v52, v52, v1
	v_sub_f32_e32 v49, v49, v1
	;; [unrolled: 1-line block ×3, first 2 shown]
	s_delay_alu instid0(VALU_DEP_3) | instskip(NEXT) | instid1(VALU_DEP_3)
	v_cmp_ngt_f32_e32 vcc_lo, 0xc2ce8ed0, v52
	v_cmp_ngt_f32_e64 s5, 0xc2ce8ed0, v49
	v_cmp_nlt_f32_e64 s29, 0x42b17218, v49
	v_cmp_nlt_f32_e64 s25, 0x42b17218, v52
	v_cmp_ngt_f32_e64 s4, 0xc2ce8ed0, v60
	v_cmp_nlt_f32_e64 s28, 0x42b17218, v60
	s_waitcnt lgkmcnt(2)
	v_max_f32_e32 v7, v7, v7
	ds_bpermute_b32 v73, v68, v4
	v_max_f32_e32 v6, v6, v76
	v_max_f32_e32 v3, v2, v7
	s_delay_alu instid0(VALU_DEP_1) | instskip(SKIP_1) | instid1(VALU_DEP_2)
	v_sub_f32_e32 v47, v47, v3
	v_sub_f32_e32 v54, v54, v3
	v_mul_f32_e32 v79, 0x3fb8aa3b, v47
	v_cmp_ngt_f32_e64 s11, 0xc2ce8ed0, v47
	v_cmp_nlt_f32_e64 s36, 0x42b17218, v47
	s_delay_alu instid0(VALU_DEP_4)
	v_cmp_ngt_f32_e64 s7, 0xc2ce8ed0, v54
	v_cmp_nlt_f32_e64 s31, 0x42b17218, v54
	v_fma_f32 v114, 0x3fb8aa3b, v47, -v79
	s_waitcnt lgkmcnt(0)
	v_max_f32_e32 v73, v73, v73
	ds_bpermute_b32 v75, v68, v6
	ds_bpermute_b32 v68, v68, v69
	v_max_f32_e32 v72, v72, v72
	v_max_f32_e32 v74, v74, v74
	v_rndne_f32_e32 v115, v79
	s_waitcnt lgkmcnt(0)
	v_dual_max_f32 v75, v75, v75 :: v_dual_max_f32 v68, v68, v68
	v_max_f32_e32 v0, v0, v5
	v_dual_max_f32 v5, v4, v73 :: v_dual_max_f32 v4, v71, v74
	s_delay_alu instid0(VALU_DEP_3) | instskip(NEXT) | instid1(VALU_DEP_3)
	v_dual_max_f32 v7, v6, v75 :: v_dual_max_f32 v6, v69, v68
	v_sub_f32_e32 v59, v59, v0
	s_delay_alu instid0(VALU_DEP_3) | instskip(NEXT) | instid1(VALU_DEP_3)
	v_dual_sub_f32 v45, v45, v5 :: v_dual_sub_f32 v62, v62, v3
	v_dual_sub_f32 v55, v55, v4 :: v_dual_sub_f32 v44, v44, v6
	v_mul_f32_e32 v69, 0x3fb8aa3b, v52
	v_max_f32_e32 v2, v70, v72
	s_delay_alu instid0(VALU_DEP_3) | instskip(NEXT) | instid1(VALU_DEP_4)
	v_dual_sub_f32 v51, v51, v0 :: v_dual_mul_f32 v82, 0x3fb8aa3b, v55
	v_mul_f32_e32 v89, 0x3fb8aa3b, v44
	v_cmp_ngt_f32_e64 s22, 0xc2ce8ed0, v44
	v_cmp_nlt_f32_e64 s46, 0x42b17218, v44
	v_dual_sub_f32 v50, v50, v0 :: v_dual_sub_f32 v61, v61, v2
	s_delay_alu instid0(VALU_DEP_4) | instskip(SKIP_2) | instid1(VALU_DEP_3)
	v_fma_f32 v134, 0x3fb8aa3b, v44, -v89
	v_rndne_f32_e32 v135, v89
	v_dual_sub_f32 v48, v48, v2 :: v_dual_sub_f32 v63, v63, v4
	v_dual_sub_f32 v53, v53, v2 :: v_dual_fmac_f32 v134, 0x32a5705f, v44
	s_delay_alu instid0(VALU_DEP_3) | instskip(SKIP_2) | instid1(VALU_DEP_3)
	v_sub_f32_e32 v44, v89, v135
	v_dual_sub_f32 v46, v46, v4 :: v_dual_sub_f32 v65, v65, v6
	v_dual_sub_f32 v66, v66, v7 :: v_dual_mul_f32 v73, 0x3fb8aa3b, v49
	v_add_f32_e32 v44, v44, v134
	v_dual_mul_f32 v68, 0x3fb8aa3b, v59 :: v_dual_mul_f32 v75, 0x3fb8aa3b, v54
	v_dual_mul_f32 v70, 0x3fb8aa3b, v51 :: v_dual_mul_f32 v77, 0x3fb8aa3b, v48
	s_delay_alu instid0(VALU_DEP_3) | instskip(SKIP_3) | instid1(VALU_DEP_2)
	v_exp_f32_e32 v44, v44
	v_cvt_i32_f32_e32 v89, v135
	v_dual_sub_f32 v56, v56, v5 :: v_dual_sub_f32 v57, v57, v6
	v_dual_sub_f32 v58, v58, v7 :: v_dual_mul_f32 v71, 0x3fb8aa3b, v50
	v_dual_mul_f32 v74, 0x3fb8aa3b, v61 :: v_dual_mul_f32 v81, 0x3fb8aa3b, v56
	v_dual_mul_f32 v76, 0x3fb8aa3b, v53 :: v_dual_mul_f32 v83, 0x3fb8aa3b, v46
	s_delay_alu instid0(VALU_DEP_3)
	v_dual_mul_f32 v80, 0x3fb8aa3b, v63 :: v_dual_mul_f32 v87, 0x3fb8aa3b, v58
	v_fma_f32 v92, 0x3fb8aa3b, v59, -v68
	v_rndne_f32_e32 v93, v68
	v_fma_f32 v96, 0x3fb8aa3b, v51, -v70
	v_rndne_f32_e32 v97, v70
	v_fma_f32 v102, 0x3fb8aa3b, v49, -v73
	v_rndne_f32_e32 v103, v73
	v_mul_f32_e32 v86, 0x3fb8aa3b, v65
	v_ldexp_f32 v44, v44, v89
	v_dual_mul_f32 v78, 0x3fb8aa3b, v62 :: v_dual_mul_f32 v85, 0x3fb8aa3b, v45
	v_mul_f32_e32 v90, 0x3fb8aa3b, v66
	v_cmp_ngt_f32_e64 s2, 0xc2ce8ed0, v51
	v_cmp_ngt_f32_e64 s48, 0xc2ce8ed0, v59
	v_cmp_nlt_f32_e64 s26, 0x42b17218, v51
	v_cmp_nlt_f32_e64 s50, 0x42b17218, v59
	v_fma_f32 v94, 0x3fb8aa3b, v52, -v69
	v_rndne_f32_e32 v95, v69
	v_fma_f32 v98, 0x3fb8aa3b, v50, -v71
	v_rndne_f32_e32 v99, v71
	v_fma_f32 v104, 0x3fb8aa3b, v61, -v74
	v_rndne_f32_e32 v105, v74
	v_fma_f32 v108, 0x3fb8aa3b, v53, -v76
	v_rndne_f32_e32 v109, v76
	v_fma_f32 v116, 0x3fb8aa3b, v63, -v80
	v_rndne_f32_e32 v117, v80
	v_dual_fmac_f32 v92, 0x32a5705f, v59 :: v_dual_sub_f32 v59, v68, v93
	v_dual_fmac_f32 v96, 0x32a5705f, v51 :: v_dual_sub_f32 v51, v70, v97
	;; [unrolled: 1-line block ×3, first 2 shown]
	s_delay_alu instid0(VALU_DEP_3)
	v_add_f32_e32 v59, v59, v92
	v_fma_f32 v128, 0x3fb8aa3b, v65, -v86
	v_rndne_f32_e32 v129, v86
	v_cndmask_b32_e64 v44, 0, v44, s22
	v_cmp_ngt_f32_e64 s3, 0xc2ce8ed0, v50
	v_cmp_ngt_f32_e64 s6, 0xc2ce8ed0, v61
	;; [unrolled: 1-line block ×5, first 2 shown]
	v_cmp_nlt_f32_e64 s27, 0x42b17218, v50
	v_cmp_nlt_f32_e64 s30, 0x42b17218, v61
	;; [unrolled: 1-line block ×5, first 2 shown]
	v_fma_f32 v112, 0x3fb8aa3b, v62, -v78
	v_rndne_f32_e32 v121, v82
	v_fmac_f32_e32 v94, 0x32a5705f, v52
	v_sub_f32_e32 v52, v69, v95
	v_fmac_f32_e32 v98, 0x32a5705f, v50
	v_sub_f32_e32 v50, v71, v99
	v_cndmask_b32_e64 v44, 0x7f800000, v44, s46
	v_fmac_f32_e32 v128, 0x32a5705f, v65
	v_dual_sub_f32 v65, v86, v129 :: v_dual_fmac_f32 v116, 0x32a5705f, v63
	v_sub_f32_e32 v63, v80, v117
	v_dual_fmac_f32 v104, 0x32a5705f, v61 :: v_dual_add_f32 v51, v51, v96
	v_sub_f32_e32 v61, v74, v105
	v_fmac_f32_e32 v108, 0x32a5705f, v53
	v_sub_f32_e32 v53, v76, v109
	v_cvt_i32_f32_e32 v74, v105
	v_cvt_i32_f32_e32 v76, v109
	v_dual_add_f32 v61, v61, v104 :: v_dual_fmac_f32 v112, 0x32a5705f, v62
	s_delay_alu instid0(VALU_DEP_4) | instskip(SKIP_2) | instid1(VALU_DEP_2)
	v_add_f32_e32 v53, v53, v108
	v_exp_f32_e32 v59, v59
	v_exp_f32_e32 v51, v51
	;; [unrolled: 1-line block ×3, first 2 shown]
	v_cvt_i32_f32_e32 v68, v93
	v_exp_f32_e32 v53, v53
	v_cvt_i32_f32_e32 v70, v97
	v_mul_f32_e32 v72, 0x3fb8aa3b, v60
	v_mul_f32_e32 v88, 0x3fb8aa3b, v57
	v_fma_f32 v122, 0x3fb8aa3b, v46, -v83
	v_rndne_f32_e32 v123, v83
	v_ldexp_f32 v59, v59, v68
	v_ldexp_f32 v51, v51, v70
	v_ldexp_f32 v61, v61, v74
	v_fma_f32 v100, 0x3fb8aa3b, v60, -v72
	v_ldexp_f32 v53, v53, v76
	v_fma_f32 v126, 0x3fb8aa3b, v45, -v85
	v_rndne_f32_e32 v127, v85
	v_cndmask_b32_e64 v61, 0, v61, s6
	v_cndmask_b32_e64 v59, 0, v59, s48
	;; [unrolled: 1-line block ×4, first 2 shown]
	v_cmp_ngt_f32_e64 s16, 0xc2ce8ed0, v46
	v_cndmask_b32_e64 v61, 0x7f800000, v61, s30
	v_cmp_ngt_f32_e64 s18, 0xc2ce8ed0, v45
	v_cndmask_b32_e64 v53, 0x7f800000, v53, s33
	v_cmp_nlt_f32_e64 s40, 0x42b17218, v46
	v_cmp_nlt_f32_e64 s42, 0x42b17218, v45
	v_fma_f32 v106, 0x3fb8aa3b, v54, -v75
	v_fma_f32 v120, 0x3fb8aa3b, v55, -v82
	v_fmac_f32_e32 v100, 0x32a5705f, v60
	v_cndmask_b32_e64 v59, 0x7f800000, v59, s50
	v_cndmask_b32_e64 v51, 0x7f800000, v51, s26
	v_fmac_f32_e32 v122, 0x32a5705f, v46
	v_dual_sub_f32 v46, v83, v123 :: v_dual_add_f32 v207, v53, v61
	v_dual_fmac_f32 v126, 0x32a5705f, v45 :: v_dual_sub_f32 v45, v85, v127
	v_fmac_f32_e32 v114, 0x32a5705f, v47
	v_sub_f32_e32 v47, v79, v115
	v_fma_f32 v132, 0x3fb8aa3b, v57, -v88
	v_rndne_f32_e32 v133, v88
	v_add_f32_e32 v45, v45, v126
	v_cmp_ngt_f32_e64 s15, 0xc2ce8ed0, v55
	v_cmp_ngt_f32_e64 s21, 0xc2ce8ed0, v57
	v_cmp_nlt_f32_e64 s39, 0x42b17218, v55
	v_cmp_nlt_f32_e64 s45, 0x42b17218, v57
	v_fma_f32 v110, 0x3fb8aa3b, v48, -v77
	v_rndne_f32_e32 v111, v77
	v_rndne_f32_e32 v113, v78
	v_fmac_f32_e32 v106, 0x32a5705f, v54
	v_fmac_f32_e32 v132, 0x32a5705f, v57
	v_dual_sub_f32 v57, v88, v133 :: v_dual_fmac_f32 v120, 0x32a5705f, v55
	v_sub_f32_e32 v55, v82, v121
	v_cmp_ngt_f32_e64 s9, 0xc2ce8ed0, v48
	v_cmp_ngt_f32_e64 s10, 0xc2ce8ed0, v62
	s_delay_alu instid0(VALU_DEP_4)
	v_add_f32_e32 v57, v57, v132
	v_cmp_nlt_f32_e64 s34, 0x42b17218, v48
	v_cmp_nlt_f32_e64 s35, 0x42b17218, v62
	v_dual_fmac_f32 v110, 0x32a5705f, v48 :: v_dual_add_f32 v47, v47, v114
	v_dual_sub_f32 v62, v78, v113 :: v_dual_add_f32 v55, v55, v120
	v_add_f32_e32 v65, v65, v128
	v_dual_sub_f32 v48, v77, v111 :: v_dual_add_f32 v63, v63, v116
	v_add_f32_e32 v50, v50, v98
	s_delay_alu instid0(VALU_DEP_4) | instskip(SKIP_1) | instid1(VALU_DEP_3)
	v_exp_f32_e32 v55, v55
	v_dual_add_f32 v205, v51, v59 :: v_dual_add_f32 v46, v46, v122
	v_exp_f32_e32 v63, v63
	v_cvt_i32_f32_e32 v80, v117
	v_cvt_i32_f32_e32 v82, v121
	v_exp_f32_e32 v50, v50
	v_exp_f32_e32 v46, v46
	;; [unrolled: 1-line block ×4, first 2 shown]
	v_dual_sub_f32 v64, v64, v5 :: v_dual_sub_f32 v43, v43, v7
	v_cvt_i32_f32_e32 v71, v99
	v_cvt_i32_f32_e32 v83, v123
	;; [unrolled: 1-line block ×4, first 2 shown]
	v_ldexp_f32 v63, v63, v80
	v_ldexp_f32 v55, v55, v82
	v_dual_mul_f32 v84, 0x3fb8aa3b, v64 :: v_dual_mul_f32 v91, 0x3fb8aa3b, v43
	v_ldexp_f32 v50, v50, v71
	v_ldexp_f32 v46, v46, v83
	;; [unrolled: 1-line block ×4, first 2 shown]
	v_cndmask_b32_e64 v63, 0, v63, s12
	v_cndmask_b32_e64 v55, 0, v55, s15
	v_rndne_f32_e32 v101, v72
	v_rndne_f32_e32 v107, v75
	v_fma_f32 v118, 0x3fb8aa3b, v56, -v81
	v_rndne_f32_e32 v119, v81
	v_fma_f32 v124, 0x3fb8aa3b, v64, -v84
	;; [unrolled: 2-line block ×4, first 2 shown]
	v_rndne_f32_e32 v139, v91
	v_cndmask_b32_e64 v50, 0, v50, s3
	v_cndmask_b32_e64 v46, 0, v46, s16
	v_cndmask_b32_e64 v65, 0, v65, s19
	v_cndmask_b32_e64 v57, 0, v57, s21
	v_cndmask_b32_e64 v63, 0x7f800000, v63, s37
	v_cndmask_b32_e64 v55, 0x7f800000, v55, s39
	v_fma_f32 v136, 0x3fb8aa3b, v66, -v90
	v_rndne_f32_e32 v137, v90
	v_cmp_ngt_f32_e64 s13, 0xc2ce8ed0, v56
	v_cmp_ngt_f32_e64 s17, 0xc2ce8ed0, v64
	;; [unrolled: 1-line block ×4, first 2 shown]
	v_cmp_nlt_f32_e64 s38, 0x42b17218, v56
	v_cmp_nlt_f32_e64 s41, 0x42b17218, v64
	;; [unrolled: 1-line block ×4, first 2 shown]
	v_sub_f32_e32 v60, v72, v101
	v_dual_sub_f32 v54, v75, v107 :: v_dual_add_f32 v49, v49, v102
	v_dual_fmac_f32 v124, 0x32a5705f, v64 :: v_dual_add_f32 v209, v55, v63
	v_fmac_f32_e32 v138, 0x32a5705f, v43
	v_dual_sub_f32 v43, v91, v139 :: v_dual_fmac_f32 v118, 0x32a5705f, v56
	v_cndmask_b32_e64 v50, 0x7f800000, v50, s27
	v_sub_f32_e32 v56, v81, v119
	v_cndmask_b32_e64 v46, 0x7f800000, v46, s40
	v_sub_f32_e32 v64, v84, v125
	v_cndmask_b32_e64 v65, 0x7f800000, v65, s43
	v_cndmask_b32_e64 v57, 0x7f800000, v57, s45
	v_fmac_f32_e32 v130, 0x32a5705f, v58
	v_sub_f32_e32 v58, v87, v131
	v_cmp_ngt_f32_e64 s23, 0xc2ce8ed0, v66
	v_cmp_nlt_f32_e64 s47, 0x42b17218, v66
	v_dual_add_f32 v211, v57, v65 :: v_dual_fmac_f32 v136, 0x32a5705f, v66
	v_sub_f32_e32 v66, v90, v137
	v_add_f32_e32 v52, v52, v94
	v_add_f32_e32 v54, v54, v106
	;; [unrolled: 1-line block ×5, first 2 shown]
	v_fmac_f32_e32 v205, v42, v50
	v_add_f32_e32 v56, v56, v118
	v_dual_fmac_f32 v209, v22, v46 :: v_dual_add_f32 v64, v64, v124
	v_add_f32_e32 v60, v60, v100
	v_add_f32_e32 v48, v48, v110
	;; [unrolled: 1-line block ×3, first 2 shown]
	v_exp_f32_e32 v52, v52
	v_exp_f32_e32 v54, v54
	;; [unrolled: 1-line block ×13, first 2 shown]
	v_cvt_i32_f32_e32 v69, v95
	v_cvt_i32_f32_e32 v75, v107
	;; [unrolled: 1-line block ×13, first 2 shown]
	v_ldexp_f32 v52, v52, v69
	v_ldexp_f32 v54, v54, v75
	;; [unrolled: 1-line block ×13, first 2 shown]
	v_cndmask_b32_e32 v52, 0, v52, vcc_lo
	v_cndmask_b32_e64 v54, 0, v54, s7
	v_cndmask_b32_e64 v62, 0, v62, s10
	;; [unrolled: 1-line block ×25, first 2 shown]
	v_cvt_f16_f32_e32 v69, v52
	v_cvt_f16_f32_e32 v51, v51
	;; [unrolled: 1-line block ×4, first 2 shown]
	v_add_f32_e32 v208, v54, v62
	v_cvt_f16_f32_e32 v73, v56
	v_cvt_f16_f32_e32 v55, v55
	v_add_f32_e32 v210, v56, v64
	v_cvt_f16_f32_e32 v75, v58
	v_cvt_f16_f32_e32 v57, v57
	;; [unrolled: 1-line block ×4, first 2 shown]
	v_add_f32_e32 v206, v52, v60
	v_cvt_f16_f32_e32 v52, v60
	v_cvt_f16_f32_e32 v60, v49
	v_cvt_f16_f32_e32 v61, v61
	v_cvt_f16_f32_e32 v70, v48
	v_cvt_f16_f32_e32 v54, v62
	v_cvt_f16_f32_e32 v62, v47
	v_cvt_f16_f32_e32 v63, v63
	v_cvt_f16_f32_e32 v72, v46
	v_cvt_f16_f32_e32 v56, v64
	v_cvt_f16_f32_e32 v64, v45
	v_cvt_f16_f32_e32 v65, v65
	v_cvt_f16_f32_e32 v74, v44
	v_add_f32_e32 v204, v58, v66
	v_cvt_f16_f32_e32 v58, v66
	v_cvt_f16_f32_e32 v66, v43
	v_fmac_f32_e32 v208, v23, v47
	v_dual_fmac_f32 v210, v21, v45 :: v_dual_fmac_f32 v211, v20, v44
	v_pack_b32_f16 v23, v57, v75
	v_pack_b32_f16 v22, v55, v73
	;; [unrolled: 1-line block ×4, first 2 shown]
	v_pk_mul_f16 v212, v68, v40 op_sel_hi:[0,1]
	v_pk_mul_f16 v213, v68, v41 op_sel_hi:[0,1]
	;; [unrolled: 1-line block ×14, first 2 shown]
	v_pack_b32_f16 v31, v65, v58
	v_pack_b32_f16 v30, v63, v56
	;; [unrolled: 1-line block ×4, first 2 shown]
	v_pk_mul_f16 v226, v66, v27 op_sel_hi:[0,1]
	v_pk_mul_f16 v227, v66, v26 op_sel_hi:[0,1]
	v_dual_fmac_f32 v206, v25, v49 :: v_dual_fmac_f32 v207, v24, v48
	v_fmac_f32_e32 v204, v67, v43
	ds_store_b128 v199, v[20:23]
	ds_store_b128 v199, v[28:31] offset:512
	s_waitcnt vmcnt(1)
	ds_store_b128 v195, v[8:11]
	s_waitcnt vmcnt(0)
	ds_store_b128 v196, v[12:15]
	s_waitcnt lgkmcnt(0)
	s_barrier
	buffer_gl0_inv
	ds_load_2addr_b64 v[8:11], v197 offset1:32
	ds_load_b128 v[12:15], v194
	ds_load_b128 v[20:23], v194 offset:16
	ds_load_b128 v[24:27], v194 offset:32
	;; [unrolled: 1-line block ×3, first 2 shown]
	ds_load_2addr_b64 v[32:35], v197 offset0:64 offset1:96
	ds_load_2addr_b64 v[36:39], v197 offset0:128 offset1:160
	ds_load_b128 v[40:43], v194 offset:64
	ds_load_b128 v[44:47], v194 offset:80
	ds_load_2addr_b64 v[48:51], v197 offset0:192 offset1:224
	ds_load_b128 v[52:55], v194 offset:96
	ds_load_b128 v[56:59], v194 offset:112
	ds_load_2addr_b64 v[60:63], v201 offset1:32
	ds_load_b128 v[64:67], v194 offset:128
	ds_load_b128 v[68:71], v194 offset:144
	ds_load_2addr_b64 v[72:75], v201 offset0:64 offset1:96
	ds_load_b128 v[76:79], v194 offset:160
	ds_load_b128 v[80:83], v194 offset:176
	ds_load_2addr_b64 v[84:87], v201 offset0:128 offset1:160
	;; [unrolled: 3-line block ×3, first 2 shown]
	ds_load_b128 v[100:103], v194 offset:224
	ds_load_b128 v[104:107], v194 offset:240
	ds_load_2addr_b64 v[108:111], v202 offset1:32
	ds_load_b128 v[112:115], v194 offset:256
	ds_load_b128 v[116:119], v194 offset:272
	ds_load_2addr_b64 v[120:123], v202 offset0:64 offset1:96
	ds_load_b128 v[124:127], v194 offset:288
	ds_load_b128 v[128:131], v194 offset:304
	ds_load_2addr_b64 v[132:135], v202 offset0:128 offset1:160
	;; [unrolled: 3-line block ×3, first 2 shown]
	ds_load_b128 v[148:151], v194 offset:352
	ds_load_b128 v[152:155], v194 offset:368
	ds_load_2addr_b64 v[156:159], v203 offset1:32
	ds_load_b128 v[160:163], v194 offset:384
	ds_load_b128 v[164:167], v194 offset:400
	ds_load_2addr_b64 v[168:171], v203 offset0:64 offset1:96
	s_waitcnt lgkmcnt(38)
	v_pk_fma_f16 v212, v8, v12, v212 op_sel_hi:[1,0,1]
	v_pk_fma_f16 v214, v8, v12, v214 op_sel:[0,1,0]
	v_pk_fma_f16 v216, v8, v13, v216 op_sel_hi:[1,0,1]
	v_pk_fma_f16 v218, v8, v13, v218 op_sel:[0,1,0]
	v_pk_fma_f16 v220, v8, v14, v220 op_sel_hi:[1,0,1]
	v_pk_fma_f16 v222, v8, v14, v222 op_sel:[0,1,0]
	v_pk_fma_f16 v224, v8, v15, v224 op_sel_hi:[1,0,1]
	v_pk_fma_f16 v8, v8, v15, v226 op_sel:[0,1,0]
	v_pk_fma_f16 v213, v9, v12, v213 op_sel_hi:[1,0,1]
	v_pk_fma_f16 v215, v9, v12, v215 op_sel:[0,1,0]
	v_pk_fma_f16 v217, v9, v13, v217 op_sel_hi:[1,0,1]
	v_pk_fma_f16 v219, v9, v13, v219 op_sel:[0,1,0]
	v_pk_fma_f16 v221, v9, v14, v221 op_sel_hi:[1,0,1]
	v_pk_fma_f16 v223, v9, v14, v223 op_sel:[0,1,0]
	v_pk_fma_f16 v225, v9, v15, v225 op_sel_hi:[1,0,1]
	v_pk_fma_f16 v9, v9, v15, v227 op_sel:[0,1,0]
	s_waitcnt lgkmcnt(37)
	v_pk_fma_f16 v212, v10, v20, v212 op_sel_hi:[1,0,1]
	v_pk_fma_f16 v214, v10, v20, v214 op_sel:[0,1,0]
	v_pk_fma_f16 v216, v10, v21, v216 op_sel_hi:[1,0,1]
	v_pk_fma_f16 v218, v10, v21, v218 op_sel:[0,1,0]
	v_pk_fma_f16 v220, v10, v22, v220 op_sel_hi:[1,0,1]
	v_pk_fma_f16 v222, v10, v22, v222 op_sel:[0,1,0]
	v_pk_fma_f16 v224, v10, v23, v224 op_sel_hi:[1,0,1]
	v_pk_fma_f16 v226, v10, v23, v8 op_sel:[0,1,0]
	v_pk_fma_f16 v213, v11, v20, v213 op_sel_hi:[1,0,1]
	v_pk_fma_f16 v215, v11, v20, v215 op_sel:[0,1,0]
	v_pk_fma_f16 v217, v11, v21, v217 op_sel_hi:[1,0,1]
	v_pk_fma_f16 v219, v11, v21, v219 op_sel:[0,1,0]
	v_pk_fma_f16 v221, v11, v22, v221 op_sel_hi:[1,0,1]
	v_pk_fma_f16 v223, v11, v22, v223 op_sel:[0,1,0]
	v_pk_fma_f16 v225, v11, v23, v225 op_sel_hi:[1,0,1]
	v_pk_fma_f16 v227, v11, v23, v9 op_sel:[0,1,0]
	s_waitcnt lgkmcnt(34)
	v_pk_fma_f16 v212, v32, v24, v212 op_sel_hi:[1,0,1]
	v_pk_fma_f16 v214, v32, v24, v214 op_sel:[0,1,0]
	v_pk_fma_f16 v216, v32, v25, v216 op_sel_hi:[1,0,1]
	v_pk_fma_f16 v218, v32, v25, v218 op_sel:[0,1,0]
	v_pk_fma_f16 v220, v32, v26, v220 op_sel_hi:[1,0,1]
	v_pk_fma_f16 v222, v32, v26, v222 op_sel:[0,1,0]
	v_pk_fma_f16 v224, v32, v27, v224 op_sel_hi:[1,0,1]
	v_pk_fma_f16 v32, v32, v27, v226 op_sel:[0,1,0]
	v_pk_fma_f16 v213, v33, v24, v213 op_sel_hi:[1,0,1]
	v_pk_fma_f16 v215, v33, v24, v215 op_sel:[0,1,0]
	v_pk_fma_f16 v217, v33, v25, v217 op_sel_hi:[1,0,1]
	v_pk_fma_f16 v219, v33, v25, v219 op_sel:[0,1,0]
	v_pk_fma_f16 v221, v33, v26, v221 op_sel_hi:[1,0,1]
	v_pk_fma_f16 v223, v33, v26, v223 op_sel:[0,1,0]
	v_pk_fma_f16 v225, v33, v27, v225 op_sel_hi:[1,0,1]
	v_pk_fma_f16 v33, v33, v27, v227 op_sel:[0,1,0]
	v_pk_fma_f16 v212, v34, v28, v212 op_sel_hi:[1,0,1]
	v_pk_fma_f16 v214, v34, v28, v214 op_sel:[0,1,0]
	v_pk_fma_f16 v216, v34, v29, v216 op_sel_hi:[1,0,1]
	v_pk_fma_f16 v218, v34, v29, v218 op_sel:[0,1,0]
	;; [unrolled: 2-line block ×8, first 2 shown]
	s_waitcnt lgkmcnt(32)
	v_pk_fma_f16 v212, v36, v40, v212 op_sel_hi:[1,0,1]
	v_pk_fma_f16 v214, v36, v40, v214 op_sel:[0,1,0]
	v_pk_fma_f16 v216, v36, v41, v216 op_sel_hi:[1,0,1]
	v_pk_fma_f16 v218, v36, v41, v218 op_sel:[0,1,0]
	;; [unrolled: 2-line block ×8, first 2 shown]
	ds_load_b128 v[12:15], v194 offset:416
	ds_load_b128 v[8:11], v194 offset:432
	ds_load_2addr_b64 v[20:23], v203 offset0:128 offset1:160
	ds_load_b128 v[24:27], v194 offset:448
	ds_load_b128 v[28:31], v194 offset:464
	ds_load_2addr_b64 v[32:35], v203 offset0:192 offset1:224
	ds_load_b128 v[40:43], v194 offset:480
	s_waitcnt lgkmcnt(38)
	v_pk_fma_f16 v212, v38, v44, v212 op_sel_hi:[1,0,1]
	v_pk_fma_f16 v214, v38, v44, v214 op_sel:[0,1,0]
	v_pk_fma_f16 v216, v38, v45, v216 op_sel_hi:[1,0,1]
	v_pk_fma_f16 v218, v38, v45, v218 op_sel:[0,1,0]
	;; [unrolled: 2-line block ×8, first 2 shown]
	ds_load_b128 v[36:39], v194 offset:496
	s_waitcnt lgkmcnt(0)
	s_barrier
	buffer_gl0_inv
	s_clause 0x1
	global_load_b128 v[44:47], v[18:19], off
	global_load_b128 v[16:19], v[16:17], off
	v_pk_fma_f16 v212, v48, v52, v212 op_sel_hi:[1,0,1]
	v_pk_fma_f16 v214, v48, v52, v214 op_sel:[0,1,0]
	v_pk_fma_f16 v216, v48, v53, v216 op_sel_hi:[1,0,1]
	v_pk_fma_f16 v218, v48, v53, v218 op_sel:[0,1,0]
	;; [unrolled: 2-line block ×208, first 2 shown]
	s_waitcnt vmcnt(1)
	ds_store_b128 v195, v[44:47]
	s_waitcnt vmcnt(0)
	ds_store_b128 v196, v[16:19]
	s_waitcnt lgkmcnt(0)
	s_barrier
	buffer_gl0_inv
	ds_load_2addr_b64 v[160:163], v197 offset1:32
	ds_load_b128 v[168:171], v194 offset:512
	ds_load_b128 v[164:167], v194 offset:528
	ds_load_b128 v[64:67], v194 offset:544
	ds_load_b128 v[20:23], v194 offset:560
	ds_load_2addr_b64 v[100:103], v197 offset0:64 offset1:96
	ds_load_2addr_b64 v[8:11], v197 offset0:128 offset1:160
	ds_load_b128 v[48:51], v194 offset:576
	ds_load_b128 v[28:31], v194 offset:592
	ds_load_2addr_b64 v[12:15], v197 offset0:192 offset1:224
	ds_load_b128 v[36:39], v194 offset:608
	ds_load_b128 v[40:43], v194 offset:624
	ds_load_2addr_b64 v[16:19], v201 offset1:32
	ds_load_b128 v[52:55], v194 offset:640
	ds_load_b128 v[56:59], v194 offset:656
	ds_load_2addr_b64 v[24:27], v201 offset0:64 offset1:96
	ds_load_b128 v[68:71], v194 offset:672
	ds_load_b128 v[72:75], v194 offset:688
	ds_load_2addr_b64 v[32:35], v201 offset0:128 offset1:160
	;; [unrolled: 3-line block ×3, first 2 shown]
	ds_load_b128 v[92:95], v194 offset:736
	ds_load_b128 v[96:99], v194 offset:752
	ds_load_2addr_b64 v[60:63], v202 offset1:32
	ds_load_b128 v[108:111], v194 offset:768
	ds_load_b128 v[112:115], v194 offset:784
	ds_load_2addr_b64 v[76:79], v202 offset0:64 offset1:96
	ds_load_b128 v[120:123], v194 offset:800
	ds_load_b128 v[124:127], v194 offset:816
	ds_load_2addr_b64 v[88:91], v202 offset0:128 offset1:160
	;; [unrolled: 3-line block ×3, first 2 shown]
	ds_load_b128 v[140:143], v194 offset:864
	ds_load_b128 v[144:147], v194 offset:880
	ds_load_2addr_b64 v[116:119], v203 offset1:32
	ds_load_b128 v[148:151], v194 offset:896
	ds_load_b128 v[152:155], v194 offset:912
	ds_load_2addr_b64 v[128:131], v203 offset0:64 offset1:96
	ds_load_b128 v[156:159], v194 offset:928
	s_waitcnt lgkmcnt(39)
	v_pk_fma_f16 v212, v160, v168, v212 op_sel_hi:[1,0,1]
	v_pk_fma_f16 v213, v160, v168, v213 op_sel:[0,1,0]
	v_pk_fma_f16 v214, v160, v169, v214 op_sel_hi:[1,0,1]
	v_pk_fma_f16 v215, v160, v169, v215 op_sel:[0,1,0]
	v_pk_fma_f16 v216, v160, v170, v216 op_sel_hi:[1,0,1]
	v_pk_fma_f16 v217, v160, v170, v217 op_sel:[0,1,0]
	v_pk_fma_f16 v218, v160, v171, v218 op_sel_hi:[1,0,1]
	v_pk_fma_f16 v160, v160, v171, v219 op_sel:[0,1,0]
	v_pk_fma_f16 v219, v161, v168, v220 op_sel_hi:[1,0,1]
	v_pk_fma_f16 v220, v161, v168, v221 op_sel:[0,1,0]
	v_pk_fma_f16 v221, v161, v169, v222 op_sel_hi:[1,0,1]
	v_pk_fma_f16 v222, v161, v169, v223 op_sel:[0,1,0]
	v_pk_fma_f16 v223, v161, v170, v224 op_sel_hi:[1,0,1]
	v_pk_fma_f16 v224, v161, v170, v225 op_sel:[0,1,0]
	v_pk_fma_f16 v225, v161, v171, v226 op_sel_hi:[1,0,1]
	v_pk_fma_f16 v161, v161, v171, v227 op_sel:[0,1,0]
	s_waitcnt lgkmcnt(38)
	v_pk_fma_f16 v212, v162, v164, v212 op_sel_hi:[1,0,1]
	v_pk_fma_f16 v213, v162, v164, v213 op_sel:[0,1,0]
	v_pk_fma_f16 v214, v162, v165, v214 op_sel_hi:[1,0,1]
	v_pk_fma_f16 v215, v162, v165, v215 op_sel:[0,1,0]
	v_pk_fma_f16 v216, v162, v166, v216 op_sel_hi:[1,0,1]
	v_pk_fma_f16 v217, v162, v166, v217 op_sel:[0,1,0]
	v_pk_fma_f16 v218, v162, v167, v218 op_sel_hi:[1,0,1]
	v_pk_fma_f16 v226, v162, v167, v160 op_sel:[0,1,0]
	v_pk_fma_f16 v219, v163, v164, v219 op_sel_hi:[1,0,1]
	v_pk_fma_f16 v220, v163, v164, v220 op_sel:[0,1,0]
	v_pk_fma_f16 v221, v163, v165, v221 op_sel_hi:[1,0,1]
	v_pk_fma_f16 v222, v163, v165, v222 op_sel:[0,1,0]
	v_pk_fma_f16 v223, v163, v166, v223 op_sel_hi:[1,0,1]
	v_pk_fma_f16 v224, v163, v166, v224 op_sel:[0,1,0]
	v_pk_fma_f16 v225, v163, v167, v225 op_sel_hi:[1,0,1]
	v_pk_fma_f16 v227, v163, v167, v161 op_sel:[0,1,0]
	;; [unrolled: 17-line block ×3, first 2 shown]
	v_pk_fma_f16 v212, v102, v20, v212 op_sel_hi:[1,0,1]
	v_pk_fma_f16 v213, v102, v20, v213 op_sel:[0,1,0]
	v_pk_fma_f16 v214, v102, v21, v214 op_sel_hi:[1,0,1]
	v_pk_fma_f16 v215, v102, v21, v215 op_sel:[0,1,0]
	v_pk_fma_f16 v216, v102, v22, v216 op_sel_hi:[1,0,1]
	v_pk_fma_f16 v217, v102, v22, v217 op_sel:[0,1,0]
	v_pk_fma_f16 v218, v102, v23, v218 op_sel_hi:[1,0,1]
	v_pk_fma_f16 v226, v102, v23, v100 op_sel:[0,1,0]
	v_pk_fma_f16 v219, v103, v20, v219 op_sel_hi:[1,0,1]
	v_pk_fma_f16 v220, v103, v20, v220 op_sel:[0,1,0]
	v_pk_fma_f16 v221, v103, v21, v221 op_sel_hi:[1,0,1]
	v_pk_fma_f16 v222, v103, v21, v222 op_sel:[0,1,0]
	v_pk_fma_f16 v223, v103, v22, v223 op_sel_hi:[1,0,1]
	v_pk_fma_f16 v224, v103, v22, v224 op_sel:[0,1,0]
	v_pk_fma_f16 v225, v103, v23, v225 op_sel_hi:[1,0,1]
	v_pk_fma_f16 v227, v103, v23, v101 op_sel:[0,1,0]
	s_waitcnt lgkmcnt(33)
	v_pk_fma_f16 v212, v8, v48, v212 op_sel_hi:[1,0,1]
	v_pk_fma_f16 v213, v8, v48, v213 op_sel:[0,1,0]
	v_pk_fma_f16 v214, v8, v49, v214 op_sel_hi:[1,0,1]
	v_pk_fma_f16 v215, v8, v49, v215 op_sel:[0,1,0]
	v_pk_fma_f16 v216, v8, v50, v216 op_sel_hi:[1,0,1]
	v_pk_fma_f16 v217, v8, v50, v217 op_sel:[0,1,0]
	v_pk_fma_f16 v218, v8, v51, v218 op_sel_hi:[1,0,1]
	v_pk_fma_f16 v8, v8, v51, v226 op_sel:[0,1,0]
	v_pk_fma_f16 v219, v9, v48, v219 op_sel_hi:[1,0,1]
	v_pk_fma_f16 v220, v9, v48, v220 op_sel:[0,1,0]
	v_pk_fma_f16 v221, v9, v49, v221 op_sel_hi:[1,0,1]
	v_pk_fma_f16 v222, v9, v49, v222 op_sel:[0,1,0]
	v_pk_fma_f16 v223, v9, v50, v223 op_sel_hi:[1,0,1]
	v_pk_fma_f16 v224, v9, v50, v224 op_sel:[0,1,0]
	v_pk_fma_f16 v225, v9, v51, v225 op_sel_hi:[1,0,1]
	v_pk_fma_f16 v9, v9, v51, v227 op_sel:[0,1,0]
	s_waitcnt lgkmcnt(32)
	;; [unrolled: 17-line block ×19, first 2 shown]
	v_pk_fma_f16 v11, v104, v140, v11 op_sel_hi:[1,0,1]
	v_pk_fma_f16 v13, v104, v140, v13 op_sel:[0,1,0]
	v_pk_fma_f16 v15, v104, v141, v15 op_sel_hi:[1,0,1]
	v_pk_fma_f16 v17, v104, v141, v17 op_sel:[0,1,0]
	;; [unrolled: 2-line block ×8, first 2 shown]
	ds_load_b128 v[168:171], v194 offset:944
	s_waitcnt lgkmcnt(6)
	v_pk_fma_f16 v11, v106, v144, v11 op_sel_hi:[1,0,1]
	v_pk_fma_f16 v13, v106, v144, v13 op_sel:[0,1,0]
	v_pk_fma_f16 v15, v106, v145, v15 op_sel_hi:[1,0,1]
	v_pk_fma_f16 v17, v106, v145, v17 op_sel:[0,1,0]
	v_pk_fma_f16 v19, v106, v146, v19 op_sel_hi:[1,0,1]
	v_pk_fma_f16 v25, v106, v146, v25 op_sel:[0,1,0]
	v_pk_fma_f16 v27, v106, v147, v27 op_sel_hi:[1,0,1]
	v_pk_fma_f16 v8, v106, v147, v8 op_sel:[0,1,0]
	v_pk_fma_f16 v10, v107, v144, v10 op_sel_hi:[1,0,1]
	v_pk_fma_f16 v12, v107, v144, v12 op_sel:[0,1,0]
	v_pk_fma_f16 v14, v107, v145, v14 op_sel_hi:[1,0,1]
	v_pk_fma_f16 v16, v107, v145, v16 op_sel:[0,1,0]
	v_pk_fma_f16 v18, v107, v146, v18 op_sel_hi:[1,0,1]
	v_pk_fma_f16 v24, v107, v146, v24 op_sel:[0,1,0]
	v_pk_fma_f16 v26, v107, v147, v26 op_sel_hi:[1,0,1]
	v_pk_fma_f16 v9, v107, v147, v9 op_sel:[0,1,0]
	ds_load_2addr_b64 v[160:163], v203 offset0:128 offset1:160
	ds_load_b128 v[164:167], v194 offset:960
	s_waitcnt lgkmcnt(6)
	v_pk_fma_f16 v11, v116, v148, v11 op_sel_hi:[1,0,1]
	v_pk_fma_f16 v13, v116, v148, v13 op_sel:[0,1,0]
	v_pk_fma_f16 v15, v116, v149, v15 op_sel_hi:[1,0,1]
	v_pk_fma_f16 v17, v116, v149, v17 op_sel:[0,1,0]
	v_pk_fma_f16 v19, v116, v150, v19 op_sel_hi:[1,0,1]
	v_pk_fma_f16 v25, v116, v150, v25 op_sel:[0,1,0]
	v_pk_fma_f16 v27, v116, v151, v27 op_sel_hi:[1,0,1]
	v_pk_fma_f16 v8, v116, v151, v8 op_sel:[0,1,0]
	v_pk_fma_f16 v10, v117, v148, v10 op_sel_hi:[1,0,1]
	v_pk_fma_f16 v12, v117, v148, v12 op_sel:[0,1,0]
	v_pk_fma_f16 v14, v117, v149, v14 op_sel_hi:[1,0,1]
	v_pk_fma_f16 v16, v117, v149, v16 op_sel:[0,1,0]
	v_pk_fma_f16 v18, v117, v150, v18 op_sel_hi:[1,0,1]
	v_pk_fma_f16 v24, v117, v150, v24 op_sel:[0,1,0]
	v_pk_fma_f16 v26, v117, v151, v26 op_sel_hi:[1,0,1]
	v_pk_fma_f16 v9, v117, v151, v9 op_sel:[0,1,0]
	ds_load_b128 v[64:67], v194 offset:976
	s_waitcnt lgkmcnt(6)
	v_pk_fma_f16 v11, v118, v152, v11 op_sel_hi:[1,0,1]
	v_pk_fma_f16 v13, v118, v152, v13 op_sel:[0,1,0]
	v_pk_fma_f16 v15, v118, v153, v15 op_sel_hi:[1,0,1]
	v_pk_fma_f16 v17, v118, v153, v17 op_sel:[0,1,0]
	;; [unrolled: 2-line block ×8, first 2 shown]
	ds_load_2addr_b64 v[20:23], v203 offset0:192 offset1:224
	ds_load_b128 v[100:103], v194 offset:992
	s_waitcnt lgkmcnt(6)
	v_pk_fma_f16 v11, v128, v156, v11 op_sel_hi:[1,0,1]
	v_pk_fma_f16 v13, v128, v156, v13 op_sel:[0,1,0]
	v_pk_fma_f16 v15, v128, v157, v15 op_sel_hi:[1,0,1]
	v_pk_fma_f16 v17, v128, v157, v17 op_sel:[0,1,0]
	;; [unrolled: 2-line block ×8, first 2 shown]
	ds_load_b128 v[48:51], v194 offset:1008
	s_waitcnt lgkmcnt(0)
	s_barrier
	buffer_gl0_inv
	s_load_b32 s2, s[54:55], 0x4
	v_pk_fma_f16 v11, v130, v168, v11 op_sel_hi:[1,0,1]
	v_pk_fma_f16 v13, v130, v168, v13 op_sel:[0,1,0]
	v_pk_fma_f16 v15, v130, v169, v15 op_sel_hi:[1,0,1]
	v_pk_fma_f16 v17, v130, v169, v17 op_sel:[0,1,0]
	;; [unrolled: 2-line block ×32, first 2 shown]
	s_waitcnt lgkmcnt(0)
	s_lshl_b32 s2, s2, 6
	v_pk_fma_f16 v40, v22, v48, v11 op_sel_hi:[1,0,1]
	v_pk_fma_f16 v38, v22, v48, v13 op_sel:[0,1,0]
	v_pk_fma_f16 v36, v22, v49, v15 op_sel_hi:[1,0,1]
	v_pk_fma_f16 v34, v22, v49, v17 op_sel:[0,1,0]
	;; [unrolled: 2-line block ×8, first 2 shown]
	s_add_i32 s51, s2, s51
	s_delay_alu instid0(SALU_CYCLE_1)
	s_cmp_ge_i32 s51, s66
	s_cbranch_scc0 .LBB0_9
; %bb.10:
	v_dual_mov_b32 v11, 32 :: v_dual_mov_b32 v12, v187
.LBB0_11:
	s_delay_alu instid0(VALU_DEP_1)
	v_cmp_lt_i32_e32 vcc_lo, v190, v11
	s_cmp_lg_u64 s[52:53], 0
	s_cselect_b32 s2, -1, 0
	s_cmp_eq_u32 s14, 0
	v_cndmask_b32_e32 v8, v12, v190, vcc_lo
	v_cmp_lt_i32_e32 vcc_lo, v189, v11
	s_cselect_b32 s3, -1, 0
	s_delay_alu instid0(SALU_CYCLE_1) | instskip(NEXT) | instid1(VALU_DEP_2)
	s_and_b32 s2, s3, s2
	v_lshlrev_b32_e32 v8, 2, v8
	ds_bpermute_b32 v13, v8, v207
	s_waitcnt lgkmcnt(0)
	v_add_f32_e32 v13, v207, v13
	ds_bpermute_b32 v9, v8, v205
	ds_bpermute_b32 v15, v8, v209
	ds_bpermute_b32 v17, v8, v211
	v_cndmask_b32_e32 v18, v12, v189, vcc_lo
	ds_bpermute_b32 v10, v8, v206
	ds_bpermute_b32 v14, v8, v208
	;; [unrolled: 1-line block ×3, first 2 shown]
	v_cmp_lt_i32_e32 vcc_lo, v188, v11
	ds_bpermute_b32 v8, v8, v204
	s_waitcnt lgkmcnt(6)
	v_add_f32_e32 v9, v205, v9
	s_waitcnt lgkmcnt(5)
	v_dual_add_f32 v15, v209, v15 :: v_dual_lshlrev_b32 v18, 2, v18
	s_waitcnt lgkmcnt(4)
	v_add_f32_e32 v17, v211, v17
	ds_bpermute_b32 v19, v18, v9
	s_waitcnt lgkmcnt(4)
	v_add_f32_e32 v10, v206, v10
	ds_bpermute_b32 v21, v18, v13
	ds_bpermute_b32 v23, v18, v15
	s_waitcnt lgkmcnt(5)
	v_add_f32_e32 v14, v208, v14
	s_waitcnt lgkmcnt(4)
	v_add_f32_e32 v16, v210, v16
	ds_bpermute_b32 v25, v18, v17
	s_waitcnt lgkmcnt(3)
	v_dual_add_f32 v8, v204, v8 :: v_dual_add_f32 v9, v9, v19
	ds_bpermute_b32 v20, v18, v10
	s_waitcnt lgkmcnt(3)
	v_dual_cndmask_b32 v42, v12, v188 :: v_dual_add_f32 v13, v13, v21
	s_waitcnt lgkmcnt(2)
	v_add_f32_e32 v15, v15, v23
	ds_bpermute_b32 v24, v18, v16
	ds_bpermute_b32 v22, v18, v14
	s_waitcnt lgkmcnt(3)
	v_dual_add_f32 v17, v17, v25 :: v_dual_lshlrev_b32 v42, 2, v42
	ds_bpermute_b32 v18, v18, v8
	v_cmp_lt_i32_e32 vcc_lo, v186, v11
	s_waitcnt lgkmcnt(3)
	v_add_f32_e32 v10, v10, v20
	ds_bpermute_b32 v20, v42, v13
	s_waitcnt lgkmcnt(3)
	v_add_f32_e32 v16, v16, v24
	s_waitcnt lgkmcnt(0)
	v_add_f32_e32 v13, v13, v20
	ds_bpermute_b32 v24, v42, v17
	v_add_f32_e32 v14, v14, v22
	ds_bpermute_b32 v22, v42, v15
	ds_bpermute_b32 v23, v42, v16
	s_waitcnt lgkmcnt(2)
	v_add_f32_e32 v17, v17, v24
	ds_bpermute_b32 v21, v42, v14
	s_waitcnt lgkmcnt(2)
	v_add_f32_e32 v15, v15, v22
	;; [unrolled: 3-line block ×3, first 2 shown]
	v_add_f32_e32 v8, v8, v18
	ds_bpermute_b32 v18, v42, v9
	ds_bpermute_b32 v25, v42, v8
	v_cndmask_b32_e32 v42, v12, v186, vcc_lo
	v_cmp_lt_i32_e32 vcc_lo, v185, v11
	s_delay_alu instid0(VALU_DEP_2)
	v_dual_cndmask_b32 v11, v12, v185 :: v_dual_lshlrev_b32 v42, 2, v42
	s_and_b32 vcc_lo, exec_lo, s2
	ds_bpermute_b32 v20, v42, v13
	v_lshlrev_b32_e32 v11, 2, v11
	ds_bpermute_b32 v21, v42, v14
	ds_bpermute_b32 v22, v42, v15
	;; [unrolled: 1-line block ×3, first 2 shown]
	s_waitcnt lgkmcnt(5)
	v_add_f32_e32 v9, v9, v18
	ds_bpermute_b32 v18, v42, v9
	v_add_f32_e32 v10, v10, v19
	s_waitcnt lgkmcnt(3)
	v_dual_add_f32 v12, v13, v20 :: v_dual_add_f32 v13, v14, v21
	s_waitcnt lgkmcnt(2)
	v_add_f32_e32 v14, v15, v22
	ds_bpermute_b32 v20, v11, v13
	ds_bpermute_b32 v21, v11, v14
	s_waitcnt lgkmcnt(2)
	v_add_f32_e32 v9, v9, v18
	ds_bpermute_b32 v19, v42, v10
	s_waitcnt lgkmcnt(0)
	v_add_f32_e32 v10, v10, v19
	ds_bpermute_b32 v19, v11, v12
	ds_bpermute_b32 v18, v11, v10
	v_add_f32_e32 v16, v16, v23
	ds_bpermute_b32 v23, v42, v16
	s_waitcnt lgkmcnt(0)
	v_dual_add_f32 v15, v16, v23 :: v_dual_add_f32 v16, v17, v24
	ds_bpermute_b32 v22, v11, v15
	v_add_f32_e32 v8, v8, v25
	ds_bpermute_b32 v23, v11, v16
	ds_bpermute_b32 v25, v42, v8
	s_waitcnt lgkmcnt(0)
	v_add_f32_e32 v17, v8, v25
	ds_bpermute_b32 v8, v11, v9
	ds_bpermute_b32 v24, v11, v17
	v_add_f32_e32 v11, v13, v20
	s_waitcnt lgkmcnt(1)
	v_dual_add_f32 v13, v15, v22 :: v_dual_add_f32 v8, v9, v8
	v_dual_add_f32 v9, v10, v18 :: v_dual_add_f32 v10, v12, v19
	s_waitcnt lgkmcnt(0)
	v_dual_add_f32 v15, v17, v24 :: v_dual_add_f32 v12, v14, v21
	v_add_f32_e32 v14, v16, v23
	s_cbranch_vccz .LBB0_14
; %bb.12:
	s_ashr_i32 s65, s64, 31
	v_dual_mov_b32 v16, 0 :: v_dual_max_f32 v17, v1, v1
	s_lshl_b64 s[2:3], s[64:65], 2
	v_dual_max_f32 v18, v2, v2 :: v_dual_max_f32 v21, v5, v5
	s_add_u32 s2, s52, s2
	s_addc_u32 s3, s53, s3
	s_clause 0x1
	global_load_b128 v[42:45], v16, s[2:3]
	global_load_b128 v[46:49], v16, s[2:3] offset:16
	v_dual_max_f32 v16, v0, v0 :: v_dual_max_f32 v19, v3, v3
	v_dual_max_f32 v20, v4, v4 :: v_dual_max_f32 v23, v7, v7
	s_waitcnt vmcnt(1)
	v_dual_max_f32 v22, v6, v6 :: v_dual_max_f32 v25, v43, v43
	v_dual_max_f32 v24, v42, v42 :: v_dual_max_f32 v51, v45, v45
	s_waitcnt vmcnt(0)
	v_dual_max_f32 v50, v44, v44 :: v_dual_max_f32 v53, v47, v47
	v_dual_max_f32 v52, v46, v46 :: v_dual_max_f32 v55, v49, v49
	;; [unrolled: 1-line block ×4, first 2 shown]
	s_delay_alu instid0(VALU_DEP_4) | instskip(NEXT) | instid1(VALU_DEP_4)
	v_dual_max_f32 v18, v18, v50 :: v_dual_max_f32 v21, v21, v53
	v_dual_max_f32 v20, v20, v52 :: v_dual_max_f32 v23, v23, v55
	s_delay_alu instid0(VALU_DEP_4) | instskip(NEXT) | instid1(VALU_DEP_4)
	v_dual_max_f32 v22, v22, v54 :: v_dual_sub_f32 v43, v43, v17
	v_dual_sub_f32 v24, v0, v16 :: v_dual_sub_f32 v51, v3, v19
	v_dual_sub_f32 v25, v42, v16 :: v_dual_sub_f32 v42, v1, v17
	;; [unrolled: 1-line block ×7, first 2 shown]
	v_dual_mov_b32 v0, v16 :: v_dual_mov_b32 v3, v19
	v_dual_sub_f32 v48, v48, v22 :: v_dual_mov_b32 v1, v17
	v_dual_mov_b32 v2, v18 :: v_dual_mov_b32 v5, v21
	v_dual_mov_b32 v4, v20 :: v_dual_mov_b32 v7, v23
	v_dual_mov_b32 v6, v22 :: v_dual_mul_f32 v17, 0x3fb8aa3b, v25
	v_dual_mul_f32 v16, 0x3fb8aa3b, v24 :: v_dual_mul_f32 v19, 0x3fb8aa3b, v43
	v_dual_mul_f32 v18, 0x3fb8aa3b, v42 :: v_dual_mul_f32 v21, 0x3fb8aa3b, v44
	s_delay_alu instid0(VALU_DEP_3) | instskip(NEXT) | instid1(VALU_DEP_3)
	v_fma_f32 v66, 0x3fb8aa3b, v25, -v17
	v_fma_f32 v64, 0x3fb8aa3b, v24, -v16
	v_rndne_f32_e32 v65, v16
	v_rndne_f32_e32 v67, v17
	;; [unrolled: 1-line block ×3, first 2 shown]
	v_dual_mul_f32 v20, 0x3fb8aa3b, v50 :: v_dual_mul_f32 v23, 0x3fb8aa3b, v45
	s_delay_alu instid0(VALU_DEP_3)
	v_dual_fmac_f32 v64, 0x32a5705f, v24 :: v_dual_sub_f32 v17, v17, v67
	v_sub_f32_e32 v16, v16, v65
	v_dual_mul_f32 v22, 0x3fb8aa3b, v51 :: v_dual_mul_f32 v57, 0x3fb8aa3b, v46
	v_dual_mul_f32 v60, 0x3fb8aa3b, v54 :: v_dual_mul_f32 v63, 0x3fb8aa3b, v49
	v_fma_f32 v68, 0x3fb8aa3b, v42, -v18
	v_rndne_f32_e32 v69, v18
	v_fma_f32 v70, 0x3fb8aa3b, v43, -v19
	v_rndne_f32_e32 v75, v21
	v_dual_fmac_f32 v66, 0x32a5705f, v25 :: v_dual_sub_f32 v19, v19, v71
	v_add_f32_e32 v16, v16, v64
	v_fma_f32 v74, 0x3fb8aa3b, v44, -v21
	v_rndne_f32_e32 v79, v23
	v_rndne_f32_e32 v83, v57
	;; [unrolled: 1-line block ×3, first 2 shown]
	v_fmac_f32_e32 v68, 0x32a5705f, v42
	v_dual_sub_f32 v18, v18, v69 :: v_dual_sub_f32 v21, v21, v75
	v_dual_mul_f32 v62, 0x3fb8aa3b, v55 :: v_dual_add_f32 v17, v17, v66
	v_exp_f32_e32 v16, v16
	v_dual_mul_f32 v56, 0x3fb8aa3b, v52 :: v_dual_mul_f32 v59, 0x3fb8aa3b, v47
	v_dual_mul_f32 v58, 0x3fb8aa3b, v53 :: v_dual_mul_f32 v61, 0x3fb8aa3b, v48
	v_fma_f32 v72, 0x3fb8aa3b, v50, -v20
	v_rndne_f32_e32 v73, v20
	v_fma_f32 v76, 0x3fb8aa3b, v51, -v22
	v_fma_f32 v78, 0x3fb8aa3b, v45, -v23
	;; [unrolled: 1-line block ×4, first 2 shown]
	v_cvt_i32_f32_e32 v65, v65
	v_dual_fmac_f32 v74, 0x32a5705f, v44 :: v_dual_sub_f32 v63, v63, v95
	v_fmac_f32_e32 v70, 0x32a5705f, v43
	v_sub_f32_e32 v23, v23, v79
	v_sub_f32_e32 v57, v57, v83
	s_delay_alu instid0(VALU_DEP_4)
	v_dual_add_f32 v21, v21, v74 :: v_dual_add_f32 v18, v18, v68
	v_exp_f32_e32 v17, v17
	v_rndne_f32_e32 v87, v59
	v_rndne_f32_e32 v91, v61
	v_cvt_i32_f32_e32 v67, v67
	v_fmac_f32_e32 v72, 0x32a5705f, v50
	v_sub_f32_e32 v20, v20, v73
	v_dual_fmac_f32 v76, 0x32a5705f, v51 :: v_dual_add_f32 v19, v19, v70
	v_exp_f32_e32 v18, v18
	v_ldexp_f32 v16, v16, v65
	v_cmp_ngt_f32_e32 vcc_lo, 0xc2ce8ed0, v24
	v_fma_f32 v86, 0x3fb8aa3b, v47, -v59
	v_fma_f32 v90, 0x3fb8aa3b, v48, -v61
	v_cvt_i32_f32_e32 v69, v69
	v_sub_f32_e32 v59, v59, v87
	v_dual_sub_f32 v61, v61, v91 :: v_dual_add_f32 v20, v20, v72
	v_exp_f32_e32 v19, v19
	v_ldexp_f32 v17, v17, v67
	v_cndmask_b32_e32 v16, 0, v16, vcc_lo
	v_cmp_ngt_f32_e32 vcc_lo, 0xc2ce8ed0, v25
	v_cvt_i32_f32_e32 v71, v71
	v_fmac_f32_e32 v82, 0x32a5705f, v46
	v_exp_f32_e32 v20, v20
	v_ldexp_f32 v18, v18, v69
	v_cndmask_b32_e32 v17, 0, v17, vcc_lo
	v_cmp_ngt_f32_e32 vcc_lo, 0xc2ce8ed0, v42
	v_rndne_f32_e32 v77, v22
	v_rndne_f32_e32 v85, v58
	v_cvt_i32_f32_e32 v73, v73
	v_dual_fmac_f32 v78, 0x32a5705f, v45 :: v_dual_add_f32 v57, v57, v82
	v_exp_f32_e32 v21, v21
	v_ldexp_f32 v19, v19, v71
	v_cndmask_b32_e32 v18, 0, v18, vcc_lo
	v_cmp_ngt_f32_e32 vcc_lo, 0xc2ce8ed0, v43
	v_fma_f32 v84, 0x3fb8aa3b, v53, -v58
	v_cvt_i32_f32_e32 v75, v75
	v_dual_sub_f32 v22, v22, v77 :: v_dual_add_f32 v23, v23, v78
	v_dual_sub_f32 v58, v58, v85 :: v_dual_cndmask_b32 v19, 0, v19
	v_exp_f32_e32 v57, v57
	v_ldexp_f32 v20, v20, v73
	v_cmp_ngt_f32_e32 vcc_lo, 0xc2ce8ed0, v50
	v_fma_f32 v80, 0x3fb8aa3b, v52, -v56
	v_rndne_f32_e32 v81, v56
	v_cvt_i32_f32_e32 v83, v83
	v_add_f32_e32 v22, v22, v76
	v_ldexp_f32 v21, v21, v75
	v_cndmask_b32_e32 v20, 0, v20, vcc_lo
	v_cmp_ngt_f32_e32 vcc_lo, 0xc2ce8ed0, v44
	v_fmac_f32_e32 v86, 0x32a5705f, v47
	v_exp_f32_e32 v22, v22
	v_ldexp_f32 v57, v57, v83
	v_fmac_f32_e32 v90, 0x32a5705f, v48
	v_sub_f32_e32 v56, v56, v81
	v_dual_cndmask_b32 v21, 0, v21 :: v_dual_fmac_f32 v80, 0x32a5705f, v52
	v_add_f32_e32 v59, v59, v86
	v_cvt_i32_f32_e32 v77, v77
	v_add_f32_e32 v61, v61, v90
	v_exp_f32_e32 v23, v23
	v_add_f32_e32 v56, v56, v80
	v_cvt_i32_f32_e32 v79, v79
	v_fmac_f32_e32 v94, 0x32a5705f, v49
	v_fmac_f32_e32 v84, 0x32a5705f, v53
	v_ldexp_f32 v22, v22, v77
	v_exp_f32_e32 v56, v56
	v_cmp_ngt_f32_e32 vcc_lo, 0xc2ce8ed0, v51
	v_add_f32_e32 v63, v63, v94
	v_fma_f32 v88, 0x3fb8aa3b, v54, -v60
	v_cvt_i32_f32_e32 v81, v81
	v_add_f32_e32 v58, v58, v84
	v_ldexp_f32 v23, v23, v79
	v_cndmask_b32_e32 v22, 0, v22, vcc_lo
	v_cmp_ngt_f32_e32 vcc_lo, 0xc2ce8ed0, v45
	v_fmac_f32_e32 v88, 0x32a5705f, v54
	v_exp_f32_e32 v58, v58
	v_ldexp_f32 v56, v56, v81
	v_cvt_i32_f32_e32 v85, v85
	v_cndmask_b32_e32 v23, 0, v23, vcc_lo
	v_cmp_ngt_f32_e32 vcc_lo, 0xc2ce8ed0, v52
	v_exp_f32_e32 v59, v59
	v_rndne_f32_e32 v89, v60
	v_cvt_i32_f32_e32 v87, v87
	v_exp_f32_e32 v61, v61
	v_cndmask_b32_e32 v56, 0, v56, vcc_lo
	v_cmp_ngt_f32_e32 vcc_lo, 0xc2ce8ed0, v46
	v_ldexp_f32 v58, v58, v85
	v_exp_f32_e32 v63, v63
	v_fma_f32 v92, 0x3fb8aa3b, v55, -v62
	v_rndne_f32_e32 v93, v62
	v_cndmask_b32_e32 v57, 0, v57, vcc_lo
	v_cmp_ngt_f32_e32 vcc_lo, 0xc2ce8ed0, v53
	v_ldexp_f32 v59, v59, v87
	v_cvt_i32_f32_e32 v91, v91
	v_cvt_i32_f32_e32 v95, v95
	v_cndmask_b32_e32 v58, 0, v58, vcc_lo
	v_cmp_ngt_f32_e32 vcc_lo, 0xc2ce8ed0, v47
	v_sub_f32_e32 v60, v60, v89
	v_cvt_i32_f32_e32 v89, v89
	v_ldexp_f32 v61, v61, v91
	v_ldexp_f32 v63, v63, v95
	s_delay_alu instid0(VALU_DEP_4) | instskip(SKIP_3) | instid1(VALU_DEP_4)
	v_dual_cndmask_b32 v59, 0, v59 :: v_dual_add_f32 v60, v60, v88
	v_cmp_ngt_f32_e32 vcc_lo, 0xc2ce8ed0, v54
	v_sub_f32_e32 v62, v62, v93
	v_cvt_i32_f32_e32 v93, v93
	v_exp_f32_e32 v60, v60
	s_waitcnt_depctr 0xfff
	v_ldexp_f32 v60, v60, v89
	s_delay_alu instid0(VALU_DEP_1) | instskip(SKIP_2) | instid1(VALU_DEP_1)
	v_cndmask_b32_e32 v60, 0, v60, vcc_lo
	v_cmp_ngt_f32_e32 vcc_lo, 0xc2ce8ed0, v48
	v_dual_fmac_f32 v92, 0x32a5705f, v55 :: v_dual_cndmask_b32 v61, 0, v61
	v_add_f32_e32 v62, v62, v92
	v_cmp_ngt_f32_e32 vcc_lo, 0xc2ce8ed0, v55
	s_delay_alu instid0(VALU_DEP_2) | instskip(SKIP_2) | instid1(VALU_DEP_1)
	v_exp_f32_e32 v62, v62
	s_waitcnt_depctr 0xfff
	v_ldexp_f32 v62, v62, v93
	v_cndmask_b32_e32 v62, 0, v62, vcc_lo
	v_cmp_ngt_f32_e32 vcc_lo, 0xc2ce8ed0, v49
	v_cndmask_b32_e32 v63, 0, v63, vcc_lo
	v_cmp_nlt_f32_e32 vcc_lo, 0x42b17218, v24
	v_cndmask_b32_e32 v24, 0x7f800000, v16, vcc_lo
	v_cmp_nlt_f32_e32 vcc_lo, 0x42b17218, v25
	;; [unrolled: 2-line block ×3, first 2 shown]
	s_delay_alu instid0(VALU_DEP_2) | instskip(SKIP_4) | instid1(VALU_DEP_3)
	v_dual_fmac_f32 v16, v8, v24 :: v_dual_cndmask_b32 v25, 0x7f800000, v18
	v_cmp_nlt_f32_e32 vcc_lo, 0x42b17218, v43
	v_cvt_f16_f32_e32 v8, v24
	v_cndmask_b32_e32 v17, 0x7f800000, v19, vcc_lo
	v_cmp_nlt_f32_e32 vcc_lo, 0x42b17218, v50
	v_pk_mul_f16 v40, v8, v40 op_sel_hi:[0,1]
	v_pk_mul_f16 v41, v8, v41 op_sel_hi:[0,1]
	s_delay_alu instid0(VALU_DEP_4)
	v_dual_mov_b32 v8, v16 :: v_dual_fmac_f32 v17, v9, v25
	v_cndmask_b32_e32 v42, 0x7f800000, v20, vcc_lo
	v_cmp_nlt_f32_e32 vcc_lo, 0x42b17218, v44
	v_cvt_f16_f32_e32 v9, v25
	v_cndmask_b32_e32 v18, 0x7f800000, v21, vcc_lo
	v_cmp_nlt_f32_e32 vcc_lo, 0x42b17218, v51
	s_delay_alu instid0(VALU_DEP_3) | instskip(SKIP_1) | instid1(VALU_DEP_4)
	v_pk_mul_f16 v38, v9, v38 op_sel_hi:[0,1]
	v_pk_mul_f16 v39, v9, v39 op_sel_hi:[0,1]
	v_dual_mov_b32 v9, v17 :: v_dual_fmac_f32 v18, v10, v42
	v_cndmask_b32_e32 v43, 0x7f800000, v22, vcc_lo
	v_cmp_nlt_f32_e32 vcc_lo, 0x42b17218, v45
	v_cvt_f16_f32_e32 v10, v42
	v_cndmask_b32_e32 v19, 0x7f800000, v23, vcc_lo
	v_cmp_nlt_f32_e32 vcc_lo, 0x42b17218, v52
	s_delay_alu instid0(VALU_DEP_3) | instskip(SKIP_1) | instid1(VALU_DEP_4)
	v_pk_mul_f16 v36, v10, v36 op_sel_hi:[0,1]
	v_pk_mul_f16 v37, v10, v37 op_sel_hi:[0,1]
	v_dual_mov_b32 v10, v18 :: v_dual_fmac_f32 v19, v11, v43
	v_cvt_f16_f32_e32 v11, v43
	s_delay_alu instid0(VALU_DEP_1) | instskip(SKIP_1) | instid1(VALU_DEP_4)
	v_pk_mul_f16 v34, v11, v34 op_sel_hi:[0,1]
	v_pk_mul_f16 v35, v11, v35 op_sel_hi:[0,1]
	v_dual_mov_b32 v11, v19 :: v_dual_cndmask_b32 v44, 0x7f800000, v56
	v_cmp_nlt_f32_e32 vcc_lo, 0x42b17218, v46
	v_cndmask_b32_e32 v20, 0x7f800000, v57, vcc_lo
	v_cmp_nlt_f32_e32 vcc_lo, 0x42b17218, v53
	s_delay_alu instid0(VALU_DEP_2) | instskip(SKIP_4) | instid1(VALU_DEP_3)
	v_dual_fmac_f32 v20, v12, v44 :: v_dual_cndmask_b32 v45, 0x7f800000, v58
	v_cmp_nlt_f32_e32 vcc_lo, 0x42b17218, v47
	v_cvt_f16_f32_e32 v12, v44
	v_cndmask_b32_e32 v21, 0x7f800000, v59, vcc_lo
	v_cmp_nlt_f32_e32 vcc_lo, 0x42b17218, v54
	v_pk_mul_f16 v32, v12, v32 op_sel_hi:[0,1]
	v_pk_mul_f16 v33, v12, v33 op_sel_hi:[0,1]
	s_delay_alu instid0(VALU_DEP_4)
	v_dual_mov_b32 v12, v20 :: v_dual_fmac_f32 v21, v13, v45
	v_cndmask_b32_e32 v46, 0x7f800000, v60, vcc_lo
	v_cmp_nlt_f32_e32 vcc_lo, 0x42b17218, v48
	v_cvt_f16_f32_e32 v13, v45
	v_cndmask_b32_e32 v22, 0x7f800000, v61, vcc_lo
	v_cmp_nlt_f32_e32 vcc_lo, 0x42b17218, v55
	s_delay_alu instid0(VALU_DEP_3) | instskip(SKIP_1) | instid1(VALU_DEP_4)
	v_pk_mul_f16 v30, v13, v30 op_sel_hi:[0,1]
	v_pk_mul_f16 v31, v13, v31 op_sel_hi:[0,1]
	v_dual_mov_b32 v13, v21 :: v_dual_fmac_f32 v22, v14, v46
	v_cndmask_b32_e32 v47, 0x7f800000, v62, vcc_lo
	v_cmp_nlt_f32_e32 vcc_lo, 0x42b17218, v49
	v_cvt_f16_f32_e32 v14, v46
	v_cndmask_b32_e32 v23, 0x7f800000, v63, vcc_lo
	s_delay_alu instid0(VALU_DEP_2) | instskip(SKIP_1) | instid1(VALU_DEP_3)
	v_pk_mul_f16 v28, v14, v28 op_sel_hi:[0,1]
	v_pk_mul_f16 v29, v14, v29 op_sel_hi:[0,1]
	v_dual_mov_b32 v14, v22 :: v_dual_fmac_f32 v23, v15, v47
	v_cvt_f16_f32_e32 v15, v47
	s_delay_alu instid0(VALU_DEP_1) | instskip(SKIP_1) | instid1(VALU_DEP_4)
	v_pk_mul_f16 v27, v15, v27 op_sel_hi:[0,1]
	v_pk_mul_f16 v26, v15, v26 op_sel_hi:[0,1]
	v_mov_b32_e32 v15, v23
	s_mov_b32 s2, exec_lo
	v_cmpx_gt_i32_e64 s62, v172
	s_cbranch_execnz .LBB0_15
.LBB0_13:
	s_nop 0
	s_sendmsg sendmsg(MSG_DEALLOC_VGPRS)
	s_endpgm
.LBB0_14:
	s_delay_alu instid0(VALU_DEP_1) | instskip(NEXT) | instid1(VALU_DEP_3)
	v_dual_mov_b32 v23, v15 :: v_dual_mov_b32 v22, v14
	v_dual_mov_b32 v21, v13 :: v_dual_mov_b32 v20, v12
	;; [unrolled: 1-line block ×4, first 2 shown]
	s_mov_b32 s2, exec_lo
	v_cmpx_gt_i32_e64 s62, v172
	s_cbranch_execz .LBB0_13
.LBB0_15:
	s_load_b32 s1, s[0:1], 0xd4
	v_mov_b32_e32 v42, 1.0
	s_waitcnt lgkmcnt(0)
	s_cmp_lg_u32 s1, 1
	s_cselect_b32 s3, -1, 0
	s_cmp_eq_u32 s1, 1
	s_cselect_b32 s2, -1, 0
	s_and_b32 vcc_lo, exec_lo, s3
	s_cbranch_vccnz .LBB0_17
; %bb.16:
	v_div_scale_f32 v24, null, v8, v8, 1.0
	s_delay_alu instid0(VALU_DEP_1) | instskip(SKIP_2) | instid1(VALU_DEP_1)
	v_rcp_f32_e32 v25, v24
	s_waitcnt_depctr 0xfff
	v_fma_f32 v42, -v24, v25, 1.0
	v_fmac_f32_e32 v25, v42, v25
	v_div_scale_f32 v42, vcc_lo, 1.0, v8, 1.0
	s_delay_alu instid0(VALU_DEP_1) | instskip(NEXT) | instid1(VALU_DEP_1)
	v_mul_f32_e32 v43, v42, v25
	v_fma_f32 v44, -v24, v43, v42
	s_delay_alu instid0(VALU_DEP_1) | instskip(NEXT) | instid1(VALU_DEP_1)
	v_fmac_f32_e32 v43, v44, v25
	v_fma_f32 v24, -v24, v43, v42
	s_delay_alu instid0(VALU_DEP_1) | instskip(NEXT) | instid1(VALU_DEP_1)
	v_div_fmas_f32 v24, v24, v25, v43
	v_div_fixup_f32 v42, v24, v8, 1.0
.LBB0_17:
	v_mad_u64_u32 v[24:25], null, s70, s62, v[172:173]
	v_cvt_f32_f16_e32 v45, v40
	v_lshrrev_b32_e32 v8, 16, v40
	v_cvt_f32_f16_e32 v46, v41
	v_cmp_eq_u32_e32 vcc_lo, 0, v173
	s_delay_alu instid0(VALU_DEP_3) | instskip(SKIP_2) | instid1(VALU_DEP_2)
	v_cvt_f32_f16_e32 v8, v8
	v_mad_u64_u32 v[43:44], null, v24, s63, s[64:65]
	v_mov_b32_e32 v44, 0
	v_mad_u64_u32 v[24:25], null, s1, v43, s[14:15]
	v_lshrrev_b32_e32 v25, 16, v41
	s_delay_alu instid0(VALU_DEP_1) | instskip(NEXT) | instid1(VALU_DEP_3)
	v_cvt_f32_f16_e32 v25, v25
	v_lshl_add_u32 v43, v24, 7, v183
	s_delay_alu instid0(VALU_DEP_1)
	v_lshlrev_b64 v[40:41], 2, v[43:44]
	v_mul_f32_e32 v43, v42, v45
	v_mul_f32_e32 v45, v42, v46
	;; [unrolled: 1-line block ×4, first 2 shown]
	v_add_co_u32 v40, s0, s56, v40
	s_delay_alu instid0(VALU_DEP_1)
	v_add_co_ci_u32_e64 v41, s0, s57, v41, s0
	s_and_b32 s0, vcc_lo, s3
	global_store_b128 v[40:41], v[43:46], off
	s_and_saveexec_b32 s3, s0
	s_cbranch_execz .LBB0_19
; %bb.18:
	v_ashrrev_i32_e32 v25, 31, v24
	v_mov_b32_e32 v42, v0
	v_mov_b32_e32 v43, v16
	s_delay_alu instid0(VALU_DEP_3) | instskip(NEXT) | instid1(VALU_DEP_1)
	v_lshlrev_b64 v[40:41], 3, v[24:25]
	v_add_co_u32 v40, vcc_lo, s58, v40
	s_delay_alu instid0(VALU_DEP_2)
	v_add_co_ci_u32_e32 v41, vcc_lo, s59, v41, vcc_lo
	global_store_b64 v[40:41], v[42:43], off
.LBB0_19:
	s_or_b32 exec_lo, exec_lo, s3
	v_cndmask_b32_e64 v25, 0, 1, s2
	v_mov_b32_e32 v0, 1.0
	s_and_not1_b32 vcc_lo, exec_lo, s2
	s_cbranch_vccnz .LBB0_21
; %bb.20:
	v_div_scale_f32 v0, null, v9, v9, 1.0
	s_delay_alu instid0(VALU_DEP_1) | instskip(SKIP_2) | instid1(VALU_DEP_1)
	v_rcp_f32_e32 v8, v0
	s_waitcnt_depctr 0xfff
	v_fma_f32 v16, -v0, v8, 1.0
	v_fmac_f32_e32 v8, v16, v8
	v_div_scale_f32 v16, vcc_lo, 1.0, v9, 1.0
	s_delay_alu instid0(VALU_DEP_1) | instskip(NEXT) | instid1(VALU_DEP_1)
	v_mul_f32_e32 v40, v16, v8
	v_fma_f32 v41, -v0, v40, v16
	s_delay_alu instid0(VALU_DEP_1) | instskip(NEXT) | instid1(VALU_DEP_1)
	v_fmac_f32_e32 v40, v41, v8
	v_fma_f32 v0, -v0, v40, v16
	s_delay_alu instid0(VALU_DEP_1) | instskip(NEXT) | instid1(VALU_DEP_1)
	v_div_fmas_f32 v0, v0, v8, v40
	v_div_fixup_f32 v0, v0, v9, 1.0
.LBB0_21:
	v_dual_mov_b32 v41, 0 :: v_dual_add_nc_u32 v8, s1, v24
	v_lshrrev_b32_e32 v9, 16, v38
	v_lshrrev_b32_e32 v16, 16, v39
	v_cvt_f32_f16_e32 v24, v38
	s_delay_alu instid0(VALU_DEP_4)
	v_lshl_add_u32 v40, v8, 7, v183
	v_cvt_f32_f16_e32 v39, v39
	v_cvt_f32_f16_e32 v9, v9
	;; [unrolled: 1-line block ×3, first 2 shown]
	v_mul_f32_e32 v38, v0, v24
	v_lshlrev_b64 v[42:43], 2, v[40:41]
	v_mul_f32_e32 v40, v0, v39
	v_mul_f32_e32 v39, v0, v9
	;; [unrolled: 1-line block ×3, first 2 shown]
	s_delay_alu instid0(VALU_DEP_4)
	v_add_co_u32 v42, vcc_lo, s56, v42
	v_add_co_ci_u32_e32 v43, vcc_lo, s57, v43, vcc_lo
	global_store_b128 v[42:43], v[38:41], off
	s_and_saveexec_b32 s2, s0
	s_cbranch_execz .LBB0_23
; %bb.22:
	v_ashrrev_i32_e32 v9, 31, v8
	v_mov_b32_e32 v16, v1
	s_delay_alu instid0(VALU_DEP_2) | instskip(NEXT) | instid1(VALU_DEP_1)
	v_lshlrev_b64 v[38:39], 3, v[8:9]
	v_add_co_u32 v38, vcc_lo, s58, v38
	s_delay_alu instid0(VALU_DEP_2)
	v_add_co_ci_u32_e32 v39, vcc_lo, s59, v39, vcc_lo
	global_store_b64 v[38:39], v[16:17], off
.LBB0_23:
	s_or_b32 exec_lo, exec_lo, s2
	v_cmp_ne_u32_e32 vcc_lo, 1, v25
	v_mov_b32_e32 v1, 1.0
	s_cbranch_vccnz .LBB0_25
; %bb.24:
	v_div_scale_f32 v0, null, v10, v10, 1.0
	s_delay_alu instid0(VALU_DEP_1) | instskip(SKIP_2) | instid1(VALU_DEP_1)
	v_rcp_f32_e32 v1, v0
	s_waitcnt_depctr 0xfff
	v_fma_f32 v9, -v0, v1, 1.0
	v_fmac_f32_e32 v1, v9, v1
	v_div_scale_f32 v9, vcc_lo, 1.0, v10, 1.0
	s_delay_alu instid0(VALU_DEP_1) | instskip(NEXT) | instid1(VALU_DEP_1)
	v_mul_f32_e32 v16, v9, v1
	v_fma_f32 v17, -v0, v16, v9
	s_delay_alu instid0(VALU_DEP_1) | instskip(NEXT) | instid1(VALU_DEP_1)
	v_fmac_f32_e32 v16, v17, v1
	v_fma_f32 v0, -v0, v16, v9
	s_delay_alu instid0(VALU_DEP_1) | instskip(NEXT) | instid1(VALU_DEP_1)
	v_div_fmas_f32 v0, v0, v1, v16
	v_div_fixup_f32 v1, v0, v10, 1.0
.LBB0_25:
	v_dual_mov_b32 v9, 0 :: v_dual_add_nc_u32 v0, s1, v8
	v_lshrrev_b32_e32 v10, 16, v36
	v_lshrrev_b32_e32 v16, 16, v37
	v_cvt_f32_f16_e32 v17, v36
	s_delay_alu instid0(VALU_DEP_4)
	v_lshl_add_u32 v8, v0, 7, v183
	v_cvt_f32_f16_e32 v24, v37
	v_cvt_f32_f16_e32 v10, v10
	;; [unrolled: 1-line block ×3, first 2 shown]
	v_mul_f32_e32 v36, v1, v17
	v_lshlrev_b64 v[8:9], 2, v[8:9]
	v_mul_f32_e32 v38, v1, v24
	v_mul_f32_e32 v37, v1, v10
	;; [unrolled: 1-line block ×3, first 2 shown]
	s_delay_alu instid0(VALU_DEP_4)
	v_add_co_u32 v8, vcc_lo, s56, v8
	v_add_co_ci_u32_e32 v9, vcc_lo, s57, v9, vcc_lo
	global_store_b128 v[8:9], v[36:39], off
	s_and_saveexec_b32 s2, s0
	s_cbranch_execz .LBB0_27
; %bb.26:
	v_ashrrev_i32_e32 v1, 31, v0
	v_mov_b32_e32 v17, v2
	s_delay_alu instid0(VALU_DEP_2) | instskip(NEXT) | instid1(VALU_DEP_1)
	v_lshlrev_b64 v[8:9], 3, v[0:1]
	v_add_co_u32 v8, vcc_lo, s58, v8
	s_delay_alu instid0(VALU_DEP_2)
	v_add_co_ci_u32_e32 v9, vcc_lo, s59, v9, vcc_lo
	global_store_b64 v[8:9], v[17:18], off
.LBB0_27:
	s_or_b32 exec_lo, exec_lo, s2
	v_cmp_ne_u32_e32 vcc_lo, 1, v25
	v_mov_b32_e32 v1, 1.0
	s_cbranch_vccnz .LBB0_29
; %bb.28:
	v_div_scale_f32 v1, null, v11, v11, 1.0
	s_delay_alu instid0(VALU_DEP_1) | instskip(SKIP_2) | instid1(VALU_DEP_1)
	v_rcp_f32_e32 v2, v1
	s_waitcnt_depctr 0xfff
	v_fma_f32 v8, -v1, v2, 1.0
	v_fmac_f32_e32 v2, v8, v2
	v_div_scale_f32 v8, vcc_lo, 1.0, v11, 1.0
	s_delay_alu instid0(VALU_DEP_1) | instskip(NEXT) | instid1(VALU_DEP_1)
	v_mul_f32_e32 v9, v8, v2
	v_fma_f32 v10, -v1, v9, v8
	s_delay_alu instid0(VALU_DEP_1) | instskip(NEXT) | instid1(VALU_DEP_1)
	v_fmac_f32_e32 v9, v10, v2
	v_fma_f32 v1, -v1, v9, v8
	s_delay_alu instid0(VALU_DEP_1) | instskip(NEXT) | instid1(VALU_DEP_1)
	v_div_fmas_f32 v1, v1, v2, v9
	v_div_fixup_f32 v1, v1, v11, 1.0
.LBB0_29:
	v_dual_mov_b32 v9, 0 :: v_dual_add_nc_u32 v0, s1, v0
	v_lshrrev_b32_e32 v2, 16, v34
	v_lshrrev_b32_e32 v10, 16, v35
	v_cvt_f32_f16_e32 v11, v34
	s_delay_alu instid0(VALU_DEP_4) | instskip(SKIP_3) | instid1(VALU_DEP_4)
	v_lshl_add_u32 v8, v0, 7, v183
	v_cvt_f32_f16_e32 v18, v35
	v_cvt_f32_f16_e32 v2, v2
	;; [unrolled: 1-line block ×3, first 2 shown]
	v_lshlrev_b64 v[16:17], 2, v[8:9]
	v_mul_f32_e32 v8, v1, v11
	v_mul_f32_e32 v10, v1, v18
	;; [unrolled: 1-line block ×4, first 2 shown]
	v_add_co_u32 v1, vcc_lo, s56, v16
	v_add_co_ci_u32_e32 v2, vcc_lo, s57, v17, vcc_lo
	global_store_b128 v[1:2], v[8:11], off
	s_and_saveexec_b32 s2, s0
	s_cbranch_execz .LBB0_31
; %bb.30:
	v_ashrrev_i32_e32 v1, 31, v0
	v_mov_b32_e32 v18, v3
	s_delay_alu instid0(VALU_DEP_2) | instskip(NEXT) | instid1(VALU_DEP_1)
	v_lshlrev_b64 v[1:2], 3, v[0:1]
	v_add_co_u32 v1, vcc_lo, s58, v1
	s_delay_alu instid0(VALU_DEP_2)
	v_add_co_ci_u32_e32 v2, vcc_lo, s59, v2, vcc_lo
	global_store_b64 v[1:2], v[18:19], off
.LBB0_31:
	s_or_b32 exec_lo, exec_lo, s2
	v_cmp_ne_u32_e32 vcc_lo, 1, v25
	v_mov_b32_e32 v1, 1.0
	s_cbranch_vccnz .LBB0_33
; %bb.32:
	v_div_scale_f32 v1, null, v12, v12, 1.0
	s_delay_alu instid0(VALU_DEP_1) | instskip(SKIP_2) | instid1(VALU_DEP_1)
	v_rcp_f32_e32 v2, v1
	s_waitcnt_depctr 0xfff
	v_fma_f32 v3, -v1, v2, 1.0
	v_fmac_f32_e32 v2, v3, v2
	v_div_scale_f32 v3, vcc_lo, 1.0, v12, 1.0
	s_delay_alu instid0(VALU_DEP_1) | instskip(NEXT) | instid1(VALU_DEP_1)
	v_mul_f32_e32 v8, v3, v2
	v_fma_f32 v9, -v1, v8, v3
	s_delay_alu instid0(VALU_DEP_1) | instskip(NEXT) | instid1(VALU_DEP_1)
	v_fmac_f32_e32 v8, v9, v2
	v_fma_f32 v1, -v1, v8, v3
	s_delay_alu instid0(VALU_DEP_1) | instskip(NEXT) | instid1(VALU_DEP_1)
	v_div_fmas_f32 v1, v1, v2, v8
	v_div_fixup_f32 v1, v1, v12, 1.0
.LBB0_33:
	v_dual_mov_b32 v3, 0 :: v_dual_add_nc_u32 v0, s1, v0
	v_lshrrev_b32_e32 v8, 16, v32
	v_lshrrev_b32_e32 v9, 16, v33
	v_cvt_f32_f16_e32 v10, v32
	s_delay_alu instid0(VALU_DEP_4)
	v_lshl_add_u32 v2, v0, 7, v183
	v_cvt_f32_f16_e32 v11, v33
	v_cvt_f32_f16_e32 v12, v8
	;; [unrolled: 1-line block ×3, first 2 shown]
	v_mul_f32_e32 v8, v1, v10
	v_lshlrev_b64 v[2:3], 2, v[2:3]
	v_mul_f32_e32 v10, v1, v11
	v_mul_f32_e32 v9, v1, v12
	v_mul_f32_e32 v11, v1, v16
	s_delay_alu instid0(VALU_DEP_4)
	v_add_co_u32 v1, vcc_lo, s56, v2
	v_add_co_ci_u32_e32 v2, vcc_lo, s57, v3, vcc_lo
	global_store_b128 v[1:2], v[8:11], off
	s_and_saveexec_b32 s2, s0
	s_cbranch_execz .LBB0_35
; %bb.34:
	v_ashrrev_i32_e32 v1, 31, v0
	v_mov_b32_e32 v19, v4
	s_delay_alu instid0(VALU_DEP_2) | instskip(NEXT) | instid1(VALU_DEP_1)
	v_lshlrev_b64 v[1:2], 3, v[0:1]
	v_add_co_u32 v1, vcc_lo, s58, v1
	s_delay_alu instid0(VALU_DEP_2)
	v_add_co_ci_u32_e32 v2, vcc_lo, s59, v2, vcc_lo
	global_store_b64 v[1:2], v[19:20], off
.LBB0_35:
	s_or_b32 exec_lo, exec_lo, s2
	v_cmp_ne_u32_e32 vcc_lo, 1, v25
	v_mov_b32_e32 v1, 1.0
	s_cbranch_vccnz .LBB0_37
; %bb.36:
	v_div_scale_f32 v1, null, v13, v13, 1.0
	s_delay_alu instid0(VALU_DEP_1) | instskip(SKIP_2) | instid1(VALU_DEP_1)
	v_rcp_f32_e32 v2, v1
	s_waitcnt_depctr 0xfff
	v_fma_f32 v3, -v1, v2, 1.0
	v_fmac_f32_e32 v2, v3, v2
	v_div_scale_f32 v3, vcc_lo, 1.0, v13, 1.0
	s_delay_alu instid0(VALU_DEP_1) | instskip(NEXT) | instid1(VALU_DEP_1)
	v_mul_f32_e32 v4, v3, v2
	v_fma_f32 v8, -v1, v4, v3
	s_delay_alu instid0(VALU_DEP_1) | instskip(NEXT) | instid1(VALU_DEP_1)
	v_fmac_f32_e32 v4, v8, v2
	v_fma_f32 v1, -v1, v4, v3
	s_delay_alu instid0(VALU_DEP_1) | instskip(NEXT) | instid1(VALU_DEP_1)
	v_div_fmas_f32 v1, v1, v2, v4
	v_div_fixup_f32 v1, v1, v13, 1.0
.LBB0_37:
	v_dual_mov_b32 v3, 0 :: v_dual_add_nc_u32 v0, s1, v0
	v_lshrrev_b32_e32 v4, 16, v30
	v_lshrrev_b32_e32 v8, 16, v31
	v_cvt_f32_f16_e32 v9, v30
	s_delay_alu instid0(VALU_DEP_4)
	v_lshl_add_u32 v2, v0, 7, v183
	v_cvt_f32_f16_e32 v10, v31
	v_cvt_f32_f16_e32 v4, v4
	;; [unrolled: 1-line block ×3, first 2 shown]
	v_mul_f32_e32 v8, v1, v9
	v_lshlrev_b64 v[2:3], 2, v[2:3]
	v_mul_f32_e32 v10, v1, v10
	v_mul_f32_e32 v9, v1, v4
	;; [unrolled: 1-line block ×3, first 2 shown]
	s_delay_alu instid0(VALU_DEP_4)
	v_add_co_u32 v1, vcc_lo, s56, v2
	v_add_co_ci_u32_e32 v2, vcc_lo, s57, v3, vcc_lo
	global_store_b128 v[1:2], v[8:11], off
	s_and_saveexec_b32 s2, s0
	s_cbranch_execz .LBB0_39
; %bb.38:
	v_ashrrev_i32_e32 v1, 31, v0
	v_mov_b32_e32 v20, v5
	s_delay_alu instid0(VALU_DEP_2) | instskip(NEXT) | instid1(VALU_DEP_1)
	v_lshlrev_b64 v[1:2], 3, v[0:1]
	v_add_co_u32 v1, vcc_lo, s58, v1
	s_delay_alu instid0(VALU_DEP_2)
	v_add_co_ci_u32_e32 v2, vcc_lo, s59, v2, vcc_lo
	global_store_b64 v[1:2], v[20:21], off
.LBB0_39:
	s_or_b32 exec_lo, exec_lo, s2
	v_cmp_ne_u32_e32 vcc_lo, 1, v25
	v_mov_b32_e32 v1, 1.0
	s_cbranch_vccnz .LBB0_41
; %bb.40:
	v_div_scale_f32 v1, null, v14, v14, 1.0
	s_delay_alu instid0(VALU_DEP_1) | instskip(SKIP_2) | instid1(VALU_DEP_1)
	v_rcp_f32_e32 v2, v1
	s_waitcnt_depctr 0xfff
	v_fma_f32 v3, -v1, v2, 1.0
	v_fmac_f32_e32 v2, v3, v2
	v_div_scale_f32 v3, vcc_lo, 1.0, v14, 1.0
	s_delay_alu instid0(VALU_DEP_1) | instskip(NEXT) | instid1(VALU_DEP_1)
	v_mul_f32_e32 v4, v3, v2
	v_fma_f32 v5, -v1, v4, v3
	s_delay_alu instid0(VALU_DEP_1) | instskip(NEXT) | instid1(VALU_DEP_1)
	v_fmac_f32_e32 v4, v5, v2
	v_fma_f32 v1, -v1, v4, v3
	s_delay_alu instid0(VALU_DEP_1) | instskip(NEXT) | instid1(VALU_DEP_1)
	v_div_fmas_f32 v1, v1, v2, v4
	v_div_fixup_f32 v1, v1, v14, 1.0
.LBB0_41:
	v_dual_mov_b32 v3, 0 :: v_dual_add_nc_u32 v0, s1, v0
	v_lshrrev_b32_e32 v4, 16, v28
	v_lshrrev_b32_e32 v5, 16, v29
	v_cvt_f32_f16_e32 v10, v28
	s_delay_alu instid0(VALU_DEP_4) | instskip(SKIP_3) | instid1(VALU_DEP_4)
	v_lshl_add_u32 v2, v0, 7, v183
	v_cvt_f32_f16_e32 v11, v29
	v_cvt_f32_f16_e32 v12, v4
	;; [unrolled: 1-line block ×3, first 2 shown]
	v_lshlrev_b64 v[8:9], 2, v[2:3]
	v_mul_f32_e32 v2, v1, v10
	v_mul_f32_e32 v4, v1, v11
	v_mul_f32_e32 v3, v1, v12
	v_mul_f32_e32 v5, v1, v5
	v_add_co_u32 v8, vcc_lo, s56, v8
	v_add_co_ci_u32_e32 v9, vcc_lo, s57, v9, vcc_lo
	global_store_b128 v[8:9], v[2:5], off
	s_and_saveexec_b32 s2, s0
	s_cbranch_execz .LBB0_43
; %bb.42:
	v_ashrrev_i32_e32 v1, 31, v0
	v_mov_b32_e32 v21, v6
	s_delay_alu instid0(VALU_DEP_2) | instskip(NEXT) | instid1(VALU_DEP_1)
	v_lshlrev_b64 v[1:2], 3, v[0:1]
	v_add_co_u32 v1, vcc_lo, s58, v1
	s_delay_alu instid0(VALU_DEP_2)
	v_add_co_ci_u32_e32 v2, vcc_lo, s59, v2, vcc_lo
	global_store_b64 v[1:2], v[21:22], off
.LBB0_43:
	s_or_b32 exec_lo, exec_lo, s2
	v_cmp_ne_u32_e32 vcc_lo, 1, v25
	v_mov_b32_e32 v1, 1.0
	s_cbranch_vccnz .LBB0_45
; %bb.44:
	v_div_scale_f32 v1, null, v15, v15, 1.0
	s_delay_alu instid0(VALU_DEP_1) | instskip(SKIP_2) | instid1(VALU_DEP_1)
	v_rcp_f32_e32 v2, v1
	s_waitcnt_depctr 0xfff
	v_fma_f32 v3, -v1, v2, 1.0
	v_fmac_f32_e32 v2, v3, v2
	v_div_scale_f32 v3, vcc_lo, 1.0, v15, 1.0
	s_delay_alu instid0(VALU_DEP_1) | instskip(NEXT) | instid1(VALU_DEP_1)
	v_mul_f32_e32 v4, v3, v2
	v_fma_f32 v5, -v1, v4, v3
	s_delay_alu instid0(VALU_DEP_1) | instskip(NEXT) | instid1(VALU_DEP_1)
	v_fmac_f32_e32 v4, v5, v2
	v_fma_f32 v1, -v1, v4, v3
	s_delay_alu instid0(VALU_DEP_1) | instskip(NEXT) | instid1(VALU_DEP_1)
	v_div_fmas_f32 v1, v1, v2, v4
	v_div_fixup_f32 v1, v1, v15, 1.0
.LBB0_45:
	v_dual_mov_b32 v3, 0 :: v_dual_add_nc_u32 v0, s1, v0
	v_lshrrev_b32_e32 v4, 16, v27
	v_lshrrev_b32_e32 v5, 16, v26
	v_cvt_f32_f16_e32 v6, v27
	s_delay_alu instid0(VALU_DEP_4) | instskip(SKIP_3) | instid1(VALU_DEP_4)
	v_lshl_add_u32 v2, v0, 7, v183
	v_cvt_f32_f16_e32 v10, v26
	v_cvt_f32_f16_e32 v11, v4
	;; [unrolled: 1-line block ×3, first 2 shown]
	v_lshlrev_b64 v[8:9], 2, v[2:3]
	v_mul_f32_e32 v2, v1, v6
	v_mul_f32_e32 v4, v1, v10
	;; [unrolled: 1-line block ×4, first 2 shown]
	v_add_co_u32 v8, vcc_lo, s56, v8
	v_add_co_ci_u32_e32 v9, vcc_lo, s57, v9, vcc_lo
	global_store_b128 v[8:9], v[2:5], off
	s_and_b32 exec_lo, exec_lo, s0
	s_cbranch_execz .LBB0_13
; %bb.46:
	v_ashrrev_i32_e32 v1, 31, v0
	v_mov_b32_e32 v22, v7
	s_delay_alu instid0(VALU_DEP_2) | instskip(NEXT) | instid1(VALU_DEP_1)
	v_lshlrev_b64 v[0:1], 3, v[0:1]
	v_add_co_u32 v0, vcc_lo, s58, v0
	s_delay_alu instid0(VALU_DEP_2)
	v_add_co_ci_u32_e32 v1, vcc_lo, s59, v1, vcc_lo
	global_store_b64 v[0:1], v[22:23], off
	s_nop 0
	s_sendmsg sendmsg(MSG_DEALLOC_VGPRS)
	s_endpgm
	.section	.rodata,"a",@progbits
	.p2align	6, 0x0
	.amdhsa_kernel _ZL15flash_attn_tileILi128ELi128ELi8ELi8ELb0EEvPKcS1_S1_S1_S1_PKiPfP15HIP_vector_typeIfLj2EEffffjfiS5_IjLj3EEiiiiiiiiiiiliiliiiiil
		.amdhsa_group_segment_fixed_size 33792
		.amdhsa_private_segment_fixed_size 0
		.amdhsa_kernarg_size 464
		.amdhsa_user_sgpr_count 13
		.amdhsa_user_sgpr_dispatch_ptr 0
		.amdhsa_user_sgpr_queue_ptr 0
		.amdhsa_user_sgpr_kernarg_segment_ptr 1
		.amdhsa_user_sgpr_dispatch_id 0
		.amdhsa_user_sgpr_private_segment_size 0
		.amdhsa_wavefront_size32 1
		.amdhsa_uses_dynamic_stack 0
		.amdhsa_enable_private_segment 0
		.amdhsa_system_sgpr_workgroup_id_x 1
		.amdhsa_system_sgpr_workgroup_id_y 1
		.amdhsa_system_sgpr_workgroup_id_z 1
		.amdhsa_system_sgpr_workgroup_info 0
		.amdhsa_system_vgpr_workitem_id 1
		.amdhsa_next_free_vgpr 228
		.amdhsa_next_free_sgpr 73
		.amdhsa_reserve_vcc 1
		.amdhsa_float_round_mode_32 0
		.amdhsa_float_round_mode_16_64 0
		.amdhsa_float_denorm_mode_32 3
		.amdhsa_float_denorm_mode_16_64 3
		.amdhsa_dx10_clamp 1
		.amdhsa_ieee_mode 1
		.amdhsa_fp16_overflow 0
		.amdhsa_workgroup_processor_mode 1
		.amdhsa_memory_ordered 1
		.amdhsa_forward_progress 0
		.amdhsa_shared_vgpr_count 0
		.amdhsa_exception_fp_ieee_invalid_op 0
		.amdhsa_exception_fp_denorm_src 0
		.amdhsa_exception_fp_ieee_div_zero 0
		.amdhsa_exception_fp_ieee_overflow 0
		.amdhsa_exception_fp_ieee_underflow 0
		.amdhsa_exception_fp_ieee_inexact 0
		.amdhsa_exception_int_div_zero 0
	.end_amdhsa_kernel
	.section	.text._ZL15flash_attn_tileILi128ELi128ELi8ELi8ELb0EEvPKcS1_S1_S1_S1_PKiPfP15HIP_vector_typeIfLj2EEffffjfiS5_IjLj3EEiiiiiiiiiiiliiliiiiil,"axG",@progbits,_ZL15flash_attn_tileILi128ELi128ELi8ELi8ELb0EEvPKcS1_S1_S1_S1_PKiPfP15HIP_vector_typeIfLj2EEffffjfiS5_IjLj3EEiiiiiiiiiiiliiliiiiil,comdat
.Lfunc_end0:
	.size	_ZL15flash_attn_tileILi128ELi128ELi8ELi8ELb0EEvPKcS1_S1_S1_S1_PKiPfP15HIP_vector_typeIfLj2EEffffjfiS5_IjLj3EEiiiiiiiiiiiliiliiiiil, .Lfunc_end0-_ZL15flash_attn_tileILi128ELi128ELi8ELi8ELb0EEvPKcS1_S1_S1_S1_PKiPfP15HIP_vector_typeIfLj2EEffffjfiS5_IjLj3EEiiiiiiiiiiiliiliiiiil
                                        ; -- End function
	.section	.AMDGPU.csdata,"",@progbits
; Kernel info:
; codeLenInByte = 43140
; NumSgprs: 75
; NumVgprs: 228
; ScratchSize: 0
; MemoryBound: 0
; FloatMode: 240
; IeeeMode: 1
; LDSByteSize: 33792 bytes/workgroup (compile time only)
; SGPRBlocks: 9
; VGPRBlocks: 28
; NumSGPRsForWavesPerEU: 75
; NumVGPRsForWavesPerEU: 228
; Occupancy: 6
; WaveLimiterHint : 1
; COMPUTE_PGM_RSRC2:SCRATCH_EN: 0
; COMPUTE_PGM_RSRC2:USER_SGPR: 13
; COMPUTE_PGM_RSRC2:TRAP_HANDLER: 0
; COMPUTE_PGM_RSRC2:TGID_X_EN: 1
; COMPUTE_PGM_RSRC2:TGID_Y_EN: 1
; COMPUTE_PGM_RSRC2:TGID_Z_EN: 1
; COMPUTE_PGM_RSRC2:TIDIG_COMP_CNT: 1
	.section	.text._ZL25flash_attn_mask_to_KV_maxILi8EEvPK7__half2Piiii,"axG",@progbits,_ZL25flash_attn_mask_to_KV_maxILi8EEvPK7__half2Piiii,comdat
	.globl	_ZL25flash_attn_mask_to_KV_maxILi8EEvPK7__half2Piiii ; -- Begin function _ZL25flash_attn_mask_to_KV_maxILi8EEvPK7__half2Piiii
	.p2align	8
	.type	_ZL25flash_attn_mask_to_KV_maxILi8EEvPK7__half2Piiii,@function
_ZL25flash_attn_mask_to_KV_maxILi8EEvPK7__half2Piiii: ; @_ZL25flash_attn_mask_to_KV_maxILi8EEvPK7__half2Piiii
; %bb.0:
	s_load_b128 s[4:7], s[0:1], 0x0
	s_mov_b32 s2, exec_lo
	v_cmpx_gt_u32_e32 32, v0
	s_cbranch_execz .LBB1_2
; %bb.1:
	v_dual_mov_b32 v2, 1 :: v_dual_lshlrev_b32 v1, 2, v0
	ds_store_b32 v1, v2
.LBB1_2:
	s_or_b32 exec_lo, exec_lo, s2
	s_clause 0x1
	s_load_b128 s[8:11], s[0:1], 0x10
	s_load_b32 s1, s[0:1], 0x20
	v_dual_mov_b32 v2, 0 :: v_dual_and_b32 v1, 31, v0
	v_lshrrev_b32_e32 v5, 3, v0
	s_waitcnt lgkmcnt(0)
	s_barrier
	s_delay_alu instid0(VALU_DEP_2) | instskip(SKIP_4) | instid1(SALU_CYCLE_1)
	v_lshlrev_b32_e32 v6, 2, v1
	buffer_gl0_inv
	s_mul_i32 s0, s14, s9
	s_mul_i32 s2, s15, s10
	s_lshl_b32 s0, s0, 3
	s_add_i32 s2, s2, s0
	v_cmp_eq_u32_e64 s0, 0, v1
	s_ashr_i32 s3, s2, 31
	s_delay_alu instid0(SALU_CYCLE_1) | instskip(NEXT) | instid1(SALU_CYCLE_1)
	s_lshl_b64 s[10:11], s[2:3], 2
	s_add_u32 s3, s4, s10
	s_addc_u32 s4, s5, s11
	s_lshl_b32 s5, s8, 8
	s_branch .LBB1_4
.LBB1_3:                                ;   in Loop: Header=BB1_4 Depth=1
	s_or_b32 exec_lo, exec_lo, s10
	s_waitcnt lgkmcnt(0)
	s_barrier
	buffer_gl0_inv
	ds_load_b32 v1, v6
	s_waitcnt lgkmcnt(0)
	s_barrier
	buffer_gl0_inv
	;;#ASMSTART
	;;#ASMEND
	v_cmp_ne_u32_e32 vcc_lo, 0, v1
	s_cmp_lg_u32 vcc_lo, exec_lo
	s_cselect_b32 s8, -1, 0
	s_delay_alu instid0(SALU_CYCLE_1)
	s_and_b32 vcc_lo, exec_lo, s8
	s_cbranch_vccnz .LBB1_36
.LBB1_4:                                ; =>This Inner Loop Header: Depth=1
	s_mov_b32 s2, s5
	s_addk_i32 s5, 0xff00
	s_delay_alu instid0(SALU_CYCLE_1)
	s_cmp_lt_i32 s5, 0
	s_cbranch_scc1 .LBB1_35
; %bb.5:                                ;   in Loop: Header=BB1_4 Depth=1
	s_lshr_b32 s8, s5, 1
	s_mov_b32 s10, 0
	v_add_nc_u32_e32 v1, s8, v0
	s_delay_alu instid0(VALU_DEP_1) | instskip(NEXT) | instid1(VALU_DEP_1)
	v_lshlrev_b64 v[3:4], 2, v[1:2]
	v_add_co_u32 v3, vcc_lo, s3, v3
	s_delay_alu instid0(VALU_DEP_2) | instskip(SKIP_4) | instid1(VALU_DEP_2)
	v_add_co_ci_u32_e32 v4, vcc_lo, s4, v4, vcc_lo
	global_load_b32 v3, v[3:4], off
	s_waitcnt vmcnt(0)
	v_lshrrev_b32_e32 v4, 16, v3
	v_cmp_class_f16_e64 s8, v3, 0x204
	v_and_b32_e32 v4, 0x7fff, v4
	s_delay_alu instid0(VALU_DEP_1) | instskip(NEXT) | instid1(VALU_DEP_3)
	v_cmp_eq_f16_e32 vcc_lo, 0x7c00, v4
	s_and_b32 s11, s8, vcc_lo
	s_delay_alu instid0(SALU_CYCLE_1)
	s_and_saveexec_b32 s8, s11
	s_cbranch_execz .LBB1_33
; %bb.6:                                ;   in Loop: Header=BB1_4 Depth=1
	v_add_nc_u32_e32 v3, s9, v1
	s_mov_b32 s11, 0
	s_delay_alu instid0(VALU_DEP_1) | instskip(NEXT) | instid1(VALU_DEP_1)
	v_ashrrev_i32_e32 v4, 31, v3
	v_lshlrev_b64 v[7:8], 2, v[3:4]
	s_delay_alu instid0(VALU_DEP_1) | instskip(NEXT) | instid1(VALU_DEP_2)
	v_add_co_u32 v7, vcc_lo, s3, v7
	v_add_co_ci_u32_e32 v8, vcc_lo, s4, v8, vcc_lo
	global_load_b32 v1, v[7:8], off
	s_waitcnt vmcnt(0)
	v_cmp_class_f16_e64 s12, v1, 0x204
	s_delay_alu instid0(VALU_DEP_1)
	s_and_saveexec_b32 s10, s12
	s_cbranch_execz .LBB1_32
; %bb.7:                                ;   in Loop: Header=BB1_4 Depth=1
	v_lshrrev_b32_e32 v1, 16, v1
	s_mov_b32 s12, 0
	s_delay_alu instid0(VALU_DEP_1) | instskip(NEXT) | instid1(VALU_DEP_1)
	v_cmp_class_f16_e64 s13, v1, 0x204
	s_and_saveexec_b32 s11, s13
	s_cbranch_execz .LBB1_31
; %bb.8:                                ;   in Loop: Header=BB1_4 Depth=1
	v_add_nc_u32_e32 v3, s9, v3
	s_mov_b32 s13, 0
	s_delay_alu instid0(VALU_DEP_1) | instskip(NEXT) | instid1(VALU_DEP_1)
	v_ashrrev_i32_e32 v4, 31, v3
	v_lshlrev_b64 v[7:8], 2, v[3:4]
	s_delay_alu instid0(VALU_DEP_1) | instskip(NEXT) | instid1(VALU_DEP_2)
	v_add_co_u32 v7, vcc_lo, s3, v7
	v_add_co_ci_u32_e32 v8, vcc_lo, s4, v8, vcc_lo
	global_load_b32 v1, v[7:8], off
	s_waitcnt vmcnt(0)
	v_cmp_class_f16_e64 s16, v1, 0x204
	s_delay_alu instid0(VALU_DEP_1)
	s_and_saveexec_b32 s12, s16
	s_cbranch_execz .LBB1_30
; %bb.9:                                ;   in Loop: Header=BB1_4 Depth=1
	v_lshrrev_b32_e32 v1, 16, v1
	s_mov_b32 s16, 0
	s_delay_alu instid0(VALU_DEP_1) | instskip(NEXT) | instid1(VALU_DEP_1)
	v_cmp_class_f16_e64 s17, v1, 0x204
	s_and_saveexec_b32 s13, s17
	s_cbranch_execz .LBB1_29
; %bb.10:                               ;   in Loop: Header=BB1_4 Depth=1
	v_add_nc_u32_e32 v3, s9, v3
	s_mov_b32 s17, 0
	s_delay_alu instid0(VALU_DEP_1) | instskip(NEXT) | instid1(VALU_DEP_1)
	v_ashrrev_i32_e32 v4, 31, v3
	v_lshlrev_b64 v[7:8], 2, v[3:4]
	s_delay_alu instid0(VALU_DEP_1) | instskip(NEXT) | instid1(VALU_DEP_2)
	v_add_co_u32 v7, vcc_lo, s3, v7
	v_add_co_ci_u32_e32 v8, vcc_lo, s4, v8, vcc_lo
	global_load_b32 v1, v[7:8], off
	s_waitcnt vmcnt(0)
	v_cmp_class_f16_e64 s18, v1, 0x204
	s_delay_alu instid0(VALU_DEP_1)
	s_and_saveexec_b32 s16, s18
	s_cbranch_execz .LBB1_28
; %bb.11:                               ;   in Loop: Header=BB1_4 Depth=1
	v_lshrrev_b32_e32 v1, 16, v1
	s_mov_b32 s18, 0
	s_delay_alu instid0(VALU_DEP_1) | instskip(NEXT) | instid1(VALU_DEP_1)
	v_cmp_class_f16_e64 s19, v1, 0x204
	s_and_saveexec_b32 s17, s19
	s_cbranch_execz .LBB1_27
; %bb.12:                               ;   in Loop: Header=BB1_4 Depth=1
	v_add_nc_u32_e32 v3, s9, v3
	s_mov_b32 s19, 0
	s_delay_alu instid0(VALU_DEP_1) | instskip(NEXT) | instid1(VALU_DEP_1)
	v_ashrrev_i32_e32 v4, 31, v3
	v_lshlrev_b64 v[7:8], 2, v[3:4]
	s_delay_alu instid0(VALU_DEP_1) | instskip(NEXT) | instid1(VALU_DEP_2)
	v_add_co_u32 v7, vcc_lo, s3, v7
	v_add_co_ci_u32_e32 v8, vcc_lo, s4, v8, vcc_lo
	global_load_b32 v1, v[7:8], off
	s_waitcnt vmcnt(0)
	v_cmp_class_f16_e64 s20, v1, 0x204
	s_delay_alu instid0(VALU_DEP_1)
	s_and_saveexec_b32 s18, s20
	s_cbranch_execz .LBB1_26
; %bb.13:                               ;   in Loop: Header=BB1_4 Depth=1
	;; [unrolled: 22-line block ×4, first 2 shown]
	v_lshrrev_b32_e32 v1, 16, v1
	s_mov_b32 s24, 0
	s_delay_alu instid0(VALU_DEP_1) | instskip(NEXT) | instid1(VALU_DEP_1)
	v_cmp_class_f16_e64 s25, v1, 0x204
	s_and_saveexec_b32 s23, s25
	s_cbranch_execz .LBB1_21
; %bb.18:                               ;   in Loop: Header=BB1_4 Depth=1
	v_add_nc_u32_e32 v3, s9, v3
	s_delay_alu instid0(VALU_DEP_1) | instskip(NEXT) | instid1(VALU_DEP_1)
	v_ashrrev_i32_e32 v4, 31, v3
	v_lshlrev_b64 v[3:4], 2, v[3:4]
	s_delay_alu instid0(VALU_DEP_1) | instskip(NEXT) | instid1(VALU_DEP_2)
	v_add_co_u32 v3, vcc_lo, s3, v3
	v_add_co_ci_u32_e32 v4, vcc_lo, s4, v4, vcc_lo
	global_load_b32 v1, v[3:4], off
	s_waitcnt vmcnt(0)
	v_cmp_class_f16_e64 s26, v1, 0x204
	s_delay_alu instid0(VALU_DEP_1)
	s_and_saveexec_b32 s25, s26
; %bb.19:                               ;   in Loop: Header=BB1_4 Depth=1
	v_lshrrev_b32_e32 v1, 16, v1
	s_delay_alu instid0(VALU_DEP_1) | instskip(NEXT) | instid1(VALU_DEP_1)
	v_cmp_class_f16_e64 s24, v1, 0x204
	s_and_b32 s24, s24, exec_lo
; %bb.20:                               ;   in Loop: Header=BB1_4 Depth=1
	s_or_b32 exec_lo, exec_lo, s25
	s_delay_alu instid0(SALU_CYCLE_1)
	s_and_b32 s24, s24, exec_lo
.LBB1_21:                               ;   in Loop: Header=BB1_4 Depth=1
	s_or_b32 exec_lo, exec_lo, s23
	s_delay_alu instid0(SALU_CYCLE_1)
	s_and_b32 s23, s24, exec_lo
.LBB1_22:                               ;   in Loop: Header=BB1_4 Depth=1
	s_or_b32 exec_lo, exec_lo, s22
	s_delay_alu instid0(SALU_CYCLE_1)
	s_and_b32 s22, s23, exec_lo
.LBB1_23:                               ;   in Loop: Header=BB1_4 Depth=1
	s_or_b32 exec_lo, exec_lo, s21
	s_delay_alu instid0(SALU_CYCLE_1)
	s_and_b32 s21, s22, exec_lo
.LBB1_24:                               ;   in Loop: Header=BB1_4 Depth=1
	s_or_b32 exec_lo, exec_lo, s20
	s_delay_alu instid0(SALU_CYCLE_1)
	s_and_b32 s20, s21, exec_lo
.LBB1_25:                               ;   in Loop: Header=BB1_4 Depth=1
	s_or_b32 exec_lo, exec_lo, s19
	s_delay_alu instid0(SALU_CYCLE_1)
	s_and_b32 s19, s20, exec_lo
.LBB1_26:                               ;   in Loop: Header=BB1_4 Depth=1
	s_or_b32 exec_lo, exec_lo, s18
	s_delay_alu instid0(SALU_CYCLE_1)
	s_and_b32 s18, s19, exec_lo
.LBB1_27:                               ;   in Loop: Header=BB1_4 Depth=1
	s_or_b32 exec_lo, exec_lo, s17
	s_delay_alu instid0(SALU_CYCLE_1)
	s_and_b32 s17, s18, exec_lo
.LBB1_28:                               ;   in Loop: Header=BB1_4 Depth=1
	s_or_b32 exec_lo, exec_lo, s16
	s_delay_alu instid0(SALU_CYCLE_1)
	s_and_b32 s16, s17, exec_lo
.LBB1_29:                               ;   in Loop: Header=BB1_4 Depth=1
	s_or_b32 exec_lo, exec_lo, s13
	s_delay_alu instid0(SALU_CYCLE_1)
	s_and_b32 s13, s16, exec_lo
.LBB1_30:                               ;   in Loop: Header=BB1_4 Depth=1
	s_or_b32 exec_lo, exec_lo, s12
	s_delay_alu instid0(SALU_CYCLE_1)
	s_and_b32 s12, s13, exec_lo
.LBB1_31:                               ;   in Loop: Header=BB1_4 Depth=1
	s_or_b32 exec_lo, exec_lo, s11
	s_delay_alu instid0(SALU_CYCLE_1)
	s_and_b32 s11, s12, exec_lo
.LBB1_32:                               ;   in Loop: Header=BB1_4 Depth=1
	s_or_b32 exec_lo, exec_lo, s10
	s_delay_alu instid0(SALU_CYCLE_1)
	s_and_b32 s10, s11, exec_lo
.LBB1_33:                               ;   in Loop: Header=BB1_4 Depth=1
	s_or_b32 exec_lo, exec_lo, s8
	v_cndmask_b32_e64 v1, 0, 1, s10
	;;#ASMSTART
	;;#ASMEND
	s_delay_alu instid0(VALU_DEP_1)
	v_cmp_ne_u32_e32 vcc_lo, 0, v1
	s_mov_b32 s8, exec_lo
	s_and_saveexec_b32 s10, s0
	s_cbranch_execz .LBB1_3
; %bb.34:                               ;   in Loop: Header=BB1_4 Depth=1
	s_cmp_eq_u32 vcc_lo, s8
	s_cselect_b32 s8, -1, 0
	s_delay_alu instid0(SALU_CYCLE_1)
	v_cndmask_b32_e64 v1, 0, 1, s8
	ds_store_b32 v5, v1
	s_branch .LBB1_3
.LBB1_35:                               ;   in Loop: Header=BB1_4 Depth=1
                                        ; implicit-def: $sgpr5
	s_cbranch_execz .LBB1_4
.LBB1_36:
	s_mov_b32 s0, exec_lo
	v_cmpx_eq_u32_e32 0, v0
	s_cbranch_execz .LBB1_38
; %bb.37:
	s_mul_i32 s0, s1, s15
	v_dual_mov_b32 v0, 0 :: v_dual_mov_b32 v1, s2
	s_add_i32 s0, s0, s14
	s_delay_alu instid0(SALU_CYCLE_1) | instskip(NEXT) | instid1(SALU_CYCLE_1)
	s_ashr_i32 s1, s0, 31
	s_lshl_b64 s[0:1], s[0:1], 2
	s_delay_alu instid0(SALU_CYCLE_1)
	s_add_u32 s0, s6, s0
	s_addc_u32 s1, s7, s1
	global_store_b32 v0, v1, s[0:1]
.LBB1_38:
	s_nop 0
	s_sendmsg sendmsg(MSG_DEALLOC_VGPRS)
	s_endpgm
	.section	.rodata,"a",@progbits
	.p2align	6, 0x0
	.amdhsa_kernel _ZL25flash_attn_mask_to_KV_maxILi8EEvPK7__half2Piiii
		.amdhsa_group_segment_fixed_size 128
		.amdhsa_private_segment_fixed_size 0
		.amdhsa_kernarg_size 288
		.amdhsa_user_sgpr_count 14
		.amdhsa_user_sgpr_dispatch_ptr 0
		.amdhsa_user_sgpr_queue_ptr 0
		.amdhsa_user_sgpr_kernarg_segment_ptr 1
		.amdhsa_user_sgpr_dispatch_id 0
		.amdhsa_user_sgpr_private_segment_size 0
		.amdhsa_wavefront_size32 1
		.amdhsa_uses_dynamic_stack 0
		.amdhsa_enable_private_segment 0
		.amdhsa_system_sgpr_workgroup_id_x 1
		.amdhsa_system_sgpr_workgroup_id_y 1
		.amdhsa_system_sgpr_workgroup_id_z 0
		.amdhsa_system_sgpr_workgroup_info 0
		.amdhsa_system_vgpr_workitem_id 0
		.amdhsa_next_free_vgpr 9
		.amdhsa_next_free_sgpr 27
		.amdhsa_reserve_vcc 1
		.amdhsa_float_round_mode_32 0
		.amdhsa_float_round_mode_16_64 0
		.amdhsa_float_denorm_mode_32 3
		.amdhsa_float_denorm_mode_16_64 3
		.amdhsa_dx10_clamp 1
		.amdhsa_ieee_mode 1
		.amdhsa_fp16_overflow 0
		.amdhsa_workgroup_processor_mode 1
		.amdhsa_memory_ordered 1
		.amdhsa_forward_progress 0
		.amdhsa_shared_vgpr_count 0
		.amdhsa_exception_fp_ieee_invalid_op 0
		.amdhsa_exception_fp_denorm_src 0
		.amdhsa_exception_fp_ieee_div_zero 0
		.amdhsa_exception_fp_ieee_overflow 0
		.amdhsa_exception_fp_ieee_underflow 0
		.amdhsa_exception_fp_ieee_inexact 0
		.amdhsa_exception_int_div_zero 0
	.end_amdhsa_kernel
	.section	.text._ZL25flash_attn_mask_to_KV_maxILi8EEvPK7__half2Piiii,"axG",@progbits,_ZL25flash_attn_mask_to_KV_maxILi8EEvPK7__half2Piiii,comdat
.Lfunc_end1:
	.size	_ZL25flash_attn_mask_to_KV_maxILi8EEvPK7__half2Piiii, .Lfunc_end1-_ZL25flash_attn_mask_to_KV_maxILi8EEvPK7__half2Piiii
                                        ; -- End function
	.section	.AMDGPU.csdata,"",@progbits
; Kernel info:
; codeLenInByte = 1376
; NumSgprs: 29
; NumVgprs: 9
; ScratchSize: 0
; MemoryBound: 0
; FloatMode: 240
; IeeeMode: 1
; LDSByteSize: 128 bytes/workgroup (compile time only)
; SGPRBlocks: 3
; VGPRBlocks: 1
; NumSGPRsForWavesPerEU: 29
; NumVGPRsForWavesPerEU: 9
; Occupancy: 16
; WaveLimiterHint : 0
; COMPUTE_PGM_RSRC2:SCRATCH_EN: 0
; COMPUTE_PGM_RSRC2:USER_SGPR: 14
; COMPUTE_PGM_RSRC2:TRAP_HANDLER: 0
; COMPUTE_PGM_RSRC2:TGID_X_EN: 1
; COMPUTE_PGM_RSRC2:TGID_Y_EN: 1
; COMPUTE_PGM_RSRC2:TGID_Z_EN: 0
; COMPUTE_PGM_RSRC2:TIDIG_COMP_CNT: 0
	.section	.text._ZL33flash_attn_stream_k_fixup_uniformILi128ELi8ELi8EEvPfPK15HIP_vector_typeIfLj2EEiiiiiiS1_IjLj3EES5_S5_,"axG",@progbits,_ZL33flash_attn_stream_k_fixup_uniformILi128ELi8ELi8EEvPfPK15HIP_vector_typeIfLj2EEiiiiiiS1_IjLj3EES5_S5_,comdat
	.globl	_ZL33flash_attn_stream_k_fixup_uniformILi128ELi8ELi8EEvPfPK15HIP_vector_typeIfLj2EEiiiiiiS1_IjLj3EES5_S5_ ; -- Begin function _ZL33flash_attn_stream_k_fixup_uniformILi128ELi8ELi8EEvPfPK15HIP_vector_typeIfLj2EEiiiiiiS1_IjLj3EES5_S5_
	.p2align	8
	.type	_ZL33flash_attn_stream_k_fixup_uniformILi128ELi8ELi8EEvPfPK15HIP_vector_typeIfLj2EEiiiiiiS1_IjLj3EES5_S5_,@function
_ZL33flash_attn_stream_k_fixup_uniformILi128ELi8ELi8EEvPfPK15HIP_vector_typeIfLj2EEiiiiiiS1_IjLj3EES5_S5_: ; @_ZL33flash_attn_stream_k_fixup_uniformILi128ELi8ELi8EEvPfPK15HIP_vector_typeIfLj2EEiiiiiiS1_IjLj3EES5_S5_
; %bb.0:
	s_clause 0x1
	s_load_b256 s[4:11], s[0:1], 0x1c
	s_load_b128 s[16:19], s[0:1], 0x3c
	s_waitcnt lgkmcnt(0)
	s_mul_hi_u32 s2, s7, s13
	s_delay_alu instid0(SALU_CYCLE_1) | instskip(NEXT) | instid1(SALU_CYCLE_1)
	s_add_i32 s2, s13, s2
	s_lshr_b32 s2, s2, s8
	s_delay_alu instid0(SALU_CYCLE_1) | instskip(SKIP_2) | instid1(SALU_CYCLE_1)
	s_mul_i32 s3, s2, s9
	s_load_b64 s[8:9], s[0:1], 0x10
	s_sub_i32 s7, s13, s3
	s_mul_hi_u32 s3, s7, s10
	s_delay_alu instid0(SALU_CYCLE_1) | instskip(NEXT) | instid1(SALU_CYCLE_1)
	s_add_i32 s3, s7, s3
	s_lshr_b32 s3, s3, s11
	s_delay_alu instid0(SALU_CYCLE_1) | instskip(NEXT) | instid1(SALU_CYCLE_1)
	s_mul_i32 s10, s3, s16
	s_sub_i32 s7, s7, s10
	s_delay_alu instid0(SALU_CYCLE_1) | instskip(NEXT) | instid1(SALU_CYCLE_1)
	s_mul_hi_u32 s10, s7, s17
	s_add_i32 s10, s7, s10
	s_delay_alu instid0(SALU_CYCLE_1) | instskip(NEXT) | instid1(SALU_CYCLE_1)
	s_lshr_b32 s10, s10, s18
	s_mul_i32 s11, s10, s19
	s_lshl_b32 s10, s10, 3
	s_sub_i32 s7, s7, s11
	s_delay_alu instid0(SALU_CYCLE_1) | instskip(NEXT) | instid1(SALU_CYCLE_1)
	s_lshl_b32 s11, s7, 3
	s_add_i32 s11, s11, s14
	s_waitcnt lgkmcnt(0)
	s_cmp_lt_i32 s11, s8
	s_cselect_b32 s11, -1, 0
	s_add_i32 s12, s10, s15
	s_delay_alu instid0(SALU_CYCLE_1) | instskip(SKIP_1) | instid1(SALU_CYCLE_1)
	s_cmp_lt_i32 s12, s5
	s_cselect_b32 s12, -1, 0
	s_and_b32 s11, s11, s12
	s_delay_alu instid0(SALU_CYCLE_1)
	s_and_not1_b32 vcc_lo, exec_lo, s11
	s_cbranch_vccnz .LBB2_6
; %bb.1:
	s_mul_i32 s2, s2, s8
	s_mul_i32 s5, s3, s5
	s_add_i32 s2, s2, s14
	s_mul_i32 s7, s9, s7
	s_mul_i32 s2, s2, s9
	s_lshl_b32 s7, s7, 10
	s_add_i32 s8, s2, s15
	s_load_b128 s[0:3], s[0:1], 0x0
	s_add_i32 s5, s8, s5
	s_lshl_b32 s9, s14, 3
	s_add_i32 s5, s5, s10
	s_delay_alu instid0(SALU_CYCLE_1) | instskip(NEXT) | instid1(SALU_CYCLE_1)
	s_lshl_b32 s5, s5, 7
	s_add_i32 s7, s7, s5
	s_mul_i32 s5, s13, s6
	v_or_b32_e32 v1, s7, v0
	s_add_i32 s10, s5, s6
	s_delay_alu instid0(VALU_DEP_1) | instskip(NEXT) | instid1(VALU_DEP_1)
	v_ashrrev_i32_e32 v2, 31, v1
	v_lshlrev_b64 v[1:2], 2, v[1:2]
	s_waitcnt lgkmcnt(0)
	s_delay_alu instid0(VALU_DEP_1) | instskip(NEXT) | instid1(VALU_DEP_2)
	v_add_co_u32 v1, vcc_lo, s0, v1
	v_add_co_ci_u32_e32 v2, vcc_lo, s1, v2, vcc_lo
	s_add_i32 s0, s9, s15
	s_lshl_b32 s1, s10, 6
	s_delay_alu instid0(SALU_CYCLE_1) | instskip(SKIP_2) | instid1(SALU_CYCLE_1)
	s_add_i32 s0, s0, s1
	global_load_b32 v5, v[1:2], off
	s_sub_i32 s0, s0, 64
	s_ashr_i32 s1, s0, 31
	s_delay_alu instid0(SALU_CYCLE_1) | instskip(NEXT) | instid1(SALU_CYCLE_1)
	s_lshl_b64 s[0:1], s[0:1], 3
	s_add_u32 s0, s2, s0
	s_addc_u32 s1, s3, s1
	s_add_i32 s7, s10, -2
	s_load_b32 s11, s[0:1], 0x4
	s_cmp_lt_i32 s7, s5
	s_cbranch_scc1 .LBB2_4
; %bb.2:
	s_lshl_b32 s16, s4, 8
	s_load_b32 s12, s[0:1], 0x0
	s_ashr_i32 s17, s16, 31
	s_delay_alu instid0(SALU_CYCLE_1) | instskip(NEXT) | instid1(SALU_CYCLE_1)
	s_lshl_b64 s[0:1], s[16:17], 2
	s_add_u32 s7, s2, s0
	s_addc_u32 s8, s3, s1
	s_add_i32 s13, s13, 1
	s_lshl_b32 s0, s14, 10
	s_lshl_b32 s1, s15, 7
	s_mul_i32 s6, s6, s13
	s_add_i32 s0, s1, s0
	s_lshl_b32 s1, s6, 13
	s_delay_alu instid0(SALU_CYCLE_1)
	s_add_i32 s0, s0, s1
	s_lshl_b32 s1, s6, 6
	v_or_b32_e32 v0, s0, v0
	s_lshl_b32 s0, s4, 6
	s_add_i32 s1, s15, s1
	s_waitcnt lgkmcnt(0)
	v_mov_b32_e32 v6, s11
	s_add_i32 s0, s1, s0
	v_dual_mov_b32 v0, s12 :: v_dual_add_nc_u32 v3, 0xffffc000, v0
	s_add_i32 s0, s0, s9
	s_add_i32 s4, s10, -1
	s_addk_i32 s0, 0xff80
.LBB2_3:                                ; =>This Inner Loop Header: Depth=1
	s_delay_alu instid0(VALU_DEP_1) | instskip(SKIP_1) | instid1(SALU_CYCLE_1)
	v_ashrrev_i32_e32 v4, 31, v3
	s_ashr_i32 s1, s0, 31
	s_lshl_b64 s[10:11], s[0:1], 3
	s_delay_alu instid0(SALU_CYCLE_1) | instskip(NEXT) | instid1(VALU_DEP_1)
	s_add_u32 s10, s2, s10
	v_lshlrev_b64 v[7:8], 2, v[3:4]
	s_addc_u32 s11, s3, s11
	s_add_i32 s4, s4, -1
	s_sub_i32 s0, s0, 64
	s_cmp_le_i32 s4, s5
	s_load_b64 s[10:11], s[10:11], 0x0
	v_add_co_u32 v7, vcc_lo, s7, v7
	v_add_co_ci_u32_e32 v8, vcc_lo, s8, v8, vcc_lo
	global_load_b32 v4, v[7:8], off
	v_max_f32_e32 v7, v0, v0
	s_waitcnt lgkmcnt(0)
	v_max_f32_e64 v8, s10, s10
	s_delay_alu instid0(VALU_DEP_1) | instskip(NEXT) | instid1(VALU_DEP_1)
	v_max_f32_e32 v7, v7, v8
	v_sub_f32_e32 v8, s10, v7
	s_delay_alu instid0(VALU_DEP_1) | instskip(NEXT) | instid1(VALU_DEP_1)
	v_dual_sub_f32 v0, v0, v7 :: v_dual_mul_f32 v9, 0x3fb8aa3b, v8
	v_fma_f32 v10, 0x3fb8aa3b, v8, -v9
	v_rndne_f32_e32 v11, v9
	s_delay_alu instid0(VALU_DEP_3) | instskip(NEXT) | instid1(VALU_DEP_2)
	v_mul_f32_e32 v12, 0x3fb8aa3b, v0
	v_dual_fmac_f32 v10, 0x32a5705f, v8 :: v_dual_sub_f32 v9, v9, v11
	v_cvt_i32_f32_e32 v11, v11
	s_delay_alu instid0(VALU_DEP_3) | instskip(SKIP_1) | instid1(VALU_DEP_4)
	v_fma_f32 v13, 0x3fb8aa3b, v0, -v12
	v_rndne_f32_e32 v14, v12
	v_add_f32_e32 v9, v9, v10
	v_cmp_ngt_f32_e32 vcc_lo, 0xc2ce8ed0, v8
	s_delay_alu instid0(VALU_DEP_3) | instskip(NEXT) | instid1(VALU_DEP_3)
	v_sub_f32_e32 v10, v12, v14
	v_exp_f32_e32 v9, v9
	s_waitcnt_depctr 0xfff
	v_ldexp_f32 v9, v9, v11
	v_cvt_i32_f32_e32 v11, v14
	s_delay_alu instid0(VALU_DEP_2) | instskip(SKIP_1) | instid1(VALU_DEP_2)
	v_cndmask_b32_e32 v9, 0, v9, vcc_lo
	v_cmp_nlt_f32_e32 vcc_lo, 0x42b17218, v8
	v_cndmask_b32_e32 v9, 0x7f800000, v9, vcc_lo
	v_cmp_ngt_f32_e32 vcc_lo, 0xc2ce8ed0, v0
	v_fmac_f32_e32 v13, 0x32a5705f, v0
	s_delay_alu instid0(VALU_DEP_1) | instskip(NEXT) | instid1(VALU_DEP_1)
	v_add_f32_e32 v10, v10, v13
	v_exp_f32_e32 v10, v10
	s_waitcnt_depctr 0xfff
	v_ldexp_f32 v10, v10, v11
	s_delay_alu instid0(VALU_DEP_1)
	v_dual_mov_b32 v11, v6 :: v_dual_cndmask_b32 v10, 0, v10
	v_cmp_le_f32_e32 vcc_lo, 0xc1a00000, v8
	s_waitcnt vmcnt(1)
	v_dual_cndmask_b32 v8, 0, v9 :: v_dual_mov_b32 v9, v5
	v_cmp_nlt_f32_e32 vcc_lo, 0x42b17218, v0
	v_cndmask_b32_e32 v5, 0x7f800000, v10, vcc_lo
	s_delay_alu instid0(VALU_DEP_3) | instskip(SKIP_2) | instid1(VALU_DEP_3)
	v_mul_f32_e32 v10, s11, v8
	v_cmp_le_f32_e32 vcc_lo, 0xc1a00000, v0
	v_mov_b32_e32 v0, v7
	v_mov_b32_e32 v6, v10
	s_waitcnt vmcnt(0)
	v_dual_cndmask_b32 v12, 0, v5 :: v_dual_mul_f32 v5, v4, v8
	s_delay_alu instid0(VALU_DEP_1) | instskip(NEXT) | instid1(VALU_DEP_2)
	v_dual_fmac_f32 v6, v11, v12 :: v_dual_add_nc_u32 v3, 0xffffe000, v3
	v_fmac_f32_e32 v5, v9, v12
	s_cbranch_scc0 .LBB2_3
	s_branch .LBB2_5
.LBB2_4:
	s_waitcnt lgkmcnt(0)
	v_mov_b32_e32 v6, s11
.LBB2_5:
	s_waitcnt vmcnt(0)
	s_delay_alu instid0(VALU_DEP_1) | instskip(NEXT) | instid1(VALU_DEP_1)
	v_div_scale_f32 v0, null, v6, v6, v5
	v_rcp_f32_e32 v3, v0
	s_waitcnt_depctr 0xfff
	v_fma_f32 v4, -v0, v3, 1.0
	s_delay_alu instid0(VALU_DEP_1) | instskip(SKIP_1) | instid1(VALU_DEP_1)
	v_fmac_f32_e32 v3, v4, v3
	v_div_scale_f32 v4, vcc_lo, v5, v6, v5
	v_mul_f32_e32 v7, v4, v3
	s_delay_alu instid0(VALU_DEP_1) | instskip(NEXT) | instid1(VALU_DEP_1)
	v_fma_f32 v8, -v0, v7, v4
	v_fmac_f32_e32 v7, v8, v3
	s_delay_alu instid0(VALU_DEP_1) | instskip(NEXT) | instid1(VALU_DEP_1)
	v_fma_f32 v0, -v0, v7, v4
	v_div_fmas_f32 v0, v0, v3, v7
	s_delay_alu instid0(VALU_DEP_1)
	v_div_fixup_f32 v0, v0, v6, v5
	global_store_b32 v[1:2], v0, off
.LBB2_6:
	s_nop 0
	s_sendmsg sendmsg(MSG_DEALLOC_VGPRS)
	s_endpgm
	.section	.rodata,"a",@progbits
	.p2align	6, 0x0
	.amdhsa_kernel _ZL33flash_attn_stream_k_fixup_uniformILi128ELi8ELi8EEvPfPK15HIP_vector_typeIfLj2EEiiiiiiS1_IjLj3EES5_S5_
		.amdhsa_group_segment_fixed_size 0
		.amdhsa_private_segment_fixed_size 0
		.amdhsa_kernarg_size 76
		.amdhsa_user_sgpr_count 13
		.amdhsa_user_sgpr_dispatch_ptr 0
		.amdhsa_user_sgpr_queue_ptr 0
		.amdhsa_user_sgpr_kernarg_segment_ptr 1
		.amdhsa_user_sgpr_dispatch_id 0
		.amdhsa_user_sgpr_private_segment_size 0
		.amdhsa_wavefront_size32 1
		.amdhsa_uses_dynamic_stack 0
		.amdhsa_enable_private_segment 0
		.amdhsa_system_sgpr_workgroup_id_x 1
		.amdhsa_system_sgpr_workgroup_id_y 1
		.amdhsa_system_sgpr_workgroup_id_z 1
		.amdhsa_system_sgpr_workgroup_info 0
		.amdhsa_system_vgpr_workitem_id 0
		.amdhsa_next_free_vgpr 15
		.amdhsa_next_free_sgpr 20
		.amdhsa_reserve_vcc 1
		.amdhsa_float_round_mode_32 0
		.amdhsa_float_round_mode_16_64 0
		.amdhsa_float_denorm_mode_32 3
		.amdhsa_float_denorm_mode_16_64 3
		.amdhsa_dx10_clamp 1
		.amdhsa_ieee_mode 1
		.amdhsa_fp16_overflow 0
		.amdhsa_workgroup_processor_mode 1
		.amdhsa_memory_ordered 1
		.amdhsa_forward_progress 0
		.amdhsa_shared_vgpr_count 0
		.amdhsa_exception_fp_ieee_invalid_op 0
		.amdhsa_exception_fp_denorm_src 0
		.amdhsa_exception_fp_ieee_div_zero 0
		.amdhsa_exception_fp_ieee_overflow 0
		.amdhsa_exception_fp_ieee_underflow 0
		.amdhsa_exception_fp_ieee_inexact 0
		.amdhsa_exception_int_div_zero 0
	.end_amdhsa_kernel
	.section	.text._ZL33flash_attn_stream_k_fixup_uniformILi128ELi8ELi8EEvPfPK15HIP_vector_typeIfLj2EEiiiiiiS1_IjLj3EES5_S5_,"axG",@progbits,_ZL33flash_attn_stream_k_fixup_uniformILi128ELi8ELi8EEvPfPK15HIP_vector_typeIfLj2EEiiiiiiS1_IjLj3EES5_S5_,comdat
.Lfunc_end2:
	.size	_ZL33flash_attn_stream_k_fixup_uniformILi128ELi8ELi8EEvPfPK15HIP_vector_typeIfLj2EEiiiiiiS1_IjLj3EES5_S5_, .Lfunc_end2-_ZL33flash_attn_stream_k_fixup_uniformILi128ELi8ELi8EEvPfPK15HIP_vector_typeIfLj2EEiiiiiiS1_IjLj3EES5_S5_
                                        ; -- End function
	.section	.AMDGPU.csdata,"",@progbits
; Kernel info:
; codeLenInByte = 996
; NumSgprs: 22
; NumVgprs: 15
; ScratchSize: 0
; MemoryBound: 0
; FloatMode: 240
; IeeeMode: 1
; LDSByteSize: 0 bytes/workgroup (compile time only)
; SGPRBlocks: 2
; VGPRBlocks: 1
; NumSGPRsForWavesPerEU: 22
; NumVGPRsForWavesPerEU: 15
; Occupancy: 16
; WaveLimiterHint : 0
; COMPUTE_PGM_RSRC2:SCRATCH_EN: 0
; COMPUTE_PGM_RSRC2:USER_SGPR: 13
; COMPUTE_PGM_RSRC2:TRAP_HANDLER: 0
; COMPUTE_PGM_RSRC2:TGID_X_EN: 1
; COMPUTE_PGM_RSRC2:TGID_Y_EN: 1
; COMPUTE_PGM_RSRC2:TGID_Z_EN: 1
; COMPUTE_PGM_RSRC2:TIDIG_COMP_CNT: 0
	.section	.text._ZL33flash_attn_stream_k_fixup_generalILi128ELi8ELi8EEvPfPK15HIP_vector_typeIfLj2EEiiiiS1_IjLj3EES5_S5_S5_,"axG",@progbits,_ZL33flash_attn_stream_k_fixup_generalILi128ELi8ELi8EEvPfPK15HIP_vector_typeIfLj2EEiiiiS1_IjLj3EES5_S5_S5_,comdat
	.globl	_ZL33flash_attn_stream_k_fixup_generalILi128ELi8ELi8EEvPfPK15HIP_vector_typeIfLj2EEiiiiS1_IjLj3EES5_S5_S5_ ; -- Begin function _ZL33flash_attn_stream_k_fixup_generalILi128ELi8ELi8EEvPfPK15HIP_vector_typeIfLj2EEiiiiS1_IjLj3EES5_S5_S5_
	.p2align	8
	.type	_ZL33flash_attn_stream_k_fixup_generalILi128ELi8ELi8EEvPfPK15HIP_vector_typeIfLj2EEiiiiS1_IjLj3EES5_S5_S5_,@function
_ZL33flash_attn_stream_k_fixup_generalILi128ELi8ELi8EEvPfPK15HIP_vector_typeIfLj2EEiiiiS1_IjLj3EES5_S5_S5_: ; @_ZL33flash_attn_stream_k_fixup_generalILi128ELi8ELi8EEvPfPK15HIP_vector_typeIfLj2EEiiiiS1_IjLj3EES5_S5_S5_
; %bb.0:
	s_clause 0x1
	s_load_b128 s[4:7], s[0:1], 0x10
	s_load_b32 s20, s[0:1], 0x50
	s_mov_b32 s2, 0
	s_waitcnt lgkmcnt(0)
	s_mul_hi_i32 s3, s7, s13
	s_mul_i32 s12, s7, s13
	s_cmp_lg_u64 s[2:3], 0
	s_cbranch_scc0 .LBB3_21
; %bb.1:
	v_cvt_f32_ubyte0_e32 v1, 0
	v_cvt_f32_u32_e32 v2, s20
	s_sub_u32 s10, 0, s20
	s_subb_u32 s11, 0, 0
	s_delay_alu instid0(VALU_DEP_1) | instskip(NEXT) | instid1(VALU_DEP_1)
	v_fmamk_f32 v1, v1, 0x4f800000, v2
	v_rcp_f32_e32 v1, v1
	s_waitcnt_depctr 0xfff
	v_mul_f32_e32 v1, 0x5f7ffffc, v1
	s_delay_alu instid0(VALU_DEP_1) | instskip(NEXT) | instid1(VALU_DEP_1)
	v_mul_f32_e32 v2, 0x2f800000, v1
	v_trunc_f32_e32 v2, v2
	s_delay_alu instid0(VALU_DEP_1) | instskip(SKIP_1) | instid1(VALU_DEP_2)
	v_fmamk_f32 v1, v2, 0xcf800000, v1
	v_cvt_u32_f32_e32 v2, v2
	v_cvt_u32_f32_e32 v1, v1
	s_delay_alu instid0(VALU_DEP_2) | instskip(NEXT) | instid1(VALU_DEP_2)
	v_readfirstlane_b32 s8, v2
	v_readfirstlane_b32 s9, v1
	s_delay_alu instid0(VALU_DEP_2) | instskip(NEXT) | instid1(VALU_DEP_1)
	s_mul_i32 s16, s10, s8
	s_mul_hi_u32 s18, s10, s9
	s_mul_i32 s17, s11, s9
	s_add_i32 s16, s18, s16
	s_mul_i32 s19, s10, s9
	s_add_i32 s16, s16, s17
	s_mul_hi_u32 s18, s9, s19
	s_mul_hi_u32 s21, s8, s19
	s_mul_i32 s17, s8, s19
	s_mul_hi_u32 s19, s9, s16
	s_mul_i32 s9, s9, s16
	s_mul_hi_u32 s22, s8, s16
	s_add_u32 s9, s18, s9
	s_addc_u32 s18, 0, s19
	s_add_u32 s9, s9, s17
	s_mul_i32 s16, s8, s16
	s_addc_u32 s9, s18, s21
	s_addc_u32 s17, s22, 0
	s_add_u32 s9, s9, s16
	s_addc_u32 s16, 0, s17
	v_add_co_u32 v1, s9, v1, s9
	s_delay_alu instid0(VALU_DEP_1) | instskip(SKIP_1) | instid1(VALU_DEP_1)
	s_cmp_lg_u32 s9, 0
	s_addc_u32 s8, s8, s16
	v_readfirstlane_b32 s9, v1
	s_mul_i32 s16, s10, s8
	s_delay_alu instid0(VALU_DEP_1)
	s_mul_hi_u32 s17, s10, s9
	s_mul_i32 s11, s11, s9
	s_add_i32 s16, s17, s16
	s_mul_i32 s10, s10, s9
	s_add_i32 s16, s16, s11
	s_mul_hi_u32 s17, s8, s10
	s_mul_i32 s18, s8, s10
	s_mul_hi_u32 s10, s9, s10
	s_mul_hi_u32 s19, s9, s16
	s_mul_i32 s9, s9, s16
	s_mul_hi_u32 s11, s8, s16
	s_add_u32 s9, s10, s9
	s_addc_u32 s10, 0, s19
	s_add_u32 s9, s9, s18
	s_mul_i32 s16, s8, s16
	s_addc_u32 s9, s10, s17
	s_addc_u32 s10, s11, 0
	s_add_u32 s9, s9, s16
	s_addc_u32 s10, 0, s10
	v_add_co_u32 v1, s9, v1, s9
	s_delay_alu instid0(VALU_DEP_1) | instskip(SKIP_2) | instid1(SALU_CYCLE_1)
	s_cmp_lg_u32 s9, 0
	s_addc_u32 s16, s8, s10
	s_ashr_i32 s8, s3, 31
	s_add_u32 s10, s12, s8
	s_addc_u32 s11, s3, s8
	v_readfirstlane_b32 s3, v1
	s_mov_b32 s9, s8
	s_delay_alu instid0(SALU_CYCLE_1) | instskip(NEXT) | instid1(SALU_CYCLE_1)
	s_xor_b64 s[10:11], s[10:11], s[8:9]
	s_mul_i32 s18, s10, s16
	s_delay_alu instid0(VALU_DEP_1)
	s_mul_hi_u32 s19, s10, s3
	s_mul_hi_u32 s17, s10, s16
	;; [unrolled: 1-line block ×3, first 2 shown]
	s_mul_i32 s3, s11, s3
	s_add_u32 s18, s19, s18
	s_addc_u32 s17, 0, s17
	s_mul_hi_u32 s21, s11, s16
	s_add_u32 s3, s18, s3
	s_mul_i32 s16, s11, s16
	s_addc_u32 s3, s17, s22
	s_addc_u32 s17, s21, 0
	s_add_u32 s3, s3, s16
	s_addc_u32 s16, 0, s17
	s_mul_i32 s18, s20, s3
	s_add_u32 s17, s3, 1
	v_sub_co_u32 v1, s10, s10, s18
	s_mul_hi_u32 s18, s20, s3
	s_addc_u32 s19, s16, 0
	s_mul_i32 s21, s20, s16
	s_delay_alu instid0(VALU_DEP_1)
	v_sub_co_u32 v2, s22, v1, s20
	s_add_u32 s23, s3, 2
	s_addc_u32 s24, s16, 0
	s_add_i32 s18, s18, s21
	s_cmp_lg_u32 s10, 0
	v_readfirstlane_b32 s10, v2
	s_subb_u32 s11, s11, s18
	s_cmp_lg_u32 s22, 0
	s_subb_u32 s18, s11, 0
	s_delay_alu instid0(VALU_DEP_1) | instskip(SKIP_4) | instid1(SALU_CYCLE_1)
	s_cmp_ge_u32 s10, s20
	s_cselect_b32 s10, -1, 0
	s_cmp_eq_u32 s18, 0
	v_readfirstlane_b32 s18, v1
	s_cselect_b32 s10, s10, -1
	s_cmp_lg_u32 s10, 0
	s_cselect_b32 s10, s23, s17
	s_cselect_b32 s17, s24, s19
	s_cmp_ge_u32 s18, s20
	s_cselect_b32 s18, -1, 0
	s_cmp_eq_u32 s11, 0
	s_cselect_b32 s11, s18, -1
	s_delay_alu instid0(SALU_CYCLE_1) | instskip(SKIP_2) | instid1(SALU_CYCLE_1)
	s_cmp_lg_u32 s11, 0
	s_cselect_b32 s11, s17, s16
	s_cselect_b32 s10, s10, s3
	s_xor_b64 s[10:11], s[10:11], s[8:9]
	s_delay_alu instid0(SALU_CYCLE_1)
	s_sub_u32 s16, s10, s8
	s_load_b128 s[8:11], s[0:1], 0x44
	s_and_not1_b32 vcc_lo, exec_lo, s2
	s_cbranch_vccnz .LBB3_3
.LBB3_2:
	v_cvt_f32_u32_e32 v1, s20
	s_sub_i32 s3, 0, s20
	s_delay_alu instid0(VALU_DEP_1) | instskip(SKIP_2) | instid1(VALU_DEP_1)
	v_rcp_iflag_f32_e32 v1, v1
	s_waitcnt_depctr 0xfff
	v_mul_f32_e32 v1, 0x4f7ffffe, v1
	v_cvt_u32_f32_e32 v1, v1
	s_delay_alu instid0(VALU_DEP_1) | instskip(NEXT) | instid1(VALU_DEP_1)
	v_readfirstlane_b32 s2, v1
	s_mul_i32 s3, s3, s2
	s_delay_alu instid0(SALU_CYCLE_1) | instskip(NEXT) | instid1(SALU_CYCLE_1)
	s_mul_hi_u32 s3, s2, s3
	s_add_i32 s2, s2, s3
	s_delay_alu instid0(SALU_CYCLE_1) | instskip(NEXT) | instid1(SALU_CYCLE_1)
	s_mul_hi_u32 s2, s12, s2
	s_mul_i32 s3, s2, s20
	s_waitcnt lgkmcnt(0)
	s_add_i32 s11, s2, 1
	s_sub_i32 s3, s12, s3
	s_delay_alu instid0(SALU_CYCLE_1)
	s_sub_i32 s12, s3, s20
	s_cmp_ge_u32 s3, s20
	s_cselect_b32 s2, s11, s2
	s_cselect_b32 s3, s12, s3
	s_add_i32 s11, s2, 1
	s_cmp_ge_u32 s3, s20
	s_cselect_b32 s16, s11, s2
.LBB3_3:
	s_waitcnt lgkmcnt(0)
	s_add_i32 s11, s13, 1
	s_mov_b32 s2, 0
	s_mul_hi_i32 s3, s7, s11
	s_mul_i32 s11, s7, s11
	s_cmp_lg_u64 s[2:3], 0
	s_cbranch_scc0 .LBB3_22
; %bb.4:
	v_cvt_f32_ubyte0_e32 v1, 0
	v_cvt_f32_u32_e32 v2, s20
	s_sub_u32 s18, 0, s20
	s_subb_u32 s19, 0, 0
	s_delay_alu instid0(VALU_DEP_1) | instskip(NEXT) | instid1(VALU_DEP_1)
	v_fmamk_f32 v1, v1, 0x4f800000, v2
	v_rcp_f32_e32 v1, v1
	s_waitcnt_depctr 0xfff
	v_mul_f32_e32 v1, 0x5f7ffffc, v1
	s_delay_alu instid0(VALU_DEP_1) | instskip(NEXT) | instid1(VALU_DEP_1)
	v_mul_f32_e32 v2, 0x2f800000, v1
	v_trunc_f32_e32 v2, v2
	s_delay_alu instid0(VALU_DEP_1) | instskip(SKIP_1) | instid1(VALU_DEP_2)
	v_fmamk_f32 v1, v2, 0xcf800000, v1
	v_cvt_u32_f32_e32 v2, v2
	v_cvt_u32_f32_e32 v1, v1
	s_delay_alu instid0(VALU_DEP_2) | instskip(NEXT) | instid1(VALU_DEP_2)
	v_readfirstlane_b32 s12, v2
	v_readfirstlane_b32 s17, v1
	s_delay_alu instid0(VALU_DEP_2) | instskip(NEXT) | instid1(VALU_DEP_1)
	s_mul_i32 s21, s18, s12
	s_mul_hi_u32 s23, s18, s17
	s_mul_i32 s22, s19, s17
	s_add_i32 s21, s23, s21
	s_mul_i32 s24, s18, s17
	s_add_i32 s21, s21, s22
	s_mul_hi_u32 s23, s17, s24
	s_mul_hi_u32 s25, s12, s24
	s_mul_i32 s22, s12, s24
	s_mul_hi_u32 s24, s17, s21
	s_mul_i32 s17, s17, s21
	s_mul_hi_u32 s26, s12, s21
	s_add_u32 s17, s23, s17
	s_addc_u32 s23, 0, s24
	s_add_u32 s17, s17, s22
	s_mul_i32 s21, s12, s21
	s_addc_u32 s17, s23, s25
	s_addc_u32 s22, s26, 0
	s_add_u32 s17, s17, s21
	s_addc_u32 s21, 0, s22
	v_add_co_u32 v1, s17, v1, s17
	s_delay_alu instid0(VALU_DEP_1) | instskip(SKIP_1) | instid1(VALU_DEP_1)
	s_cmp_lg_u32 s17, 0
	s_addc_u32 s12, s12, s21
	v_readfirstlane_b32 s17, v1
	s_mul_i32 s21, s18, s12
	s_delay_alu instid0(VALU_DEP_1)
	s_mul_hi_u32 s22, s18, s17
	s_mul_i32 s19, s19, s17
	s_add_i32 s21, s22, s21
	s_mul_i32 s18, s18, s17
	s_add_i32 s21, s21, s19
	s_mul_hi_u32 s22, s12, s18
	s_mul_i32 s23, s12, s18
	s_mul_hi_u32 s18, s17, s18
	s_mul_hi_u32 s24, s17, s21
	s_mul_i32 s17, s17, s21
	s_mul_hi_u32 s19, s12, s21
	s_add_u32 s17, s18, s17
	s_addc_u32 s18, 0, s24
	s_add_u32 s17, s17, s23
	s_mul_i32 s21, s12, s21
	s_addc_u32 s17, s18, s22
	s_addc_u32 s18, s19, 0
	s_add_u32 s17, s17, s21
	s_addc_u32 s18, 0, s18
	v_add_co_u32 v1, s17, v1, s17
	s_delay_alu instid0(VALU_DEP_1) | instskip(SKIP_2) | instid1(SALU_CYCLE_1)
	s_cmp_lg_u32 s17, 0
	s_addc_u32 s12, s12, s18
	s_ashr_i32 s18, s3, 31
	s_add_u32 s22, s11, s18
	s_addc_u32 s23, s3, s18
	v_readfirstlane_b32 s3, v1
	s_mov_b32 s19, s18
	s_delay_alu instid0(SALU_CYCLE_1) | instskip(NEXT) | instid1(SALU_CYCLE_1)
	s_xor_b64 s[22:23], s[22:23], s[18:19]
	s_mul_i32 s21, s22, s12
	s_delay_alu instid0(VALU_DEP_1)
	s_mul_hi_u32 s24, s22, s3
	s_mul_hi_u32 s17, s22, s12
	;; [unrolled: 1-line block ×3, first 2 shown]
	s_mul_i32 s3, s23, s3
	s_add_u32 s21, s24, s21
	s_addc_u32 s17, 0, s17
	s_mul_hi_u32 s25, s23, s12
	s_add_u32 s3, s21, s3
	s_mul_i32 s12, s23, s12
	s_addc_u32 s3, s17, s26
	s_addc_u32 s17, s25, 0
	s_add_u32 s3, s3, s12
	s_addc_u32 s12, 0, s17
	s_mul_i32 s21, s20, s3
	s_add_u32 s17, s3, 1
	v_sub_co_u32 v1, s21, s22, s21
	s_mul_hi_u32 s22, s20, s3
	s_addc_u32 s24, s12, 0
	s_mul_i32 s25, s20, s12
	s_delay_alu instid0(VALU_DEP_1)
	v_sub_co_u32 v2, s26, v1, s20
	s_add_u32 s27, s3, 2
	s_addc_u32 s28, s12, 0
	s_add_i32 s22, s22, s25
	s_cmp_lg_u32 s21, 0
	v_readfirstlane_b32 s21, v2
	s_subb_u32 s22, s23, s22
	s_cmp_lg_u32 s26, 0
	s_subb_u32 s23, s22, 0
	s_delay_alu instid0(VALU_DEP_1) | instskip(SKIP_4) | instid1(SALU_CYCLE_1)
	s_cmp_ge_u32 s21, s20
	s_cselect_b32 s21, -1, 0
	s_cmp_eq_u32 s23, 0
	v_readfirstlane_b32 s23, v1
	s_cselect_b32 s21, s21, -1
	s_cmp_lg_u32 s21, 0
	s_cselect_b32 s17, s27, s17
	s_cselect_b32 s21, s28, s24
	s_cmp_ge_u32 s23, s20
	s_cselect_b32 s23, -1, 0
	s_cmp_eq_u32 s22, 0
	s_cselect_b32 s22, s23, -1
	s_delay_alu instid0(SALU_CYCLE_1) | instskip(SKIP_2) | instid1(SALU_CYCLE_1)
	s_cmp_lg_u32 s22, 0
	s_cselect_b32 s23, s21, s12
	s_cselect_b32 s22, s17, s3
	s_xor_b64 s[22:23], s[22:23], s[18:19]
	s_delay_alu instid0(SALU_CYCLE_1)
	s_sub_u32 s18, s22, s18
	s_and_not1_b32 vcc_lo, exec_lo, s2
	s_cbranch_vccnz .LBB3_6
.LBB3_5:
	v_cvt_f32_u32_e32 v1, s20
	s_sub_i32 s3, 0, s20
	s_delay_alu instid0(VALU_DEP_1) | instskip(SKIP_2) | instid1(VALU_DEP_1)
	v_rcp_iflag_f32_e32 v1, v1
	s_waitcnt_depctr 0xfff
	v_mul_f32_e32 v1, 0x4f7ffffe, v1
	v_cvt_u32_f32_e32 v1, v1
	s_delay_alu instid0(VALU_DEP_1) | instskip(NEXT) | instid1(VALU_DEP_1)
	v_readfirstlane_b32 s2, v1
	s_mul_i32 s3, s3, s2
	s_delay_alu instid0(SALU_CYCLE_1) | instskip(NEXT) | instid1(SALU_CYCLE_1)
	s_mul_hi_u32 s3, s2, s3
	s_add_i32 s2, s2, s3
	s_delay_alu instid0(SALU_CYCLE_1) | instskip(NEXT) | instid1(SALU_CYCLE_1)
	s_mul_hi_u32 s2, s11, s2
	s_mul_i32 s3, s2, s20
	s_delay_alu instid0(SALU_CYCLE_1)
	s_sub_i32 s3, s11, s3
	s_add_i32 s11, s2, 1
	s_sub_i32 s12, s3, s20
	s_cmp_ge_u32 s3, s20
	s_cselect_b32 s2, s11, s2
	s_cselect_b32 s3, s12, s3
	s_add_i32 s11, s2, 1
	s_cmp_ge_u32 s3, s20
	s_cselect_b32 s18, s11, s2
.LBB3_6:
	s_delay_alu instid0(SALU_CYCLE_1) | instskip(SKIP_3) | instid1(SALU_CYCLE_1)
	s_cmp_eq_u32 s16, s18
	s_mul_hi_u32 s2, s16, s8
	s_cselect_b32 s3, -1, 0
	s_add_i32 s2, s2, s16
	s_lshr_b32 s11, s2, s9
	s_delay_alu instid0(SALU_CYCLE_1) | instskip(NEXT) | instid1(SALU_CYCLE_1)
	s_mul_i32 s2, s11, s10
	s_cmp_eq_u32 s2, s16
	s_mul_hi_u32 s2, s18, s8
	s_cselect_b32 s12, -1, 0
	s_add_i32 s2, s2, s18
	s_delay_alu instid0(SALU_CYCLE_1) | instskip(NEXT) | instid1(SALU_CYCLE_1)
	s_lshr_b32 s2, s2, s9
	s_cmp_eq_u32 s11, s2
	s_mul_i32 s2, s2, s10
	s_cselect_b32 s17, -1, 0
	s_cmp_lg_u32 s2, s18
	s_cselect_b32 s2, -1, 0
	s_or_b32 s3, s3, s12
	s_and_b32 s2, s17, s2
	s_delay_alu instid0(SALU_CYCLE_1) | instskip(NEXT) | instid1(SALU_CYCLE_1)
	s_or_b32 s2, s3, s2
	s_and_b32 vcc_lo, exec_lo, s2
	s_cbranch_vccnz .LBB3_24
; %bb.7:
	s_load_b256 s[24:31], s[0:1], 0x20
	s_waitcnt lgkmcnt(0)
	s_mul_hi_u32 s2, s16, s24
	s_delay_alu instid0(SALU_CYCLE_1) | instskip(NEXT) | instid1(SALU_CYCLE_1)
	s_add_i32 s2, s2, s16
	s_lshr_b32 s17, s2, s25
	s_load_b32 s2, s[0:1], 0x40
	s_mul_i32 s3, s17, s26
	s_delay_alu instid0(SALU_CYCLE_1) | instskip(NEXT) | instid1(SALU_CYCLE_1)
	s_sub_i32 s3, s16, s3
	s_mul_hi_u32 s12, s3, s27
	s_delay_alu instid0(SALU_CYCLE_1) | instskip(NEXT) | instid1(SALU_CYCLE_1)
	s_add_i32 s12, s3, s12
	s_lshr_b32 s21, s12, s28
	s_delay_alu instid0(SALU_CYCLE_1) | instskip(NEXT) | instid1(SALU_CYCLE_1)
	s_mul_i32 s12, s21, s29
	s_sub_i32 s3, s3, s12
	s_delay_alu instid0(SALU_CYCLE_1) | instskip(NEXT) | instid1(SALU_CYCLE_1)
	s_mul_hi_u32 s12, s3, s30
	s_add_i32 s12, s3, s12
	s_delay_alu instid0(SALU_CYCLE_1)
	s_lshr_b32 s12, s12, s31
	s_waitcnt lgkmcnt(0)
	s_mul_i32 s2, s12, s2
	s_lshl_b32 s23, s12, 3
	s_sub_i32 s2, s3, s2
	s_mov_b32 s12, 0
	s_mul_hi_u32 s3, s2, s8
	s_delay_alu instid0(SALU_CYCLE_1) | instskip(NEXT) | instid1(SALU_CYCLE_1)
	s_add_i32 s2, s2, s3
	s_lshr_b32 s22, s2, s9
	s_delay_alu instid0(SALU_CYCLE_1) | instskip(NEXT) | instid1(SALU_CYCLE_1)
	s_lshl_b32 s2, s22, 3
	s_add_i32 s2, s2, s14
	s_delay_alu instid0(SALU_CYCLE_1) | instskip(SKIP_2) | instid1(SALU_CYCLE_1)
	s_cmp_lt_i32 s2, s4
	s_cselect_b32 s2, -1, 0
	s_add_i32 s3, s23, s15
	s_cmp_lt_i32 s3, s6
	s_cselect_b32 s3, -1, 0
	s_delay_alu instid0(SALU_CYCLE_1) | instskip(NEXT) | instid1(SALU_CYCLE_1)
	s_and_b32 s2, s2, s3
	s_and_not1_b32 vcc_lo, exec_lo, s2
	s_cbranch_vccnz .LBB3_24
; %bb.8:
	s_load_b128 s[0:3], s[0:1], 0x0
	s_lshl_b32 s18, s20, 8
	s_mov_b32 s19, s12
	s_lshl_b32 s24, s14, 3
	s_lshl_b64 s[18:19], s[18:19], 2
	s_mul_i32 s4, s17, s4
	s_add_i32 s17, s24, s15
	s_mul_i32 s21, s21, s6
	v_cvt_f32_ubyte0_e32 v4, 0
	v_cvt_f32_u32_e32 v5, s20
	s_waitcnt lgkmcnt(0)
	s_add_u32 s18, s2, s18
	s_addc_u32 s19, s3, s19
	s_add_i32 s4, s4, s14
	s_delay_alu instid0(SALU_CYCLE_1) | instskip(SKIP_4) | instid1(SALU_CYCLE_1)
	s_mul_i32 s4, s4, s5
	s_mul_i32 s5, s5, s22
	s_add_i32 s4, s4, s15
	s_lshl_b32 s5, s5, 10
	s_add_i32 s4, s4, s21
	s_add_i32 s4, s4, s23
	s_delay_alu instid0(SALU_CYCLE_1) | instskip(NEXT) | instid1(SALU_CYCLE_1)
	s_lshl_b32 s4, s4, 7
	s_add_i32 s5, s5, s4
	s_delay_alu instid0(SALU_CYCLE_1) | instskip(SKIP_1) | instid1(VALU_DEP_2)
	v_or_b32_e32 v1, s5, v0
	v_lshl_or_b32 v0, s17, 7, v0
	v_ashrrev_i32_e32 v2, 31, v1
	s_delay_alu instid0(VALU_DEP_1) | instskip(NEXT) | instid1(VALU_DEP_1)
	v_lshlrev_b64 v[1:2], 2, v[1:2]
	v_add_co_u32 v1, vcc_lo, s0, v1
	s_delay_alu instid0(VALU_DEP_2) | instskip(SKIP_1) | instid1(SALU_CYCLE_1)
	v_add_co_ci_u32_e32 v2, vcc_lo, s1, v2, vcc_lo
	s_lshl_b32 s0, s13, 6
	s_add_i32 s0, s17, s0
	global_load_b32 v3, v[1:2], off
	s_ashr_i32 s1, s0, 31
	s_delay_alu instid0(SALU_CYCLE_1) | instskip(NEXT) | instid1(SALU_CYCLE_1)
	s_lshl_b64 s[0:1], s[0:1], 3
	s_add_u32 s0, s2, s0
	s_addc_u32 s1, s3, s1
	s_add_i32 s14, s13, -1
	s_load_b64 s[0:1], s[0:1], 0x0
	v_fmac_f32_e32 v5, 0x4f800000, v4
	s_sub_i32 s6, 0, s20
	s_waitcnt lgkmcnt(0)
	v_mov_b32_e32 v8, s0
	s_delay_alu instid0(VALU_DEP_2) | instskip(SKIP_2) | instid1(VALU_DEP_2)
	v_rcp_f32_e32 v4, v5
	v_cvt_f32_u32_e32 v5, s20
	v_mov_b32_e32 v7, s1
	v_rcp_iflag_f32_e32 v5, v5
	s_waitcnt_depctr 0xfff
	v_mul_f32_e32 v4, 0x5f7ffffc, v4
	s_delay_alu instid0(VALU_DEP_1) | instskip(SKIP_1) | instid1(VALU_DEP_2)
	v_mul_f32_e32 v6, 0x2f800000, v4
	v_mul_f32_e32 v9, 0x4f7ffffe, v5
	v_trunc_f32_e32 v6, v6
	s_delay_alu instid0(VALU_DEP_1) | instskip(SKIP_1) | instid1(VALU_DEP_4)
	v_fmac_f32_e32 v4, 0xcf800000, v6
	v_cvt_u32_f32_e32 v5, v6
	v_cvt_u32_f32_e32 v6, v9
	s_delay_alu instid0(VALU_DEP_3)
	v_cvt_u32_f32_e32 v4, v4
.LBB3_9:                                ; =>This Inner Loop Header: Depth=1
	s_mul_hi_i32 s13, s14, s7
	s_mul_i32 s4, s14, s7
	s_cmp_lg_u64 s[12:13], 0
	s_mov_b32 s5, -1
                                        ; implicit-def: $sgpr0_sgpr1
	s_cbranch_scc0 .LBB3_11
; %bb.10:                               ;   in Loop: Header=BB3_9 Depth=1
	v_readfirstlane_b32 s0, v4
	v_readfirstlane_b32 s1, v5
	s_sub_u32 s5, 0, s20
	s_subb_u32 s15, 0, 0
	s_delay_alu instid0(VALU_DEP_2) | instskip(NEXT) | instid1(VALU_DEP_1)
	s_mul_hi_u32 s21, s5, s0
	s_mul_i32 s22, s5, s1
	s_mul_i32 s23, s15, s0
	s_add_i32 s21, s21, s22
	s_mul_i32 s22, s5, s0
	s_add_i32 s21, s21, s23
	s_mul_hi_u32 s23, s0, s22
	s_mul_i32 s24, s0, s21
	s_mul_hi_u32 s0, s0, s21
	s_add_u32 s23, s23, s24
	s_mul_i32 s25, s1, s22
	s_addc_u32 s0, 0, s0
	s_mul_hi_u32 s22, s1, s22
	s_mul_hi_u32 s24, s1, s21
	s_add_u32 s23, s23, s25
	s_addc_u32 s0, s0, s22
	s_mul_i32 s21, s1, s21
	s_addc_u32 s22, s24, 0
	s_add_u32 s0, s0, s21
	s_addc_u32 s21, 0, s22
	v_add_co_u32 v9, s0, v4, s0
	s_delay_alu instid0(VALU_DEP_1) | instskip(SKIP_1) | instid1(VALU_DEP_1)
	s_cmp_lg_u32 s0, 0
	s_addc_u32 s1, s1, s21
	v_readfirstlane_b32 s0, v9
	s_mul_i32 s21, s5, s1
	s_delay_alu instid0(VALU_DEP_1)
	s_mul_hi_u32 s22, s5, s0
	s_mul_i32 s15, s15, s0
	s_add_i32 s21, s22, s21
	s_mul_i32 s5, s5, s0
	s_add_i32 s21, s21, s15
	s_mul_hi_u32 s15, s1, s5
	s_mul_i32 s23, s1, s5
	s_mul_i32 s24, s0, s21
	s_mul_hi_u32 s5, s0, s5
	s_mul_hi_u32 s0, s0, s21
	s_add_u32 s5, s5, s24
	s_addc_u32 s0, 0, s0
	s_mul_hi_u32 s22, s1, s21
	s_add_u32 s5, s5, s23
	s_addc_u32 s0, s0, s15
	s_mul_i32 s5, s1, s21
	s_addc_u32 s15, s22, 0
	s_add_u32 s0, s0, s5
	s_addc_u32 s5, 0, s15
	v_add_co_u32 v9, s0, v9, s0
	s_delay_alu instid0(VALU_DEP_1) | instskip(SKIP_2) | instid1(SALU_CYCLE_1)
	s_cmp_lg_u32 s0, 0
	s_addc_u32 s5, s1, s5
	s_ashr_i32 s0, s13, 31
	s_add_u32 s22, s4, s0
	s_addc_u32 s23, s13, s0
	v_readfirstlane_b32 s13, v9
	s_mov_b32 s1, s0
	s_delay_alu instid0(SALU_CYCLE_1) | instskip(NEXT) | instid1(SALU_CYCLE_1)
	s_xor_b64 s[22:23], s[22:23], s[0:1]
	s_mul_i32 s15, s22, s5
	s_delay_alu instid0(VALU_DEP_1)
	s_mul_hi_u32 s21, s22, s13
	s_mul_hi_u32 s24, s22, s5
	s_add_u32 s15, s21, s15
	s_mul_i32 s25, s23, s13
	s_addc_u32 s21, 0, s24
	s_mul_hi_u32 s13, s23, s13
	s_mul_hi_u32 s24, s23, s5
	s_add_u32 s15, s15, s25
	s_addc_u32 s13, s21, s13
	s_mul_i32 s5, s23, s5
	s_addc_u32 s15, s24, 0
	s_add_u32 s5, s13, s5
	s_addc_u32 s13, 0, s15
	s_mul_i32 s21, s20, s5
	s_add_u32 s15, s5, 1
	v_sub_co_u32 v9, s21, s22, s21
	s_addc_u32 s22, s13, 0
	s_mul_i32 s25, s20, s13
	s_mul_hi_u32 s27, s20, s5
	s_delay_alu instid0(VALU_DEP_1)
	v_sub_co_u32 v10, s26, v9, s20
	s_add_u32 s24, s5, 2
	s_addc_u32 s28, s13, 0
	s_add_i32 s27, s27, s25
	s_cmp_lg_u32 s21, 0
	v_readfirstlane_b32 s21, v10
	s_subb_u32 s23, s23, s27
	s_cmp_lg_u32 s26, 0
	s_subb_u32 s25, s23, 0
	s_delay_alu instid0(VALU_DEP_1) | instskip(SKIP_4) | instid1(SALU_CYCLE_1)
	s_cmp_ge_u32 s21, s20
	s_cselect_b32 s21, -1, 0
	s_cmp_eq_u32 s25, 0
	v_readfirstlane_b32 s25, v9
	s_cselect_b32 s21, s21, -1
	s_cmp_lg_u32 s21, 0
	s_cselect_b32 s15, s24, s15
	s_cselect_b32 s21, s28, s22
	s_cmp_ge_u32 s25, s20
	s_cselect_b32 s22, -1, 0
	s_cmp_eq_u32 s23, 0
	s_cselect_b32 s22, s22, -1
	s_delay_alu instid0(SALU_CYCLE_1) | instskip(SKIP_4) | instid1(SALU_CYCLE_1)
	s_cmp_lg_u32 s22, 0
	s_cselect_b32 s23, s21, s13
	s_cselect_b32 s22, s15, s5
	s_mov_b32 s5, 0
	s_xor_b64 s[22:23], s[22:23], s[0:1]
	s_sub_u32 s0, s22, s0
.LBB3_11:                               ;   in Loop: Header=BB3_9 Depth=1
	s_and_not1_b32 vcc_lo, exec_lo, s5
	s_cbranch_vccnz .LBB3_13
; %bb.12:                               ;   in Loop: Header=BB3_9 Depth=1
	v_readfirstlane_b32 s0, v6
	s_delay_alu instid0(VALU_DEP_1) | instskip(NEXT) | instid1(SALU_CYCLE_1)
	s_mul_i32 s1, s6, s0
	s_mul_hi_u32 s1, s0, s1
	s_delay_alu instid0(SALU_CYCLE_1) | instskip(NEXT) | instid1(SALU_CYCLE_1)
	s_add_i32 s0, s0, s1
	s_mul_hi_u32 s0, s4, s0
	s_delay_alu instid0(SALU_CYCLE_1) | instskip(NEXT) | instid1(SALU_CYCLE_1)
	s_mul_i32 s1, s0, s20
	s_sub_i32 s1, s4, s1
	s_add_i32 s4, s0, 1
	s_sub_i32 s5, s1, s20
	s_cmp_ge_u32 s1, s20
	s_cselect_b32 s0, s4, s0
	s_cselect_b32 s1, s5, s1
	s_add_i32 s4, s0, 1
	s_cmp_ge_u32 s1, s20
	s_cselect_b32 s0, s4, s0
.LBB3_13:                               ;   in Loop: Header=BB3_9 Depth=1
	s_delay_alu instid0(SALU_CYCLE_1)
	s_cmp_lg_u32 s16, s0
	s_cbranch_scc0 .LBB3_17
; %bb.14:                               ;   in Loop: Header=BB3_9 Depth=1
	s_add_i32 s1, s14, s20
	s_mov_b32 s5, s12
	s_lshl_b32 s1, s1, 6
	s_mov_b32 s15, s16
	s_add_i32 s4, s1, s17
	s_mul_hi_u32 s1, s0, s8
	s_lshl_b64 s[4:5], s[4:5], 3
	s_delay_alu instid0(SALU_CYCLE_1) | instskip(SKIP_2) | instid1(SALU_CYCLE_1)
	s_add_u32 s4, s2, s4
	s_addc_u32 s5, s3, s5
	s_add_i32 s1, s1, s0
	s_lshr_b32 s1, s1, s9
	s_delay_alu instid0(SALU_CYCLE_1) | instskip(NEXT) | instid1(SALU_CYCLE_1)
	s_mul_i32 s13, s1, s10
	s_cmp_eq_u32 s13, s0
	s_cselect_b32 s13, -1, 0
	s_cmp_lt_u32 s1, s11
	s_cselect_b32 s1, -1, 0
	s_delay_alu instid0(SALU_CYCLE_1)
	s_or_b32 s1, s1, s13
	s_mov_b32 s13, -1
	s_and_b32 vcc_lo, exec_lo, s1
	s_mov_b32 s1, s14
	s_cbranch_vccnz .LBB3_16
; %bb.15:                               ;   in Loop: Header=BB3_9 Depth=1
	s_add_i32 s1, s14, -1
	s_mov_b32 s13, 0
	s_mov_b32 s15, s0
.LBB3_16:                               ;   in Loop: Header=BB3_9 Depth=1
	v_lshl_add_u32 v9, s14, 13, v0
	s_load_b64 s[4:5], s[4:5], 0x0
	s_delay_alu instid0(VALU_DEP_1) | instskip(NEXT) | instid1(VALU_DEP_1)
	v_ashrrev_i32_e32 v10, 31, v9
	v_lshlrev_b64 v[9:10], 2, v[9:10]
	s_delay_alu instid0(VALU_DEP_1) | instskip(NEXT) | instid1(VALU_DEP_2)
	v_add_co_u32 v9, vcc_lo, s18, v9
	v_add_co_ci_u32_e32 v10, vcc_lo, s19, v10, vcc_lo
	s_waitcnt lgkmcnt(0)
	v_max_f32_e64 v11, s4, s4
	global_load_b32 v10, v[9:10], off
	v_max_f32_e32 v9, v8, v8
	s_delay_alu instid0(VALU_DEP_1) | instskip(NEXT) | instid1(VALU_DEP_1)
	v_max_f32_e32 v9, v9, v11
	v_sub_f32_e32 v12, v8, v9
	s_delay_alu instid0(VALU_DEP_1) | instskip(NEXT) | instid1(VALU_DEP_1)
	v_dual_mul_f32 v14, 0x3fb8aa3b, v12 :: v_dual_sub_f32 v11, s4, v9
	v_rndne_f32_e32 v18, v14
	s_delay_alu instid0(VALU_DEP_2) | instskip(SKIP_2) | instid1(VALU_DEP_4)
	v_mul_f32_e32 v13, 0x3fb8aa3b, v11
	v_fma_f32 v17, 0x3fb8aa3b, v12, -v14
	v_cmp_ngt_f32_e32 vcc_lo, 0xc2ce8ed0, v11
	v_sub_f32_e32 v14, v14, v18
	s_delay_alu instid0(VALU_DEP_4) | instskip(SKIP_2) | instid1(VALU_DEP_3)
	v_fma_f32 v15, 0x3fb8aa3b, v11, -v13
	v_rndne_f32_e32 v16, v13
	v_fmac_f32_e32 v17, 0x32a5705f, v12
	v_fmac_f32_e32 v15, 0x32a5705f, v11
	s_delay_alu instid0(VALU_DEP_2) | instskip(NEXT) | instid1(VALU_DEP_1)
	v_dual_sub_f32 v13, v13, v16 :: v_dual_add_f32 v14, v14, v17
	v_add_f32_e32 v13, v13, v15
	s_delay_alu instid0(VALU_DEP_2) | instskip(SKIP_2) | instid1(VALU_DEP_3)
	v_exp_f32_e32 v14, v14
	v_cvt_i32_f32_e32 v15, v16
	v_cvt_i32_f32_e32 v16, v18
	v_exp_f32_e32 v13, v13
	s_waitcnt_depctr 0xfff
	v_ldexp_f32 v14, v14, v16
	v_ldexp_f32 v13, v13, v15
	s_delay_alu instid0(VALU_DEP_1) | instskip(SKIP_1) | instid1(VALU_DEP_4)
	v_cndmask_b32_e32 v13, 0, v13, vcc_lo
	v_cmp_ngt_f32_e32 vcc_lo, 0xc2ce8ed0, v12
	v_cndmask_b32_e32 v14, 0, v14, vcc_lo
	v_cmp_nlt_f32_e32 vcc_lo, 0x42b17218, v11
	s_delay_alu instid0(VALU_DEP_4) | instskip(SKIP_1) | instid1(VALU_DEP_4)
	v_cndmask_b32_e32 v13, 0x7f800000, v13, vcc_lo
	v_cmp_nlt_f32_e32 vcc_lo, 0x42b17218, v12
	v_cndmask_b32_e32 v14, 0x7f800000, v14, vcc_lo
	v_cmp_le_f32_e32 vcc_lo, 0xc1a00000, v11
	s_delay_alu instid0(VALU_DEP_4) | instskip(SKIP_1) | instid1(VALU_DEP_4)
	v_cndmask_b32_e32 v11, 0, v13, vcc_lo
	v_cmp_le_f32_e32 vcc_lo, 0xc1a00000, v12
	v_cndmask_b32_e32 v12, 0, v14, vcc_lo
	s_waitcnt vmcnt(0)
	s_delay_alu instid0(VALU_DEP_3) | instskip(NEXT) | instid1(VALU_DEP_1)
	v_mul_f32_e32 v10, v10, v11
	v_dual_mul_f32 v11, s5, v11 :: v_dual_fmac_f32 v10, v3, v12
	s_delay_alu instid0(VALU_DEP_1)
	v_fmac_f32_e32 v11, v7, v12
	s_cbranch_execz .LBB3_18
	s_branch .LBB3_19
.LBB3_17:                               ;   in Loop: Header=BB3_9 Depth=1
                                        ; implicit-def: $sgpr13
                                        ; implicit-def: $vgpr10
                                        ; implicit-def: $vgpr9
                                        ; implicit-def: $vgpr11
                                        ; implicit-def: $sgpr1
                                        ; implicit-def: $sgpr15
.LBB3_18:                               ;   in Loop: Header=BB3_9 Depth=1
	v_mov_b32_e32 v11, v7
	s_waitcnt vmcnt(0)
	v_dual_mov_b32 v9, v8 :: v_dual_mov_b32 v10, v3
	s_add_i32 s1, s14, -1
	s_mov_b32 s13, 0
	s_mov_b32 s15, s16
.LBB3_19:                               ;   in Loop: Header=BB3_9 Depth=1
	s_and_not1_b32 vcc_lo, exec_lo, s13
	s_cbranch_vccz .LBB3_23
; %bb.20:                               ;   in Loop: Header=BB3_9 Depth=1
	v_dual_mov_b32 v7, v11 :: v_dual_mov_b32 v8, v9
	s_waitcnt vmcnt(0)
	v_mov_b32_e32 v3, v10
	s_mov_b32 s16, s15
	s_mov_b32 s14, s1
	s_branch .LBB3_9
.LBB3_21:
                                        ; implicit-def: $sgpr16_sgpr17
	s_load_b128 s[8:11], s[0:1], 0x44
	s_branch .LBB3_2
.LBB3_22:
                                        ; implicit-def: $sgpr18_sgpr19
	s_branch .LBB3_5
.LBB3_23:
	v_div_scale_f32 v0, null, v11, v11, v10
	s_waitcnt vmcnt(0)
	s_delay_alu instid0(VALU_DEP_1) | instskip(SKIP_2) | instid1(VALU_DEP_1)
	v_rcp_f32_e32 v3, v0
	s_waitcnt_depctr 0xfff
	v_fma_f32 v4, -v0, v3, 1.0
	v_fmac_f32_e32 v3, v4, v3
	v_div_scale_f32 v4, vcc_lo, v10, v11, v10
	s_delay_alu instid0(VALU_DEP_1) | instskip(NEXT) | instid1(VALU_DEP_1)
	v_mul_f32_e32 v5, v4, v3
	v_fma_f32 v6, -v0, v5, v4
	s_delay_alu instid0(VALU_DEP_1) | instskip(NEXT) | instid1(VALU_DEP_1)
	v_fmac_f32_e32 v5, v6, v3
	v_fma_f32 v0, -v0, v5, v4
	s_delay_alu instid0(VALU_DEP_1) | instskip(NEXT) | instid1(VALU_DEP_1)
	v_div_fmas_f32 v0, v0, v3, v5
	v_div_fixup_f32 v0, v0, v11, v10
	global_store_b32 v[1:2], v0, off
.LBB3_24:
	s_nop 0
	s_sendmsg sendmsg(MSG_DEALLOC_VGPRS)
	s_endpgm
	.section	.rodata,"a",@progbits
	.p2align	6, 0x0
	.amdhsa_kernel _ZL33flash_attn_stream_k_fixup_generalILi128ELi8ELi8EEvPfPK15HIP_vector_typeIfLj2EEiiiiS1_IjLj3EES5_S5_S5_
		.amdhsa_group_segment_fixed_size 0
		.amdhsa_private_segment_fixed_size 0
		.amdhsa_kernarg_size 336
		.amdhsa_user_sgpr_count 13
		.amdhsa_user_sgpr_dispatch_ptr 0
		.amdhsa_user_sgpr_queue_ptr 0
		.amdhsa_user_sgpr_kernarg_segment_ptr 1
		.amdhsa_user_sgpr_dispatch_id 0
		.amdhsa_user_sgpr_private_segment_size 0
		.amdhsa_wavefront_size32 1
		.amdhsa_uses_dynamic_stack 0
		.amdhsa_enable_private_segment 0
		.amdhsa_system_sgpr_workgroup_id_x 1
		.amdhsa_system_sgpr_workgroup_id_y 1
		.amdhsa_system_sgpr_workgroup_id_z 1
		.amdhsa_system_sgpr_workgroup_info 0
		.amdhsa_system_vgpr_workitem_id 0
		.amdhsa_next_free_vgpr 19
		.amdhsa_next_free_sgpr 32
		.amdhsa_reserve_vcc 1
		.amdhsa_float_round_mode_32 0
		.amdhsa_float_round_mode_16_64 0
		.amdhsa_float_denorm_mode_32 3
		.amdhsa_float_denorm_mode_16_64 3
		.amdhsa_dx10_clamp 1
		.amdhsa_ieee_mode 1
		.amdhsa_fp16_overflow 0
		.amdhsa_workgroup_processor_mode 1
		.amdhsa_memory_ordered 1
		.amdhsa_forward_progress 0
		.amdhsa_shared_vgpr_count 0
		.amdhsa_exception_fp_ieee_invalid_op 0
		.amdhsa_exception_fp_denorm_src 0
		.amdhsa_exception_fp_ieee_div_zero 0
		.amdhsa_exception_fp_ieee_overflow 0
		.amdhsa_exception_fp_ieee_underflow 0
		.amdhsa_exception_fp_ieee_inexact 0
		.amdhsa_exception_int_div_zero 0
	.end_amdhsa_kernel
	.section	.text._ZL33flash_attn_stream_k_fixup_generalILi128ELi8ELi8EEvPfPK15HIP_vector_typeIfLj2EEiiiiS1_IjLj3EES5_S5_S5_,"axG",@progbits,_ZL33flash_attn_stream_k_fixup_generalILi128ELi8ELi8EEvPfPK15HIP_vector_typeIfLj2EEiiiiS1_IjLj3EES5_S5_S5_,comdat
.Lfunc_end3:
	.size	_ZL33flash_attn_stream_k_fixup_generalILi128ELi8ELi8EEvPfPK15HIP_vector_typeIfLj2EEiiiiS1_IjLj3EES5_S5_S5_, .Lfunc_end3-_ZL33flash_attn_stream_k_fixup_generalILi128ELi8ELi8EEvPfPK15HIP_vector_typeIfLj2EEiiiiS1_IjLj3EES5_S5_S5_
                                        ; -- End function
	.section	.AMDGPU.csdata,"",@progbits
; Kernel info:
; codeLenInByte = 3224
; NumSgprs: 34
; NumVgprs: 19
; ScratchSize: 0
; MemoryBound: 0
; FloatMode: 240
; IeeeMode: 1
; LDSByteSize: 0 bytes/workgroup (compile time only)
; SGPRBlocks: 4
; VGPRBlocks: 2
; NumSGPRsForWavesPerEU: 34
; NumVGPRsForWavesPerEU: 19
; Occupancy: 16
; WaveLimiterHint : 0
; COMPUTE_PGM_RSRC2:SCRATCH_EN: 0
; COMPUTE_PGM_RSRC2:USER_SGPR: 13
; COMPUTE_PGM_RSRC2:TRAP_HANDLER: 0
; COMPUTE_PGM_RSRC2:TGID_X_EN: 1
; COMPUTE_PGM_RSRC2:TGID_Y_EN: 1
; COMPUTE_PGM_RSRC2:TGID_Z_EN: 1
; COMPUTE_PGM_RSRC2:TIDIG_COMP_CNT: 0
	.section	.text._ZL26flash_attn_combine_resultsILi128EEvPKfPK15HIP_vector_typeIfLj2EEPfi,"axG",@progbits,_ZL26flash_attn_combine_resultsILi128EEvPKfPK15HIP_vector_typeIfLj2EEPfi,comdat
	.globl	_ZL26flash_attn_combine_resultsILi128EEvPKfPK15HIP_vector_typeIfLj2EEPfi ; -- Begin function _ZL26flash_attn_combine_resultsILi128EEvPKfPK15HIP_vector_typeIfLj2EEPfi
	.p2align	8
	.type	_ZL26flash_attn_combine_resultsILi128EEvPKfPK15HIP_vector_typeIfLj2EEPfi,@function
_ZL26flash_attn_combine_resultsILi128EEvPKfPK15HIP_vector_typeIfLj2EEPfi: ; @_ZL26flash_attn_combine_resultsILi128EEvPKfPK15HIP_vector_typeIfLj2EEPfi
; %bb.0:
	s_clause 0x3
	s_load_b64 s[2:3], s[0:1], 0x20
	s_load_b32 s11, s[0:1], 0x18
	s_load_b128 s[4:7], s[0:1], 0x0
	s_load_b64 s[8:9], s[0:1], 0x10
	v_lshlrev_b32_e32 v5, 2, v0
	s_mov_b32 s12, exec_lo
	s_waitcnt lgkmcnt(0)
	s_mul_i32 s0, s2, s15
	s_lshl_b32 s1, s11, 1
	s_add_i32 s0, s0, s13
	s_delay_alu instid0(SALU_CYCLE_1) | instskip(NEXT) | instid1(SALU_CYCLE_1)
	s_mul_i32 s10, s0, s3
	s_add_i32 s10, s10, s14
	s_delay_alu instid0(SALU_CYCLE_1)
	s_mul_i32 s2, s10, s11
	v_cmpx_gt_i32_e64 s1, v0
	s_cbranch_execz .LBB4_3
; %bb.1:
	s_ashr_i32 s3, s2, 31
	v_dual_mov_b32 v4, v0 :: v_dual_add_nc_u32 v3, 0, v5
	s_lshl_b64 s[14:15], s[2:3], 3
	s_delay_alu instid0(SALU_CYCLE_1) | instskip(SKIP_2) | instid1(VALU_DEP_1)
	s_add_u32 s0, s6, s14
	s_addc_u32 s3, s7, s15
	v_add_co_u32 v1, s0, s0, v5
	v_add_co_ci_u32_e64 v2, null, s3, 0, s0
	s_mov_b32 s3, 0
	.p2align	6
.LBB4_2:                                ; =>This Inner Loop Header: Depth=1
	global_load_b32 v6, v[1:2], off
	v_add_nc_u32_e32 v4, 0x80, v4
	v_add_co_u32 v1, vcc_lo, 0x200, v1
	v_add_co_ci_u32_e32 v2, vcc_lo, 0, v2, vcc_lo
	s_delay_alu instid0(VALU_DEP_3) | instskip(NEXT) | instid1(VALU_DEP_1)
	v_cmp_le_i32_e64 s0, s1, v4
	s_or_b32 s3, s0, s3
	s_waitcnt vmcnt(0)
	ds_store_b32 v3, v6
	v_add_nc_u32_e32 v3, 0x200, v3
	s_and_not1_b32 exec_lo, exec_lo, s3
	s_cbranch_execnz .LBB4_2
.LBB4_3:
	s_or_b32 exec_lo, exec_lo, s12
	v_mov_b32_e32 v1, 0
	s_waitcnt lgkmcnt(0)
	s_barrier
	buffer_gl0_inv
	s_cmp_lt_i32 s11, 2
	ds_load_b32 v6, v1
	s_cbranch_scc1 .LBB4_11
; %bb.4:
	s_add_i32 s1, s11, -2
	s_add_i32 s0, s11, -1
	s_cmp_lt_u32 s1, 7
	s_cbranch_scc1 .LBB4_8
; %bb.5:
	s_mov_b32 s3, 0
	s_add_i32 s1, 0, 8
	s_and_b32 s6, s0, -8
	.p2align	6
.LBB4_6:                                ; =>This Inner Loop Header: Depth=1
	v_mov_b32_e32 v9, s1
	s_mov_b32 s7, s3
	s_add_i32 s3, s3, 8
	s_add_i32 s1, s1, 64
	s_cmp_eq_u32 s6, s3
	ds_load_2addr_b32 v[1:2], v9 offset1:2
	ds_load_2addr_b32 v[3:4], v9 offset0:4 offset1:6
	ds_load_2addr_b32 v[7:8], v9 offset0:8 offset1:10
	;; [unrolled: 1-line block ×3, first 2 shown]
	s_waitcnt lgkmcnt(3)
	v_max3_f32 v1, v6, v1, v2
	s_waitcnt lgkmcnt(2)
	s_delay_alu instid0(VALU_DEP_1) | instskip(SKIP_1) | instid1(VALU_DEP_1)
	v_max3_f32 v1, v1, v3, v4
	s_waitcnt lgkmcnt(1)
	v_max3_f32 v1, v1, v7, v8
	s_waitcnt lgkmcnt(0)
	s_delay_alu instid0(VALU_DEP_1)
	v_max3_f32 v6, v1, v9, v10
	s_cbranch_scc0 .LBB4_6
; %bb.7:
	s_add_i32 s1, s7, 9
	s_and_b32 s0, s0, 7
	s_delay_alu instid0(SALU_CYCLE_1)
	s_cmp_eq_u32 s0, 0
	s_cbranch_scc0 .LBB4_9
	s_branch .LBB4_11
.LBB4_8:
	s_mov_b32 s1, 1
	s_and_b32 s0, s0, 7
	s_delay_alu instid0(SALU_CYCLE_1)
	s_cmp_eq_u32 s0, 0
	s_cbranch_scc1 .LBB4_11
.LBB4_9:
	s_lshl_b32 s1, s1, 3
	s_delay_alu instid0(SALU_CYCLE_1)
	s_add_i32 s1, s1, 0
.LBB4_10:                               ; =>This Inner Loop Header: Depth=1
	s_waitcnt lgkmcnt(0)
	s_delay_alu instid0(VALU_DEP_1)
	v_dual_mov_b32 v1, s1 :: v_dual_max_f32 v2, v6, v6
	s_add_i32 s0, s0, -1
	s_add_i32 s1, s1, 8
	s_cmp_lg_u32 s0, 0
	ds_load_b32 v1, v1
	s_waitcnt lgkmcnt(0)
	v_max_f32_e32 v1, v1, v1
	s_delay_alu instid0(VALU_DEP_1)
	v_max_f32_e32 v6, v2, v1
	s_cbranch_scc1 .LBB4_10
.LBB4_11:
	s_cmp_lt_i32 s11, 1
	s_cbranch_scc1 .LBB4_16
; %bb.12:
	s_lshl_b32 s0, s2, 7
	v_mov_b32_e32 v7, 0
	s_ashr_i32 s1, s0, 31
	s_mov_b32 s13, 0
	s_lshl_b64 s[0:1], s[0:1], 2
	s_delay_alu instid0(SALU_CYCLE_1)
	s_add_u32 s6, s4, s0
	s_addc_u32 s7, s5, s1
	s_cmp_lt_u32 s11, 8
	s_cbranch_scc1 .LBB4_17
; %bb.13:
	v_or_b32_e32 v1, 0x380, v0
	v_dual_mov_b32 v4, 0 :: v_dual_mov_b32 v7, 0
	v_mov_b32_e32 v8, 0
	s_and_b32 s12, s11, 0x7ffffff8
	s_mov_b32 s14, 0
.LBB4_14:                               ; =>This Inner Loop Header: Depth=1
	s_delay_alu instid0(VALU_DEP_2) | instskip(SKIP_3) | instid1(VALU_DEP_2)
	v_dual_mov_b32 v2, v4 :: v_dual_add_nc_u32 v3, 0xfffffc80, v1
	v_mov_b32_e32 v21, s13
	s_add_i32 s14, s14, 8
	s_add_i32 s13, s13, 64
	v_lshlrev_b64 v[9:10], 2, v[3:4]
	v_add_nc_u32_e32 v3, 0xfffffd00, v1
	v_lshlrev_b64 v[11:12], 2, v[1:2]
	s_cmp_eq_u32 s12, s14
	s_delay_alu instid0(VALU_DEP_2) | instskip(NEXT) | instid1(VALU_DEP_4)
	v_lshlrev_b64 v[13:14], 2, v[3:4]
	v_add_co_u32 v9, vcc_lo, s6, v9
	v_add_co_ci_u32_e32 v10, vcc_lo, s7, v10, vcc_lo
	v_add_nc_u32_e32 v3, 0xfffffd80, v1
	s_delay_alu instid0(VALU_DEP_4)
	v_add_co_u32 v13, vcc_lo, s6, v13
	global_load_b32 v25, v[9:10], off
	v_add_co_ci_u32_e32 v14, vcc_lo, s7, v14, vcc_lo
	v_lshlrev_b64 v[15:16], 2, v[3:4]
	v_add_nc_u32_e32 v3, 0xfffffe00, v1
	global_load_b32 v26, v[13:14], off
	v_add_co_u32 v13, vcc_lo, s6, v15
	v_add_co_ci_u32_e32 v14, vcc_lo, s7, v16, vcc_lo
	v_lshlrev_b64 v[9:10], 2, v[3:4]
	v_add_nc_u32_e32 v3, 0xfffffe80, v1
	global_load_b32 v27, v[13:14], off
	v_add_co_u32 v9, vcc_lo, s6, v9
	v_lshlrev_b64 v[15:16], 2, v[3:4]
	v_add_nc_u32_e32 v3, 0xffffff00, v1
	v_add_co_ci_u32_e32 v10, vcc_lo, s7, v10, vcc_lo
	global_load_b32 v28, v[9:10], off
	v_lshlrev_b64 v[13:14], 2, v[3:4]
	v_add_nc_u32_e32 v3, 0xffffff80, v1
	v_add_co_u32 v9, vcc_lo, s6, v15
	v_add_co_ci_u32_e32 v10, vcc_lo, s7, v16, vcc_lo
	s_delay_alu instid0(VALU_DEP_4) | instskip(NEXT) | instid1(VALU_DEP_4)
	v_add_co_u32 v13, vcc_lo, s6, v13
	v_lshlrev_b64 v[2:3], 2, v[3:4]
	v_add_co_ci_u32_e32 v14, vcc_lo, s7, v14, vcc_lo
	s_clause 0x1
	global_load_b32 v29, v[9:10], off
	global_load_b32 v30, v[13:14], off
	v_add_co_u32 v2, vcc_lo, s6, v2
	v_add_co_ci_u32_e32 v3, vcc_lo, s7, v3, vcc_lo
	v_add_co_u32 v9, vcc_lo, s6, v11
	v_add_co_ci_u32_e32 v10, vcc_lo, s7, v12, vcc_lo
	s_clause 0x1
	global_load_b32 v2, v[2:3], off
	global_load_b32 v3, v[9:10], off
	ds_load_2addr_b64 v[9:12], v21 offset1:1
	ds_load_2addr_b64 v[13:16], v21 offset0:2 offset1:3
	ds_load_2addr_b64 v[17:20], v21 offset0:4 offset1:5
	;; [unrolled: 1-line block ×3, first 2 shown]
	v_add_nc_u32_e32 v1, 0x400, v1
	s_waitcnt lgkmcnt(1)
	v_sub_f32_e32 v19, v19, v6
	v_sub_f32_e32 v11, v11, v6
	s_waitcnt lgkmcnt(0)
	v_sub_f32_e32 v23, v23, v6
	s_delay_alu instid0(VALU_DEP_3) | instskip(NEXT) | instid1(VALU_DEP_3)
	v_dual_sub_f32 v13, v13, v6 :: v_dual_mul_f32 v36, 0x3fb8aa3b, v19
	v_mul_f32_e32 v32, 0x3fb8aa3b, v11
	s_delay_alu instid0(VALU_DEP_2) | instskip(SKIP_1) | instid1(VALU_DEP_4)
	v_dual_mul_f32 v38, 0x3fb8aa3b, v23 :: v_dual_mul_f32 v33, 0x3fb8aa3b, v13
	v_cmp_ngt_f32_e32 vcc_lo, 0xc2ce8ed0, v13
	v_fma_f32 v49, 0x3fb8aa3b, v19, -v36
	s_delay_alu instid0(VALU_DEP_4) | instskip(SKIP_4) | instid1(VALU_DEP_4)
	v_fma_f32 v41, 0x3fb8aa3b, v11, -v32
	v_rndne_f32_e32 v42, v32
	v_fma_f32 v43, 0x3fb8aa3b, v13, -v33
	v_rndne_f32_e32 v44, v33
	v_rndne_f32_e32 v50, v36
	v_dual_fmac_f32 v41, 0x32a5705f, v11 :: v_dual_sub_f32 v32, v32, v42
	v_sub_f32_e32 v15, v15, v6
	v_fmac_f32_e32 v43, 0x32a5705f, v13
	v_sub_f32_e32 v33, v33, v44
	v_cvt_i32_f32_e32 v42, v42
	v_dual_add_f32 v32, v32, v41 :: v_dual_sub_f32 v9, v9, v6
	v_mul_f32_e32 v34, 0x3fb8aa3b, v15
	s_delay_alu instid0(VALU_DEP_4) | instskip(SKIP_1) | instid1(VALU_DEP_4)
	v_add_f32_e32 v33, v33, v43
	v_cvt_i32_f32_e32 v44, v44
	v_exp_f32_e32 v32, v32
	v_mul_f32_e32 v31, 0x3fb8aa3b, v9
	v_fma_f32 v45, 0x3fb8aa3b, v15, -v34
	v_rndne_f32_e32 v46, v34
	v_exp_f32_e32 v33, v33
	v_cmp_ngt_f32_e64 s5, 0xc2ce8ed0, v9
	v_fma_f32 v39, 0x3fb8aa3b, v9, -v31
	v_rndne_f32_e32 v40, v31
	v_dual_fmac_f32 v45, 0x32a5705f, v15 :: v_dual_sub_f32 v34, v34, v46
	v_sub_f32_e32 v17, v17, v6
	s_delay_alu instid0(VALU_DEP_4) | instskip(NEXT) | instid1(VALU_DEP_4)
	v_fmac_f32_e32 v39, 0x32a5705f, v9
	v_sub_f32_e32 v31, v31, v40
	v_cvt_i32_f32_e32 v40, v40
	v_add_f32_e32 v34, v34, v45
	v_ldexp_f32 v32, v32, v42
	v_ldexp_f32 v33, v33, v44
	v_add_f32_e32 v31, v31, v39
	v_cvt_i32_f32_e32 v46, v46
	v_exp_f32_e32 v34, v34
	v_cmp_ngt_f32_e64 s0, 0xc2ce8ed0, v15
	v_fmac_f32_e32 v49, 0x32a5705f, v19
	v_exp_f32_e32 v31, v31
	v_sub_f32_e32 v36, v36, v50
	v_cvt_i32_f32_e32 v50, v50
	v_cmp_ngt_f32_e64 s1, 0xc2ce8ed0, v17
	v_rndne_f32_e32 v54, v38
	s_delay_alu instid0(VALU_DEP_4) | instskip(NEXT) | instid1(TRANS32_DEP_2)
	v_add_f32_e32 v36, v36, v49
	v_ldexp_f32 v34, v34, v46
	v_cmp_ngt_f32_e64 s2, 0xc2ce8ed0, v19
	s_delay_alu instid0(TRANS32_DEP_1) | instskip(NEXT) | instid1(VALU_DEP_4)
	v_ldexp_f32 v31, v31, v40
	v_exp_f32_e32 v36, v36
	s_delay_alu instid0(VALU_DEP_1) | instskip(SKIP_1) | instid1(VALU_DEP_1)
	v_cndmask_b32_e64 v31, 0, v31, s5
	v_cmp_ngt_f32_e64 s5, 0xc2ce8ed0, v11
	v_cndmask_b32_e64 v32, 0, v32, s5
	v_cmp_nlt_f32_e64 s5, 0x42b17218, v9
	s_waitcnt_depctr 0xfff
	v_ldexp_f32 v36, v36, v50
	v_cndmask_b32_e64 v9, 0x7f800000, v31, s5
	v_cndmask_b32_e32 v31, 0, v33, vcc_lo
	v_cmp_nlt_f32_e32 vcc_lo, 0x42b17218, v11
	s_delay_alu instid0(VALU_DEP_3) | instskip(SKIP_1) | instid1(VALU_DEP_2)
	v_dual_fmac_f32 v8, v9, v10 :: v_dual_cndmask_b32 v11, 0x7f800000, v32
	v_cmp_nlt_f32_e32 vcc_lo, 0x42b17218, v13
	v_fmac_f32_e32 v8, v11, v12
	v_cndmask_b32_e32 v10, 0x7f800000, v31, vcc_lo
	v_cmp_nlt_f32_e32 vcc_lo, 0x42b17218, v15
	v_fma_f32 v53, 0x3fb8aa3b, v23, -v38
	v_sub_f32_e32 v38, v38, v54
	v_cvt_i32_f32_e32 v54, v54
	v_fmac_f32_e32 v8, v10, v14
	v_cmp_ngt_f32_e64 s4, 0xc2ce8ed0, v23
	v_fmac_f32_e32 v53, 0x32a5705f, v23
	s_delay_alu instid0(VALU_DEP_1) | instskip(NEXT) | instid1(VALU_DEP_1)
	v_dual_sub_f32 v21, v21, v6 :: v_dual_add_f32 v38, v38, v53
	v_cmp_ngt_f32_e64 s3, 0xc2ce8ed0, v21
	s_delay_alu instid0(VALU_DEP_2)
	v_exp_f32_e32 v38, v38
	s_waitcnt_depctr 0xfff
	v_ldexp_f32 v38, v38, v54
	s_waitcnt vmcnt(7)
	v_fmac_f32_e32 v7, v25, v9
	v_cndmask_b32_e64 v9, 0, v34, s0
	s_delay_alu instid0(VALU_DEP_1) | instskip(SKIP_1) | instid1(VALU_DEP_3)
	v_cndmask_b32_e32 v9, 0x7f800000, v9, vcc_lo
	s_waitcnt vmcnt(6)
	v_fmac_f32_e32 v7, v26, v11
	v_cmp_nlt_f32_e32 vcc_lo, 0x42b17218, v17
	s_delay_alu instid0(VALU_DEP_3) | instskip(SKIP_1) | instid1(VALU_DEP_3)
	v_dual_fmac_f32 v8, v9, v16 :: v_dual_mul_f32 v35, 0x3fb8aa3b, v17
	s_waitcnt vmcnt(5)
	v_fmac_f32_e32 v7, v27, v10
	s_delay_alu instid0(VALU_DEP_2) | instskip(SKIP_2) | instid1(VALU_DEP_3)
	v_fma_f32 v47, 0x3fb8aa3b, v17, -v35
	v_rndne_f32_e32 v48, v35
	v_cndmask_b32_e64 v10, 0, v36, s2
	v_fmac_f32_e32 v47, 0x32a5705f, v17
	s_delay_alu instid0(VALU_DEP_3) | instskip(SKIP_1) | instid1(VALU_DEP_2)
	v_sub_f32_e32 v35, v35, v48
	v_cvt_i32_f32_e32 v48, v48
	v_add_f32_e32 v35, v35, v47
	s_waitcnt vmcnt(4)
	v_fmac_f32_e32 v7, v28, v9
	s_delay_alu instid0(VALU_DEP_2) | instskip(SKIP_2) | instid1(VALU_DEP_1)
	v_exp_f32_e32 v35, v35
	s_waitcnt_depctr 0xfff
	v_ldexp_f32 v35, v35, v48
	v_cndmask_b32_e64 v11, 0, v35, s1
	s_delay_alu instid0(VALU_DEP_1) | instskip(SKIP_1) | instid1(VALU_DEP_2)
	v_cndmask_b32_e32 v11, 0x7f800000, v11, vcc_lo
	v_cmp_nlt_f32_e32 vcc_lo, 0x42b17218, v19
	v_fmac_f32_e32 v8, v11, v18
	v_cndmask_b32_e32 v10, 0x7f800000, v10, vcc_lo
	v_mul_f32_e32 v37, 0x3fb8aa3b, v21
	s_waitcnt vmcnt(3)
	v_fmac_f32_e32 v7, v29, v11
	v_cmp_nlt_f32_e32 vcc_lo, 0x42b17218, v21
	v_cndmask_b32_e64 v11, 0, v38, s4
	v_fmac_f32_e32 v8, v10, v20
	v_fma_f32 v51, 0x3fb8aa3b, v21, -v37
	v_rndne_f32_e32 v52, v37
	s_waitcnt vmcnt(2)
	v_fmac_f32_e32 v7, v30, v10
	s_delay_alu instid0(VALU_DEP_3) | instskip(NEXT) | instid1(VALU_DEP_3)
	v_fmac_f32_e32 v51, 0x32a5705f, v21
	v_sub_f32_e32 v37, v37, v52
	v_cvt_i32_f32_e32 v52, v52
	s_delay_alu instid0(VALU_DEP_2) | instskip(NEXT) | instid1(VALU_DEP_1)
	v_add_f32_e32 v37, v37, v51
	v_exp_f32_e32 v37, v37
	s_waitcnt_depctr 0xfff
	v_ldexp_f32 v37, v37, v52
	s_delay_alu instid0(VALU_DEP_1) | instskip(NEXT) | instid1(VALU_DEP_1)
	v_cndmask_b32_e64 v9, 0, v37, s3
	v_cndmask_b32_e32 v9, 0x7f800000, v9, vcc_lo
	v_cmp_nlt_f32_e32 vcc_lo, 0x42b17218, v23
	s_delay_alu instid0(VALU_DEP_2) | instskip(SKIP_3) | instid1(VALU_DEP_1)
	v_fmac_f32_e32 v8, v9, v22
	s_waitcnt vmcnt(1)
	v_dual_cndmask_b32 v10, 0x7f800000, v11 :: v_dual_fmac_f32 v7, v2, v9
	s_waitcnt vmcnt(0)
	v_dual_fmac_f32 v8, v10, v24 :: v_dual_fmac_f32 v7, v3, v10
	s_cbranch_scc0 .LBB4_14
; %bb.15:
	s_and_b32 s0, s11, 7
	s_delay_alu instid0(SALU_CYCLE_1)
	s_cmp_eq_u32 s0, 0
	s_cbranch_scc0 .LBB4_18
	s_branch .LBB4_20
.LBB4_16:
	v_mov_b32_e32 v0, 0x7fc00000
	s_branch .LBB4_21
.LBB4_17:
	v_mov_b32_e32 v8, 0
	s_mov_b32 s12, 0
	s_and_b32 s0, s11, 7
	s_delay_alu instid0(SALU_CYCLE_1)
	s_cmp_eq_u32 s0, 0
	s_cbranch_scc1 .LBB4_20
.LBB4_18:
	v_lshl_or_b32 v0, s12, 7, v0
	v_mov_b32_e32 v1, 0
	s_lshl_b32 s1, s12, 3
	s_delay_alu instid0(SALU_CYCLE_1)
	s_add_i32 s1, s1, 0
	s_set_inst_prefetch_distance 0x1
	.p2align	6
.LBB4_19:                               ; =>This Inner Loop Header: Depth=1
	s_delay_alu instid0(VALU_DEP_1) | instskip(SKIP_2) | instid1(VALU_DEP_2)
	v_lshlrev_b64 v[2:3], 2, v[0:1]
	s_add_i32 s0, s0, -1
	v_add_nc_u32_e32 v0, 0x80, v0
	v_add_co_u32 v2, vcc_lo, s6, v2
	s_delay_alu instid0(VALU_DEP_3)
	v_add_co_ci_u32_e32 v3, vcc_lo, s7, v3, vcc_lo
	global_load_b32 v4, v[2:3], off
	v_mov_b32_e32 v2, s1
	s_add_i32 s1, s1, 8
	s_cmp_lg_u32 s0, 0
	ds_load_b64 v[2:3], v2
	s_waitcnt lgkmcnt(0)
	v_sub_f32_e32 v2, v2, v6
	s_delay_alu instid0(VALU_DEP_1) | instskip(SKIP_1) | instid1(VALU_DEP_2)
	v_mul_f32_e32 v9, 0x3fb8aa3b, v2
	v_cmp_ngt_f32_e32 vcc_lo, 0xc2ce8ed0, v2
	v_fma_f32 v10, 0x3fb8aa3b, v2, -v9
	v_rndne_f32_e32 v11, v9
	s_delay_alu instid0(VALU_DEP_1) | instskip(NEXT) | instid1(VALU_DEP_1)
	v_dual_fmac_f32 v10, 0x32a5705f, v2 :: v_dual_sub_f32 v9, v9, v11
	v_add_f32_e32 v9, v9, v10
	v_cvt_i32_f32_e32 v10, v11
	s_delay_alu instid0(VALU_DEP_2) | instskip(SKIP_2) | instid1(VALU_DEP_1)
	v_exp_f32_e32 v9, v9
	s_waitcnt_depctr 0xfff
	v_ldexp_f32 v9, v9, v10
	v_cndmask_b32_e32 v9, 0, v9, vcc_lo
	v_cmp_nlt_f32_e32 vcc_lo, 0x42b17218, v2
	s_delay_alu instid0(VALU_DEP_2) | instskip(SKIP_1) | instid1(VALU_DEP_1)
	v_cndmask_b32_e32 v2, 0x7f800000, v9, vcc_lo
	s_waitcnt vmcnt(0)
	v_dual_fmac_f32 v8, v2, v3 :: v_dual_fmac_f32 v7, v4, v2
	s_cbranch_scc1 .LBB4_19
.LBB4_20:
	s_set_inst_prefetch_distance 0x2
	s_delay_alu instid0(VALU_DEP_1) | instskip(NEXT) | instid1(VALU_DEP_1)
	v_div_scale_f32 v0, null, v8, v8, v7
	v_rcp_f32_e32 v1, v0
	s_waitcnt_depctr 0xfff
	v_fma_f32 v2, -v0, v1, 1.0
	s_delay_alu instid0(VALU_DEP_1) | instskip(SKIP_1) | instid1(VALU_DEP_1)
	v_fmac_f32_e32 v1, v2, v1
	v_div_scale_f32 v2, vcc_lo, v7, v8, v7
	v_mul_f32_e32 v3, v2, v1
	s_delay_alu instid0(VALU_DEP_1) | instskip(NEXT) | instid1(VALU_DEP_1)
	v_fma_f32 v4, -v0, v3, v2
	v_fmac_f32_e32 v3, v4, v1
	s_delay_alu instid0(VALU_DEP_1) | instskip(NEXT) | instid1(VALU_DEP_1)
	v_fma_f32 v0, -v0, v3, v2
	v_div_fmas_f32 v0, v0, v1, v3
	s_delay_alu instid0(VALU_DEP_1)
	v_div_fixup_f32 v0, v0, v8, v7
.LBB4_21:
	s_lshl_b32 s0, s10, 7
	s_delay_alu instid0(SALU_CYCLE_1) | instskip(NEXT) | instid1(SALU_CYCLE_1)
	s_ashr_i32 s1, s0, 31
	s_lshl_b64 s[0:1], s[0:1], 2
	s_delay_alu instid0(SALU_CYCLE_1)
	s_add_u32 s0, s8, s0
	s_addc_u32 s1, s9, s1
	global_store_b32 v5, v0, s[0:1]
	s_nop 0
	s_sendmsg sendmsg(MSG_DEALLOC_VGPRS)
	s_endpgm
	.section	.rodata,"a",@progbits
	.p2align	6, 0x0
	.amdhsa_kernel _ZL26flash_attn_combine_resultsILi128EEvPKfPK15HIP_vector_typeIfLj2EEPfi
		.amdhsa_group_segment_fixed_size 0
		.amdhsa_private_segment_fixed_size 0
		.amdhsa_kernarg_size 288
		.amdhsa_user_sgpr_count 13
		.amdhsa_user_sgpr_dispatch_ptr 0
		.amdhsa_user_sgpr_queue_ptr 0
		.amdhsa_user_sgpr_kernarg_segment_ptr 1
		.amdhsa_user_sgpr_dispatch_id 0
		.amdhsa_user_sgpr_private_segment_size 0
		.amdhsa_wavefront_size32 1
		.amdhsa_uses_dynamic_stack 0
		.amdhsa_enable_private_segment 0
		.amdhsa_system_sgpr_workgroup_id_x 1
		.amdhsa_system_sgpr_workgroup_id_y 1
		.amdhsa_system_sgpr_workgroup_id_z 1
		.amdhsa_system_sgpr_workgroup_info 0
		.amdhsa_system_vgpr_workitem_id 0
		.amdhsa_next_free_vgpr 55
		.amdhsa_next_free_sgpr 16
		.amdhsa_reserve_vcc 1
		.amdhsa_float_round_mode_32 0
		.amdhsa_float_round_mode_16_64 0
		.amdhsa_float_denorm_mode_32 3
		.amdhsa_float_denorm_mode_16_64 3
		.amdhsa_dx10_clamp 1
		.amdhsa_ieee_mode 1
		.amdhsa_fp16_overflow 0
		.amdhsa_workgroup_processor_mode 1
		.amdhsa_memory_ordered 1
		.amdhsa_forward_progress 0
		.amdhsa_shared_vgpr_count 0
		.amdhsa_exception_fp_ieee_invalid_op 0
		.amdhsa_exception_fp_denorm_src 0
		.amdhsa_exception_fp_ieee_div_zero 0
		.amdhsa_exception_fp_ieee_overflow 0
		.amdhsa_exception_fp_ieee_underflow 0
		.amdhsa_exception_fp_ieee_inexact 0
		.amdhsa_exception_int_div_zero 0
	.end_amdhsa_kernel
	.section	.text._ZL26flash_attn_combine_resultsILi128EEvPKfPK15HIP_vector_typeIfLj2EEPfi,"axG",@progbits,_ZL26flash_attn_combine_resultsILi128EEvPKfPK15HIP_vector_typeIfLj2EEPfi,comdat
.Lfunc_end4:
	.size	_ZL26flash_attn_combine_resultsILi128EEvPKfPK15HIP_vector_typeIfLj2EEPfi, .Lfunc_end4-_ZL26flash_attn_combine_resultsILi128EEvPKfPK15HIP_vector_typeIfLj2EEPfi
                                        ; -- End function
	.section	.AMDGPU.csdata,"",@progbits
; Kernel info:
; codeLenInByte = 2352
; NumSgprs: 18
; NumVgprs: 55
; ScratchSize: 0
; MemoryBound: 0
; FloatMode: 240
; IeeeMode: 1
; LDSByteSize: 0 bytes/workgroup (compile time only)
; SGPRBlocks: 2
; VGPRBlocks: 6
; NumSGPRsForWavesPerEU: 18
; NumVGPRsForWavesPerEU: 55
; Occupancy: 16
; WaveLimiterHint : 0
; COMPUTE_PGM_RSRC2:SCRATCH_EN: 0
; COMPUTE_PGM_RSRC2:USER_SGPR: 13
; COMPUTE_PGM_RSRC2:TRAP_HANDLER: 0
; COMPUTE_PGM_RSRC2:TGID_X_EN: 1
; COMPUTE_PGM_RSRC2:TGID_Y_EN: 1
; COMPUTE_PGM_RSRC2:TGID_Z_EN: 1
; COMPUTE_PGM_RSRC2:TIDIG_COMP_CNT: 0
	.section	.text._ZL15flash_attn_tileILi128ELi128ELi4ELi8ELb0EEvPKcS1_S1_S1_S1_PKiPfP15HIP_vector_typeIfLj2EEffffjfiS5_IjLj3EEiiiiiiiiiiiliiliiiiil,"axG",@progbits,_ZL15flash_attn_tileILi128ELi128ELi4ELi8ELb0EEvPKcS1_S1_S1_S1_PKiPfP15HIP_vector_typeIfLj2EEffffjfiS5_IjLj3EEiiiiiiiiiiiliiliiiiil,comdat
	.globl	_ZL15flash_attn_tileILi128ELi128ELi4ELi8ELb0EEvPKcS1_S1_S1_S1_PKiPfP15HIP_vector_typeIfLj2EEffffjfiS5_IjLj3EEiiiiiiiiiiiliiliiiiil ; -- Begin function _ZL15flash_attn_tileILi128ELi128ELi4ELi8ELb0EEvPKcS1_S1_S1_S1_PKiPfP15HIP_vector_typeIfLj2EEffffjfiS5_IjLj3EEiiiiiiiiiiiliiliiiiil
	.p2align	8
	.type	_ZL15flash_attn_tileILi128ELi128ELi4ELi8ELb0EEvPKcS1_S1_S1_S1_PKiPfP15HIP_vector_typeIfLj2EEffffjfiS5_IjLj3EEiiiiiiiiiiiliiliiiiil,@function
_ZL15flash_attn_tileILi128ELi128ELi4ELi8ELb0EEvPKcS1_S1_S1_S1_PKiPfP15HIP_vector_typeIfLj2EEffffjfiS5_IjLj3EEiiiiiiiiiiiliiliiiiil: ; @_ZL15flash_attn_tileILi128ELi128ELi4ELi8ELb0EEvPKcS1_S1_S1_S1_PKiPfP15HIP_vector_typeIfLj2EEffffjfiS5_IjLj3EEiiiiiiiiiiiliiliiiiil
; %bb.0:
	s_clause 0x1
	s_load_b128 s[52:55], s[0:1], 0x5c
	s_load_b64 s[56:57], s[0:1], 0x80
	s_mov_b64 s[58:59], 0
	s_waitcnt lgkmcnt(0)
	s_ashr_i32 s2, s55, 31
	s_delay_alu instid0(SALU_CYCLE_1) | instskip(NEXT) | instid1(SALU_CYCLE_1)
	s_lshr_b32 s2, s2, 29
	s_add_i32 s2, s55, s2
	s_delay_alu instid0(SALU_CYCLE_1) | instskip(NEXT) | instid1(SALU_CYCLE_1)
	s_ashr_i32 s2, s2, 3
	v_cvt_f32_u32_e32 v1, s2
	s_sub_i32 s4, 0, s2
	s_delay_alu instid0(VALU_DEP_1) | instskip(SKIP_2) | instid1(VALU_DEP_1)
	v_rcp_iflag_f32_e32 v1, v1
	s_waitcnt_depctr 0xfff
	v_mul_f32_e32 v1, 0x4f7ffffe, v1
	v_cvt_u32_f32_e32 v1, v1
	s_delay_alu instid0(VALU_DEP_1) | instskip(NEXT) | instid1(VALU_DEP_1)
	v_readfirstlane_b32 s3, v1
	s_mul_i32 s4, s4, s3
	s_delay_alu instid0(SALU_CYCLE_1) | instskip(NEXT) | instid1(SALU_CYCLE_1)
	s_mul_hi_u32 s4, s3, s4
	s_add_i32 s3, s3, s4
	s_delay_alu instid0(SALU_CYCLE_1) | instskip(NEXT) | instid1(SALU_CYCLE_1)
	s_mul_hi_u32 s3, s15, s3
	s_mul_i32 s4, s3, s2
	s_add_i32 s5, s3, 1
	s_sub_i32 s4, s15, s4
	s_delay_alu instid0(SALU_CYCLE_1)
	s_sub_i32 s6, s4, s2
	s_cmp_ge_u32 s4, s2
	s_cselect_b32 s3, s5, s3
	s_cselect_b32 s4, s6, s4
	s_add_i32 s5, s3, 1
	s_cmp_ge_u32 s4, s2
	s_cselect_b32 s60, s5, s3
	s_abs_i32 s2, s57
	s_abs_i32 s7, s55
	v_cvt_f32_u32_e32 v1, s2
	s_sub_i32 s4, 0, s2
	s_lshl_b32 s5, s15, 3
	s_mul_i32 s6, s60, s55
	s_delay_alu instid0(VALU_DEP_1) | instskip(SKIP_3) | instid1(VALU_DEP_1)
	v_rcp_iflag_f32_e32 v1, v1
	s_sub_i32 s61, s5, s6
	s_waitcnt_depctr 0xfff
	v_mul_f32_e32 v1, 0x4f7ffffe, v1
	v_cvt_u32_f32_e32 v1, v1
	s_delay_alu instid0(VALU_DEP_1) | instskip(NEXT) | instid1(VALU_DEP_1)
	v_readfirstlane_b32 s3, v1
	s_mul_i32 s4, s4, s3
	s_delay_alu instid0(SALU_CYCLE_1) | instskip(NEXT) | instid1(SALU_CYCLE_1)
	s_mul_hi_u32 s4, s3, s4
	s_add_i32 s3, s3, s4
	s_xor_b32 s4, s55, s57
	s_mul_hi_u32 s3, s7, s3
	s_ashr_i32 s4, s4, 31
	s_mul_i32 s5, s3, s2
	s_add_i32 s6, s3, 1
	s_sub_i32 s5, s7, s5
	s_delay_alu instid0(SALU_CYCLE_1)
	s_sub_i32 s7, s5, s2
	s_cmp_ge_u32 s5, s2
	s_cselect_b32 s3, s6, s3
	s_cselect_b32 s5, s7, s5
	s_add_i32 s6, s3, 1
	s_cmp_ge_u32 s5, s2
	s_cselect_b32 s2, s6, s3
	s_delay_alu instid0(SALU_CYCLE_1) | instskip(NEXT) | instid1(SALU_CYCLE_1)
	s_xor_b32 s2, s2, s4
	s_sub_i32 s9, s2, s4
	s_clause 0x1
	s_load_b512 s[36:51], s[0:1], 0x0
	s_load_b64 s[2:3], s[0:1], 0xb8
	s_abs_i32 s8, s9
	s_delay_alu instid0(SALU_CYCLE_1) | instskip(NEXT) | instid1(VALU_DEP_1)
	v_cvt_f32_u32_e32 v1, s8
	v_rcp_iflag_f32_e32 v1, v1
	s_waitcnt_depctr 0xfff
	v_mul_f32_e32 v1, 0x4f7ffffe, v1
	s_waitcnt lgkmcnt(0)
	s_cmp_eq_u64 s[42:43], 0
	s_delay_alu instid0(VALU_DEP_1) | instskip(NEXT) | instid1(VALU_DEP_1)
	v_cvt_u32_f32_e32 v1, v1
	v_readfirstlane_b32 s10, v1
	s_cbranch_scc1 .LBB5_2
; %bb.1:
	s_abs_i32 s2, s2
	s_abs_i32 s6, s60
	v_cvt_f32_u32_e32 v1, s2
	s_sub_i32 s5, 0, s2
	s_delay_alu instid0(VALU_DEP_1) | instskip(SKIP_2) | instid1(VALU_DEP_1)
	v_rcp_iflag_f32_e32 v1, v1
	s_waitcnt_depctr 0xfff
	v_mul_f32_e32 v1, 0x4f7ffffe, v1
	v_cvt_u32_f32_e32 v1, v1
	s_delay_alu instid0(VALU_DEP_1) | instskip(NEXT) | instid1(VALU_DEP_1)
	v_readfirstlane_b32 s4, v1
	s_mul_i32 s5, s5, s4
	s_delay_alu instid0(SALU_CYCLE_1) | instskip(NEXT) | instid1(SALU_CYCLE_1)
	s_mul_hi_u32 s5, s4, s5
	s_add_i32 s7, s4, s5
	s_load_b64 s[4:5], s[0:1], 0xc8
	s_mul_hi_u32 s7, s6, s7
	s_delay_alu instid0(SALU_CYCLE_1) | instskip(NEXT) | instid1(SALU_CYCLE_1)
	s_mul_i32 s7, s7, s2
	s_sub_i32 s6, s6, s7
	s_ashr_i32 s7, s60, 31
	s_sub_i32 s11, s6, s2
	s_cmp_ge_u32 s6, s2
	s_cselect_b32 s6, s11, s6
	s_delay_alu instid0(SALU_CYCLE_1) | instskip(SKIP_2) | instid1(SALU_CYCLE_1)
	s_sub_i32 s11, s6, s2
	s_cmp_ge_u32 s6, s2
	s_cselect_b32 s2, s11, s6
	s_xor_b32 s2, s2, s7
	s_delay_alu instid0(SALU_CYCLE_1)
	s_sub_i32 s2, s2, s7
	s_waitcnt lgkmcnt(0)
	s_mul_i32 s5, s2, s5
	s_mul_hi_u32 s6, s2, s4
	s_ashr_i32 s7, s2, 31
	s_add_i32 s5, s6, s5
	s_mul_i32 s7, s7, s4
	s_mul_i32 s2, s2, s4
	s_add_i32 s5, s5, s7
	s_add_u32 s58, s42, s2
	s_addc_u32 s59, s43, s5
.LBB5_2:
	s_load_b128 s[4:7], s[0:1], 0x70
	v_bfe_u32 v4, v0, 10, 10
	s_delay_alu instid0(VALU_DEP_1) | instskip(SKIP_2) | instid1(VALU_DEP_3)
	v_lshrrev_b32_e32 v1, 1, v4
	v_lshlrev_b32_e32 v5, 2, v4
	v_lshlrev_b32_e32 v23, 8, v4
	v_lshl_add_u32 v169, s13, 2, v1
	s_delay_alu instid0(VALU_DEP_3)
	v_or_b32_e32 v21, 3, v5
	v_or_b32_e32 v19, 1, v5
	;; [unrolled: 1-line block ×3, first 2 shown]
	v_and_b32_e32 v188, 4, v5
	v_mul_hi_u32 v1, s52, v169
	v_and_b32_e32 v18, 7, v21
	v_and_b32_e32 v16, 5, v19
	v_and_b32_e32 v17, 6, v20
	s_waitcnt lgkmcnt(0)
	s_mul_i32 s2, s60, s6
	s_mul_i32 s6, s61, s5
	s_ashr_i32 s7, s2, 31
	s_add_u32 s2, s36, s2
	s_addc_u32 s7, s37, s7
	s_ashr_i32 s11, s6, 31
	s_add_u32 s2, s2, s6
	s_addc_u32 s6, s7, s11
	s_ashr_i32 s11, s5, 31
	s_ashr_i32 s7, s4, 31
	v_alignbit_b32 v13, s11, s5, 2
	v_alignbit_b32 v2, s7, s4, 2
	s_lshr_b32 s4, s7, 2
	s_lshr_b32 s5, s11, 2
	v_lshlrev_b32_e32 v19, 6, v19
	v_mad_u64_u32 v[9:10], null, v13, v18, 0
	v_and_b32_e32 v168, 0x3ff, v0
	v_add_nc_u32_e32 v0, v169, v1
	v_mad_u64_u32 v[7:8], null, v13, v17, 0
	v_mad_u64_u32 v[11:12], null, v13, v188, 0
	s_delay_alu instid0(VALU_DEP_3) | instskip(SKIP_3) | instid1(VALU_DEP_3)
	v_lshrrev_b32_e32 v0, s53, v0
	v_lshlrev_b32_e32 v20, 6, v20
	v_lshlrev_b32_e32 v21, 6, v21
	s_cmp_eq_u64 s[46:47], 0
	v_mul_lo_u32 v0, v0, s54
	s_delay_alu instid0(VALU_DEP_1) | instskip(NEXT) | instid1(VALU_DEP_1)
	v_sub_nc_u32_e32 v6, v169, v0
	v_mad_u64_u32 v[0:1], null, v2, v6, 0
	v_mad_u64_u32 v[2:3], null, v13, v16, 0
	s_delay_alu instid0(VALU_DEP_1) | instskip(SKIP_1) | instid1(VALU_DEP_3)
	v_mad_u64_u32 v[13:14], null, s4, v6, v[1:2]
	v_mov_b32_e32 v1, v10
	v_mad_u64_u32 v[14:15], null, s5, v16, v[3:4]
	v_mad_u64_u32 v[15:16], null, s5, v17, v[8:9]
	s_delay_alu instid0(VALU_DEP_3) | instskip(SKIP_4) | instid1(VALU_DEP_4)
	v_mad_u64_u32 v[16:17], null, s5, v18, v[1:2]
	v_mov_b32_e32 v1, v13
	v_mul_lo_u32 v22, s5, v188
	v_mov_b32_e32 v3, v14
	v_dual_mov_b32 v8, v15 :: v_dual_lshlrev_b32 v13, 4, v168
	v_lshlrev_b64 v[0:1], 2, v[0:1]
	v_mov_b32_e32 v10, v16
	s_delay_alu instid0(VALU_DEP_4) | instskip(SKIP_4) | instid1(VALU_DEP_4)
	v_lshlrev_b64 v[2:3], 2, v[2:3]
	v_or_b32_e32 v12, v12, v22
	v_lshlrev_b32_e32 v22, 1, v168
	v_add_co_u32 v14, vcc_lo, s2, v0
	v_add_co_ci_u32_e32 v15, vcc_lo, s6, v1, vcc_lo
	v_lshlrev_b64 v[11:12], 2, v[11:12]
	s_delay_alu instid0(VALU_DEP_3) | instskip(NEXT) | instid1(VALU_DEP_3)
	v_add_co_u32 v16, vcc_lo, v14, v13
	v_add_co_ci_u32_e32 v17, vcc_lo, 0, v15, vcc_lo
	v_lshlrev_b64 v[0:1], 2, v[7:8]
	v_lshlrev_b64 v[7:8], 2, v[9:10]
	s_delay_alu instid0(VALU_DEP_4) | instskip(NEXT) | instid1(VALU_DEP_4)
	v_add_co_u32 v9, vcc_lo, v16, v11
	v_add_co_ci_u32_e32 v10, vcc_lo, v17, v12, vcc_lo
	v_add_co_u32 v11, vcc_lo, v16, v2
	v_add_co_ci_u32_e32 v12, vcc_lo, v17, v3, vcc_lo
	;; [unrolled: 2-line block ×3, first 2 shown]
	v_add_co_u32 v15, vcc_lo, v16, v7
	global_load_b128 v[0:3], v[9:10], off
	v_add_co_ci_u32_e32 v16, vcc_lo, v17, v8, vcc_lo
	s_clause 0x2
	global_load_b128 v[7:10], v[11:12], off
	global_load_b128 v[11:14], v[13:14], off
	;; [unrolled: 1-line block ×3, first 2 shown]
	s_load_b32 s2, s[0:1], 0x40
	v_add_lshl_u32 v28, v19, v22, 2
	v_add_lshl_u32 v29, v20, v22, 2
	;; [unrolled: 1-line block ×4, first 2 shown]
	s_waitcnt vmcnt(3) lgkmcnt(0)
	v_fma_mixlo_f16 v19, v0, s2, 0
	v_fma_mixlo_f16 v20, v2, s2, 0
	s_waitcnt vmcnt(2)
	v_fma_mixlo_f16 v21, v7, s2, 0
	v_fma_mixlo_f16 v22, v9, s2, 0
	s_waitcnt vmcnt(1)
	;; [unrolled: 3-line block ×3, first 2 shown]
	v_fma_mixlo_f16 v25, v15, s2, 0
	v_fma_mixlo_f16 v26, v17, s2, 0
	v_fma_mixhi_f16 v20, v3, s2, 0
	v_fma_mixhi_f16 v19, v1, s2, 0
	;; [unrolled: 1-line block ×8, first 2 shown]
	ds_store_b64 v27, v[19:20] offset:26624
	ds_store_b64 v28, v[21:22] offset:26624
	;; [unrolled: 1-line block ×4, first 2 shown]
	s_waitcnt lgkmcnt(0)
	s_barrier
	buffer_gl0_inv
	s_cbranch_scc1 .LBB5_4
; %bb.3:
	s_load_b32 s2, s[0:1], 0xd0
	s_mov_b32 s5, 0
	s_waitcnt lgkmcnt(0)
	s_mul_i32 s2, s2, s60
	s_delay_alu instid0(SALU_CYCLE_1) | instskip(NEXT) | instid1(SALU_CYCLE_1)
	s_add_i32 s4, s2, s13
	s_lshl_b64 s[4:5], s[4:5], 2
	s_delay_alu instid0(SALU_CYCLE_1)
	s_add_u32 s4, s46, s4
	s_addc_u32 s5, s47, s5
	s_load_b32 s56, s[4:5], 0x0
.LBB5_4:
	v_mbcnt_lo_u32_b32 v189, -1, 0
	s_lshl_b32 s43, s14, 7
	s_waitcnt lgkmcnt(0)
	s_cmp_lt_i32 s43, s56
	s_cbranch_scc1 .LBB5_6
; %bb.5:
	v_mbcnt_lo_u32_b32 v7, -1, 0
	v_mov_b32_e32 v190, 32
	s_mov_b32 s2, 0
	s_mov_b32 s4, 0xfeffffff
	s_delay_alu instid0(VALU_DEP_2)
	v_xor_b32_e32 v195, 16, v7
	v_xor_b32_e32 v194, 8, v7
	;; [unrolled: 1-line block ×5, first 2 shown]
	s_branch .LBB5_7
.LBB5_6:
	s_mov_b32 s2, -1
                                        ; implicit-def: $sgpr4
                                        ; implicit-def: $vgpr7
                                        ; implicit-def: $vgpr190
                                        ; implicit-def: $vgpr195
                                        ; implicit-def: $vgpr194
                                        ; implicit-def: $vgpr193
                                        ; implicit-def: $vgpr192
                                        ; implicit-def: $vgpr191
.LBB5_7:
	s_delay_alu instid0(SALU_CYCLE_1) | instskip(SKIP_2) | instid1(VALU_DEP_3)
	v_cndmask_b32_e64 v0, 0, 1, s2
	v_dual_mov_b32 v3, s4 :: v_dual_mov_b32 v218, s2
	v_dual_mov_b32 v34, s2 :: v_dual_lshlrev_b32 v187, 2, v168
	v_cmp_ne_u32_e32 vcc_lo, 1, v0
	v_dual_mov_b32 v2, s4 :: v_dual_mov_b32 v1, s4
	v_dual_mov_b32 v0, s4 :: v_dual_mov_b32 v221, s2
	;; [unrolled: 1-line block ×6, first 2 shown]
	v_mov_b32_e32 v29, s2
	s_cbranch_vccnz .LBB5_11
; %bb.8:
	s_clause 0x1
	s_load_b128 s[4:7], s[0:1], 0x98
	s_load_b64 s[12:13], s[0:1], 0x8c
	s_sub_i32 s2, 0, s8
	s_abs_i32 s11, s61
	s_mul_i32 s2, s2, s10
	s_ashr_i32 s15, s61, 31
	s_mul_hi_u32 s2, s10, s2
	s_ashr_i32 s9, s9, 31
	s_add_i32 s10, s10, s2
	s_ashr_i32 s2, s3, 1
	s_mul_hi_u32 s3, s11, s10
	s_ashr_i32 s10, s60, 31
	s_load_b64 s[16:17], s[0:1], 0xa8
	s_mul_i32 s18, s3, s8
	v_lshrrev_b32_e32 v0, 3, v168
	v_dual_mov_b32 v28, 0 :: v_dual_and_b32 v17, 28, v187
	v_mov_b32_e32 v29, 0
	s_delay_alu instid0(VALU_DEP_3)
	v_dual_mov_b32 v31, 0 :: v_dual_add_nc_u32 v0, v0, v5
	s_waitcnt lgkmcnt(0)
	s_ashr_i32 s52, s6, 2
	s_mul_i32 s5, s60, s5
	s_mul_hi_u32 s6, s60, s4
	s_ashr_i32 s53, s12, 2
	s_mul_i32 s12, s10, s4
	s_add_i32 s5, s6, s5
	s_mul_i32 s4, s60, s4
	s_add_i32 s5, s5, s12
	s_add_u32 s4, s38, s4
	s_addc_u32 s5, s39, s5
	s_xor_b32 s6, s15, s9
	s_sub_i32 s9, s11, s18
	s_add_i32 s11, s3, 1
	s_sub_i32 s12, s9, s8
	s_cmp_ge_u32 s9, s8
	v_lshlrev_b32_e32 v2, 2, v17
	s_cselect_b32 s3, s11, s3
	s_cselect_b32 s9, s12, s9
	s_add_i32 s11, s3, 1
	s_cmp_ge_u32 s9, s8
	s_mul_i32 s8, s60, s17
	s_cselect_b32 s3, s11, s3
	s_mul_hi_u32 s9, s60, s16
	s_xor_b32 s3, s3, s6
	s_mul_i32 s10, s10, s16
	s_sub_i32 s3, s3, s6
	v_mul_lo_u32 v1, s53, v0
	s_mul_i32 s6, s3, s13
	s_mul_i32 s11, s60, s16
	s_ashr_i32 s12, s6, 31
	s_add_u32 s57, s4, s6
	s_addc_u32 s62, s5, s12
	s_add_i32 s4, s9, s8
	s_mul_i32 s3, s3, s7
	s_add_i32 s4, s4, s10
	v_mad_u32_u24 v196, 0x90, v0, v2
	v_lshrrev_b32_e32 v0, 4, v168
	s_add_u32 s5, s40, s11
	v_dual_mov_b32 v35, 0 :: v_dual_and_b32 v18, 60, v187
	s_addc_u32 s4, s41, s4
	s_ashr_i32 s6, s3, 31
	s_add_u32 s63, s5, s3
	s_addc_u32 s64, s4, s6
	s_lshl_b32 s3, s53, 5
	v_lshl_add_u32 v0, v4, 1, v0
	v_add_nc_u32_e32 v7, s3, v1
	v_ashrrev_i32_e32 v2, 31, v1
	v_lshlrev_b32_e32 v13, 2, v18
	v_mad_u64_u32 v[170:171], null, v6, s2, v[168:169]
	v_mul_lo_u32 v3, s52, v0
	s_delay_alu instid0(VALU_DEP_4)
	v_lshlrev_b64 v[171:172], 2, v[1:2]
	v_mov_b32_e32 v2, 0xfeffffff
	v_lshl_or_b32 v202, v0, 8, v13
	v_dual_mov_b32 v0, 0xfeffffff :: v_dual_add_nc_u32 v9, s3, v7
	v_mov_b32_e32 v190, 32
	v_mov_b32_e32 v220, 0
	v_dual_mov_b32 v1, 0xfeffffff :: v_dual_lshlrev_b32 v4, 10, v4
	s_delay_alu instid0(VALU_DEP_4)
	v_dual_mov_b32 v32, 0 :: v_dual_add_nc_u32 v11, s3, v9
	s_lshl_b32 s3, s52, 4
	v_ashrrev_i32_e32 v8, 31, v7
	v_add_nc_u32_e32 v5, s3, v3
	v_ashrrev_i32_e32 v10, 31, v9
	v_ashrrev_i32_e32 v12, 31, v11
	v_dual_mov_b32 v218, 0 :: v_dual_add_nc_u32 v201, 0x6800, v4
	s_delay_alu instid0(VALU_DEP_4)
	v_add_nc_u32_e32 v13, s3, v5
	v_add_nc_u32_e32 v203, 0x4800, v4
	v_ashrrev_i32_e32 v4, 31, v3
	v_ashrrev_i32_e32 v6, 31, v5
	v_lshlrev_b32_e32 v204, 3, v168
	v_add_nc_u32_e32 v15, s3, v13
	v_ashrrev_i32_e32 v14, 31, v13
	v_lshlrev_b64 v[173:174], 2, v[7:8]
	v_lshlrev_b64 v[175:176], 2, v[9:10]
	;; [unrolled: 1-line block ×3, first 2 shown]
	v_ashrrev_i32_e32 v16, 31, v15
	v_lshlrev_b64 v[179:180], 2, v[3:4]
	v_mov_b32_e32 v3, 0xfeffffff
	v_lshlrev_b64 v[181:182], 2, v[5:6]
	v_lshlrev_b64 v[183:184], 2, v[13:14]
	;; [unrolled: 1-line block ×3, first 2 shown]
	v_dual_mov_b32 v30, 0 :: v_dual_add_nc_u32 v197, 0x1200, v196
	v_dual_mov_b32 v33, 0 :: v_dual_add_nc_u32 v198, 0x2400, v196
	;; [unrolled: 1-line block ×3, first 2 shown]
	v_mul_u32_u24_e32 v200, 0x90, v168
	v_add_nc_u32_e32 v205, 0x1000, v202
	v_dual_mov_b32 v219, 0 :: v_dual_add_nc_u32 v206, 0x2000, v202
	v_add_nc_u32_e32 v207, 0x3000, v202
	v_dual_mov_b32 v221, 0 :: v_dual_lshlrev_b32 v208, 2, v17
	v_xor_b32_e32 v195, 16, v189
	v_xor_b32_e32 v194, 8, v189
	;; [unrolled: 1-line block ×5, first 2 shown]
	v_add_nc_u32_e32 v209, v203, v204
	v_lshlrev_b32_e32 v210, 2, v18
	v_add_nc_u32_e32 v211, 0x800, v204
	v_add_nc_u32_e32 v212, 0x1000, v204
	;; [unrolled: 1-line block ×7, first 2 shown]
	s_add_u32 s46, s0, 0xd0
	s_addc_u32 s47, s1, 0
.LBB5_9:                                ; =>This Inner Loop Header: Depth=1
	s_mul_hi_i32 s7, s43, s53
	s_mul_i32 s6, s43, s53
	v_cmp_gt_i32_e64 s5, 32, v191
	v_dual_mov_b32 v42, v0 :: v_dual_mov_b32 v43, 0
	v_add_nc_u32_e32 v0, s43, v170
	v_cmp_gt_i32_e64 s4, 32, v192
	v_cmp_gt_i32_e32 vcc_lo, 32, v195
	v_cmp_gt_i32_e64 s2, 32, v194
	v_cmp_gt_i32_e64 s3, 32, v193
	s_lshl_b64 s[6:7], s[6:7], 2
	s_mul_hi_i32 s9, s43, s52
	s_mul_i32 s8, s43, s52
	s_add_u32 s10, s57, s6
	v_cndmask_b32_e64 v14, v189, v191, s5
	s_addc_u32 s5, s62, s7
	s_lshl_b64 s[6:7], s[8:9], 2
	v_dual_mov_b32 v38, v219 :: v_dual_mov_b32 v41, v1
	v_cndmask_b32_e64 v13, v189, v192, s4
	v_ashrrev_i32_e32 v1, 31, v0
	v_add_co_u32 v6, s4, s10, v171
	v_cndmask_b32_e64 v10, v189, v194, s2
	v_cndmask_b32_e32 v8, v189, v195, vcc_lo
	v_cndmask_b32_e64 v12, v189, v193, s3
	v_add_co_u32 v7, vcc_lo, s10, v173
	s_delay_alu instid0(VALU_DEP_4)
	v_lshlrev_b32_e32 v63, 2, v10
	v_add_co_u32 v9, s2, s10, v175
	v_add_co_u32 v11, s3, s10, v177
	s_add_u32 s6, s63, s6
	v_dual_mov_b32 v39, v3 :: v_dual_mov_b32 v40, v2
	v_add_co_ci_u32_e64 v2, s4, s5, v172, s4
	v_add_co_ci_u32_e32 v3, vcc_lo, s5, v174, vcc_lo
	v_add_co_ci_u32_e64 v4, vcc_lo, s5, v176, s2
	v_add_co_ci_u32_e64 v5, vcc_lo, s5, v178, s3
	s_addc_u32 s5, s64, s7
	v_add_co_u32 v21, s4, s6, v179
	v_add_co_u32 v16, vcc_lo, s6, v181
	v_add_co_u32 v17, s2, s6, v183
	v_add_co_u32 v20, s3, s6, v185
	v_lshlrev_b64 v[18:19], 1, v[0:1]
	v_add_co_ci_u32_e64 v1, s4, s5, v180, s4
	v_lshlrev_b32_e32 v60, 2, v14
	v_add_co_ci_u32_e32 v22, vcc_lo, s5, v182, vcc_lo
	v_add_co_ci_u32_e64 v23, vcc_lo, s5, v184, s2
	v_add_co_ci_u32_e64 v24, vcc_lo, s5, v186, s3
	v_add_co_u32 v14, s4, v6, v208
	v_lshlrev_b32_e32 v64, 2, v8
	v_add_co_u32 v8, vcc_lo, v7, v208
	v_add_co_u32 v10, s2, v9, v208
	v_add_co_ci_u32_e64 v15, s4, 0, v2, s4
	v_lshlrev_b32_e32 v62, 2, v12
	v_add_co_u32 v12, s3, v11, v208
	v_add_co_ci_u32_e32 v9, vcc_lo, 0, v3, vcc_lo
	v_add_co_ci_u32_e64 v11, vcc_lo, 0, v4, s2
	v_lshlrev_b32_e32 v61, 2, v13
	v_add_co_ci_u32_e64 v13, vcc_lo, 0, v5, s3
	s_clause 0x3
	global_load_b128 v[65:68], v[14:15], off
	global_load_b128 v[69:72], v[8:9], off
	;; [unrolled: 1-line block ×4, first 2 shown]
	s_or_b32 s8, s43, 64
	v_add_co_u32 v0, vcc_lo, v16, v210
	s_mul_hi_i32 s7, s8, s52
	s_mul_i32 s6, s8, s52
	v_add_co_u32 v2, s2, v17, v210
	s_lshl_b64 s[6:7], s[6:7], 2
	v_add_co_u32 v16, s3, v20, v210
	v_add_co_u32 v4, s4, v21, v210
	s_add_u32 s5, s63, s6
	v_add_co_ci_u32_e64 v5, s4, 0, v1, s4
	v_add_co_ci_u32_e32 v1, vcc_lo, 0, v22, vcc_lo
	v_add_co_ci_u32_e64 v3, vcc_lo, 0, v23, s2
	v_add_co_ci_u32_e64 v17, vcc_lo, 0, v24, s3
	s_addc_u32 s6, s64, s7
	v_add_co_u32 v6, vcc_lo, s58, v18
	v_add_co_u32 v18, s2, s5, v179
	v_add_co_u32 v20, s3, s5, v181
	;; [unrolled: 1-line block ×4, first 2 shown]
	v_add_co_ci_u32_e32 v7, vcc_lo, s59, v19, vcc_lo
	v_add_co_ci_u32_e64 v25, vcc_lo, s6, v182, s3
	v_add_co_ci_u32_e64 v81, vcc_lo, s6, v184, s4
	;; [unrolled: 1-line block ×4, first 2 shown]
	v_add_co_u32 v22, vcc_lo, v20, v210
	v_add_co_u32 v24, s2, v21, v210
	v_add_co_u32 v20, s3, v23, v210
	v_add_co_ci_u32_e32 v23, vcc_lo, 0, v25, vcc_lo
	v_add_co_ci_u32_e64 v25, vcc_lo, 0, v81, s2
	v_add_co_ci_u32_e64 v21, vcc_lo, 0, v82, s3
	v_dual_mov_b32 v44, 0 :: v_dual_mov_b32 v45, 0
	v_dual_mov_b32 v46, 0 :: v_dual_mov_b32 v47, 0
	;; [unrolled: 1-line block ×8, first 2 shown]
	v_add_co_u32 v26, s4, v18, v210
	s_delay_alu instid0(VALU_DEP_1)
	v_add_co_ci_u32_e64 v27, s4, 0, v19, s4
	v_dual_mov_b32 v36, v221 :: v_dual_mov_b32 v37, v220
	s_waitcnt vmcnt(3)
	ds_store_b128 v196, v[65:68]
	s_waitcnt vmcnt(2)
	ds_store_b128 v197, v[69:72]
	;; [unrolled: 2-line block ×4, first 2 shown]
	s_waitcnt lgkmcnt(0)
	s_barrier
	buffer_gl0_inv
	ds_load_b128 v[65:68], v200
	ds_load_b128 v[69:72], v201
	ds_load_b128 v[73:76], v201 offset:256
	ds_load_b128 v[77:80], v201 offset:512
	;; [unrolled: 1-line block ×6, first 2 shown]
	s_waitcnt lgkmcnt(6)
	;;#ASMSTART
	v_dot2_f32_f16 v43, v65, v69, v43
	;;#ASMEND
	;;#ASMSTART
	v_dot2_f32_f16 v43, v66, v70, v43
	;;#ASMEND
	;;#ASMSTART
	v_dot2_f32_f16 v43, v67, v71, v43
	;;#ASMEND
	;;#ASMSTART
	v_dot2_f32_f16 v43, v68, v72, v43
	;;#ASMEND
	s_waitcnt lgkmcnt(5)
	;;#ASMSTART
	v_dot2_f32_f16 v44, v65, v73, v44
	;;#ASMEND
	;;#ASMSTART
	v_dot2_f32_f16 v44, v66, v74, v44
	;;#ASMEND
	;;#ASMSTART
	v_dot2_f32_f16 v44, v67, v75, v44
	;;#ASMEND
	;;#ASMSTART
	v_dot2_f32_f16 v44, v68, v76, v44
	;;#ASMEND
	;; [unrolled: 13-line block ×5, first 2 shown]
	;;#ASMSTART
	v_dot2_f32_f16 v48, v85, v73, v48
	;;#ASMEND
	;;#ASMSTART
	v_dot2_f32_f16 v48, v86, v74, v48
	;;#ASMEND
	;; [unrolled: 3-line block ×12, first 2 shown]
	s_waitcnt lgkmcnt(1)
	;;#ASMSTART
	v_dot2_f32_f16 v51, v89, v69, v51
	;;#ASMEND
	;;#ASMSTART
	v_dot2_f32_f16 v51, v90, v70, v51
	;;#ASMEND
	;; [unrolled: 3-line block ×16, first 2 shown]
	s_waitcnt lgkmcnt(0)
	;;#ASMSTART
	v_dot2_f32_f16 v55, v93, v69, v55
	;;#ASMEND
	;;#ASMSTART
	v_dot2_f32_f16 v55, v94, v70, v55
	;;#ASMEND
	;; [unrolled: 3-line block ×16, first 2 shown]
	ds_load_b128 v[65:68], v200 offset:16
	ds_load_b128 v[69:72], v201 offset:16
	;; [unrolled: 1-line block ×8, first 2 shown]
	s_waitcnt lgkmcnt(6)
	;;#ASMSTART
	v_dot2_f32_f16 v43, v65, v69, v43
	;;#ASMEND
	;;#ASMSTART
	v_dot2_f32_f16 v43, v66, v70, v43
	;;#ASMEND
	;;#ASMSTART
	v_dot2_f32_f16 v43, v67, v71, v43
	;;#ASMEND
	;;#ASMSTART
	v_dot2_f32_f16 v43, v68, v72, v43
	;;#ASMEND
	s_waitcnt lgkmcnt(5)
	;;#ASMSTART
	v_dot2_f32_f16 v44, v65, v73, v44
	;;#ASMEND
	;;#ASMSTART
	v_dot2_f32_f16 v44, v66, v74, v44
	;;#ASMEND
	;;#ASMSTART
	v_dot2_f32_f16 v44, v67, v75, v44
	;;#ASMEND
	;;#ASMSTART
	v_dot2_f32_f16 v44, v68, v76, v44
	;;#ASMEND
	;; [unrolled: 13-line block ×5, first 2 shown]
	;;#ASMSTART
	v_dot2_f32_f16 v48, v85, v73, v48
	;;#ASMEND
	;;#ASMSTART
	v_dot2_f32_f16 v48, v86, v74, v48
	;;#ASMEND
	;;#ASMSTART
	v_dot2_f32_f16 v48, v87, v75, v48
	;;#ASMEND
	;;#ASMSTART
	v_dot2_f32_f16 v48, v88, v76, v48
	;;#ASMEND
	;;#ASMSTART
	v_dot2_f32_f16 v49, v85, v77, v49
	;;#ASMEND
	;;#ASMSTART
	v_dot2_f32_f16 v49, v86, v78, v49
	;;#ASMEND
	;;#ASMSTART
	v_dot2_f32_f16 v49, v87, v79, v49
	;;#ASMEND
	;;#ASMSTART
	v_dot2_f32_f16 v49, v88, v80, v49
	;;#ASMEND
	;;#ASMSTART
	v_dot2_f32_f16 v50, v85, v81, v50
	;;#ASMEND
	;;#ASMSTART
	v_dot2_f32_f16 v50, v86, v82, v50
	;;#ASMEND
	;;#ASMSTART
	v_dot2_f32_f16 v50, v87, v83, v50
	;;#ASMEND
	;;#ASMSTART
	v_dot2_f32_f16 v50, v88, v84, v50
	;;#ASMEND
	s_waitcnt lgkmcnt(1)
	;;#ASMSTART
	v_dot2_f32_f16 v51, v89, v69, v51
	;;#ASMEND
	;;#ASMSTART
	v_dot2_f32_f16 v51, v90, v70, v51
	;;#ASMEND
	;; [unrolled: 3-line block ×16, first 2 shown]
	s_waitcnt lgkmcnt(0)
	;;#ASMSTART
	v_dot2_f32_f16 v55, v93, v69, v55
	;;#ASMEND
	;;#ASMSTART
	v_dot2_f32_f16 v55, v94, v70, v55
	;;#ASMEND
	;; [unrolled: 3-line block ×16, first 2 shown]
	ds_load_b128 v[65:68], v200 offset:32
	ds_load_b128 v[69:72], v201 offset:32
	;; [unrolled: 1-line block ×8, first 2 shown]
	s_waitcnt lgkmcnt(6)
	;;#ASMSTART
	v_dot2_f32_f16 v43, v65, v69, v43
	;;#ASMEND
	;;#ASMSTART
	v_dot2_f32_f16 v43, v66, v70, v43
	;;#ASMEND
	;;#ASMSTART
	v_dot2_f32_f16 v43, v67, v71, v43
	;;#ASMEND
	;;#ASMSTART
	v_dot2_f32_f16 v43, v68, v72, v43
	;;#ASMEND
	s_waitcnt lgkmcnt(5)
	;;#ASMSTART
	v_dot2_f32_f16 v44, v65, v73, v44
	;;#ASMEND
	;;#ASMSTART
	v_dot2_f32_f16 v44, v66, v74, v44
	;;#ASMEND
	;;#ASMSTART
	v_dot2_f32_f16 v44, v67, v75, v44
	;;#ASMEND
	;;#ASMSTART
	v_dot2_f32_f16 v44, v68, v76, v44
	;;#ASMEND
	;; [unrolled: 13-line block ×5, first 2 shown]
	;;#ASMSTART
	v_dot2_f32_f16 v48, v85, v73, v48
	;;#ASMEND
	;;#ASMSTART
	v_dot2_f32_f16 v48, v86, v74, v48
	;;#ASMEND
	;; [unrolled: 3-line block ×12, first 2 shown]
	s_waitcnt lgkmcnt(1)
	;;#ASMSTART
	v_dot2_f32_f16 v51, v89, v69, v51
	;;#ASMEND
	;;#ASMSTART
	v_dot2_f32_f16 v51, v90, v70, v51
	;;#ASMEND
	;; [unrolled: 3-line block ×16, first 2 shown]
	s_waitcnt lgkmcnt(0)
	;;#ASMSTART
	v_dot2_f32_f16 v55, v93, v69, v55
	;;#ASMEND
	;;#ASMSTART
	v_dot2_f32_f16 v55, v94, v70, v55
	;;#ASMEND
	;; [unrolled: 3-line block ×16, first 2 shown]
	ds_load_b128 v[65:68], v200 offset:48
	ds_load_b128 v[69:72], v201 offset:48
	;; [unrolled: 1-line block ×8, first 2 shown]
	s_waitcnt lgkmcnt(6)
	;;#ASMSTART
	v_dot2_f32_f16 v43, v65, v69, v43
	;;#ASMEND
	;;#ASMSTART
	v_dot2_f32_f16 v43, v66, v70, v43
	;;#ASMEND
	;;#ASMSTART
	v_dot2_f32_f16 v43, v67, v71, v43
	;;#ASMEND
	;;#ASMSTART
	v_dot2_f32_f16 v43, v68, v72, v43
	;;#ASMEND
	s_waitcnt lgkmcnt(5)
	;;#ASMSTART
	v_dot2_f32_f16 v44, v65, v73, v44
	;;#ASMEND
	;;#ASMSTART
	v_dot2_f32_f16 v44, v66, v74, v44
	;;#ASMEND
	;;#ASMSTART
	v_dot2_f32_f16 v44, v67, v75, v44
	;;#ASMEND
	;;#ASMSTART
	v_dot2_f32_f16 v44, v68, v76, v44
	;;#ASMEND
	;; [unrolled: 13-line block ×5, first 2 shown]
	;;#ASMSTART
	v_dot2_f32_f16 v48, v85, v73, v48
	;;#ASMEND
	;;#ASMSTART
	v_dot2_f32_f16 v48, v86, v74, v48
	;;#ASMEND
	;; [unrolled: 3-line block ×12, first 2 shown]
	s_waitcnt lgkmcnt(1)
	;;#ASMSTART
	v_dot2_f32_f16 v51, v89, v69, v51
	;;#ASMEND
	;;#ASMSTART
	v_dot2_f32_f16 v51, v90, v70, v51
	;;#ASMEND
	;; [unrolled: 3-line block ×16, first 2 shown]
	s_waitcnt lgkmcnt(0)
	;;#ASMSTART
	v_dot2_f32_f16 v55, v93, v69, v55
	;;#ASMEND
	;;#ASMSTART
	v_dot2_f32_f16 v55, v94, v70, v55
	;;#ASMEND
	;; [unrolled: 3-line block ×16, first 2 shown]
	ds_load_b128 v[65:68], v200 offset:64
	ds_load_b128 v[69:72], v201 offset:64
	;; [unrolled: 1-line block ×8, first 2 shown]
	s_waitcnt lgkmcnt(6)
	;;#ASMSTART
	v_dot2_f32_f16 v43, v65, v69, v43
	;;#ASMEND
	;;#ASMSTART
	v_dot2_f32_f16 v43, v66, v70, v43
	;;#ASMEND
	;;#ASMSTART
	v_dot2_f32_f16 v43, v67, v71, v43
	;;#ASMEND
	;;#ASMSTART
	v_dot2_f32_f16 v43, v68, v72, v43
	;;#ASMEND
	s_waitcnt lgkmcnt(5)
	;;#ASMSTART
	v_dot2_f32_f16 v44, v65, v73, v44
	;;#ASMEND
	;;#ASMSTART
	v_dot2_f32_f16 v44, v66, v74, v44
	;;#ASMEND
	;;#ASMSTART
	v_dot2_f32_f16 v44, v67, v75, v44
	;;#ASMEND
	;;#ASMSTART
	v_dot2_f32_f16 v44, v68, v76, v44
	;;#ASMEND
	s_waitcnt lgkmcnt(4)
	;;#ASMSTART
	v_dot2_f32_f16 v45, v65, v77, v45
	;;#ASMEND
	;;#ASMSTART
	v_dot2_f32_f16 v45, v66, v78, v45
	;;#ASMEND
	;;#ASMSTART
	v_dot2_f32_f16 v45, v67, v79, v45
	;;#ASMEND
	;;#ASMSTART
	v_dot2_f32_f16 v45, v68, v80, v45
	;;#ASMEND
	s_waitcnt lgkmcnt(3)
	;;#ASMSTART
	v_dot2_f32_f16 v46, v65, v81, v46
	;;#ASMEND
	;;#ASMSTART
	v_dot2_f32_f16 v46, v66, v82, v46
	;;#ASMEND
	;;#ASMSTART
	v_dot2_f32_f16 v46, v67, v83, v46
	;;#ASMEND
	;;#ASMSTART
	v_dot2_f32_f16 v46, v68, v84, v46
	;;#ASMEND
	s_waitcnt lgkmcnt(2)
	;;#ASMSTART
	v_dot2_f32_f16 v47, v85, v69, v47
	;;#ASMEND
	;;#ASMSTART
	v_dot2_f32_f16 v47, v86, v70, v47
	;;#ASMEND
	;;#ASMSTART
	v_dot2_f32_f16 v47, v87, v71, v47
	;;#ASMEND
	;;#ASMSTART
	v_dot2_f32_f16 v47, v88, v72, v47
	;;#ASMEND
	;;#ASMSTART
	v_dot2_f32_f16 v48, v85, v73, v48
	;;#ASMEND
	;;#ASMSTART
	v_dot2_f32_f16 v48, v86, v74, v48
	;;#ASMEND
	;; [unrolled: 3-line block ×12, first 2 shown]
	s_waitcnt lgkmcnt(1)
	;;#ASMSTART
	v_dot2_f32_f16 v51, v89, v69, v51
	;;#ASMEND
	;;#ASMSTART
	v_dot2_f32_f16 v51, v90, v70, v51
	;;#ASMEND
	;; [unrolled: 3-line block ×16, first 2 shown]
	s_waitcnt lgkmcnt(0)
	;;#ASMSTART
	v_dot2_f32_f16 v55, v93, v69, v55
	;;#ASMEND
	;;#ASMSTART
	v_dot2_f32_f16 v55, v94, v70, v55
	;;#ASMEND
	;; [unrolled: 3-line block ×16, first 2 shown]
	ds_load_b128 v[65:68], v200 offset:80
	ds_load_b128 v[69:72], v201 offset:80
	;; [unrolled: 1-line block ×8, first 2 shown]
	s_waitcnt lgkmcnt(6)
	;;#ASMSTART
	v_dot2_f32_f16 v43, v65, v69, v43
	;;#ASMEND
	;;#ASMSTART
	v_dot2_f32_f16 v43, v66, v70, v43
	;;#ASMEND
	;;#ASMSTART
	v_dot2_f32_f16 v43, v67, v71, v43
	;;#ASMEND
	;;#ASMSTART
	v_dot2_f32_f16 v43, v68, v72, v43
	;;#ASMEND
	s_waitcnt lgkmcnt(5)
	;;#ASMSTART
	v_dot2_f32_f16 v44, v65, v73, v44
	;;#ASMEND
	;;#ASMSTART
	v_dot2_f32_f16 v44, v66, v74, v44
	;;#ASMEND
	;;#ASMSTART
	v_dot2_f32_f16 v44, v67, v75, v44
	;;#ASMEND
	;;#ASMSTART
	v_dot2_f32_f16 v44, v68, v76, v44
	;;#ASMEND
	;; [unrolled: 13-line block ×5, first 2 shown]
	;;#ASMSTART
	v_dot2_f32_f16 v48, v85, v73, v48
	;;#ASMEND
	;;#ASMSTART
	v_dot2_f32_f16 v48, v86, v74, v48
	;;#ASMEND
	;; [unrolled: 3-line block ×12, first 2 shown]
	s_waitcnt lgkmcnt(1)
	;;#ASMSTART
	v_dot2_f32_f16 v51, v89, v69, v51
	;;#ASMEND
	;;#ASMSTART
	v_dot2_f32_f16 v51, v90, v70, v51
	;;#ASMEND
	;; [unrolled: 3-line block ×16, first 2 shown]
	s_waitcnt lgkmcnt(0)
	;;#ASMSTART
	v_dot2_f32_f16 v55, v93, v69, v55
	;;#ASMEND
	;;#ASMSTART
	v_dot2_f32_f16 v55, v94, v70, v55
	;;#ASMEND
	;;#ASMSTART
	v_dot2_f32_f16 v55, v95, v71, v55
	;;#ASMEND
	;;#ASMSTART
	v_dot2_f32_f16 v55, v96, v72, v55
	;;#ASMEND
	;;#ASMSTART
	v_dot2_f32_f16 v56, v93, v73, v56
	;;#ASMEND
	;;#ASMSTART
	v_dot2_f32_f16 v56, v94, v74, v56
	;;#ASMEND
	;;#ASMSTART
	v_dot2_f32_f16 v56, v95, v75, v56
	;;#ASMEND
	;;#ASMSTART
	v_dot2_f32_f16 v56, v96, v76, v56
	;;#ASMEND
	;;#ASMSTART
	v_dot2_f32_f16 v57, v93, v77, v57
	;;#ASMEND
	;;#ASMSTART
	v_dot2_f32_f16 v57, v94, v78, v57
	;;#ASMEND
	;;#ASMSTART
	v_dot2_f32_f16 v57, v95, v79, v57
	;;#ASMEND
	;;#ASMSTART
	v_dot2_f32_f16 v57, v96, v80, v57
	;;#ASMEND
	;;#ASMSTART
	v_dot2_f32_f16 v58, v93, v81, v58
	;;#ASMEND
	;;#ASMSTART
	v_dot2_f32_f16 v58, v94, v82, v58
	;;#ASMEND
	;;#ASMSTART
	v_dot2_f32_f16 v58, v95, v83, v58
	;;#ASMEND
	;;#ASMSTART
	v_dot2_f32_f16 v58, v96, v84, v58
	;;#ASMEND
	ds_load_b128 v[65:68], v200 offset:96
	ds_load_b128 v[69:72], v201 offset:96
	;; [unrolled: 1-line block ×8, first 2 shown]
	s_waitcnt lgkmcnt(6)
	;;#ASMSTART
	v_dot2_f32_f16 v43, v65, v69, v43
	;;#ASMEND
	;;#ASMSTART
	v_dot2_f32_f16 v43, v66, v70, v43
	;;#ASMEND
	;;#ASMSTART
	v_dot2_f32_f16 v43, v67, v71, v43
	;;#ASMEND
	;;#ASMSTART
	v_dot2_f32_f16 v43, v68, v72, v43
	;;#ASMEND
	s_waitcnt lgkmcnt(5)
	;;#ASMSTART
	v_dot2_f32_f16 v44, v65, v73, v44
	;;#ASMEND
	;;#ASMSTART
	v_dot2_f32_f16 v44, v66, v74, v44
	;;#ASMEND
	;;#ASMSTART
	v_dot2_f32_f16 v44, v67, v75, v44
	;;#ASMEND
	;;#ASMSTART
	v_dot2_f32_f16 v44, v68, v76, v44
	;;#ASMEND
	;; [unrolled: 13-line block ×5, first 2 shown]
	;;#ASMSTART
	v_dot2_f32_f16 v48, v85, v73, v48
	;;#ASMEND
	;;#ASMSTART
	v_dot2_f32_f16 v48, v86, v74, v48
	;;#ASMEND
	;; [unrolled: 3-line block ×12, first 2 shown]
	s_waitcnt lgkmcnt(1)
	;;#ASMSTART
	v_dot2_f32_f16 v51, v89, v69, v51
	;;#ASMEND
	;;#ASMSTART
	v_dot2_f32_f16 v51, v90, v70, v51
	;;#ASMEND
	;; [unrolled: 3-line block ×16, first 2 shown]
	s_waitcnt lgkmcnt(0)
	;;#ASMSTART
	v_dot2_f32_f16 v55, v93, v69, v55
	;;#ASMEND
	;;#ASMSTART
	v_dot2_f32_f16 v55, v94, v70, v55
	;;#ASMEND
	;; [unrolled: 3-line block ×16, first 2 shown]
	ds_load_b128 v[65:68], v200 offset:112
	ds_load_b128 v[69:72], v201 offset:112
	;; [unrolled: 1-line block ×8, first 2 shown]
	s_waitcnt lgkmcnt(6)
	;;#ASMSTART
	v_dot2_f32_f16 v43, v65, v69, v43
	;;#ASMEND
	;;#ASMSTART
	v_dot2_f32_f16 v43, v66, v70, v43
	;;#ASMEND
	;;#ASMSTART
	v_dot2_f32_f16 v43, v67, v71, v43
	;;#ASMEND
	;;#ASMSTART
	v_dot2_f32_f16 v43, v68, v72, v43
	;;#ASMEND
	s_waitcnt lgkmcnt(5)
	;;#ASMSTART
	v_dot2_f32_f16 v44, v65, v73, v44
	;;#ASMEND
	;;#ASMSTART
	v_dot2_f32_f16 v44, v66, v74, v44
	;;#ASMEND
	;;#ASMSTART
	v_dot2_f32_f16 v44, v67, v75, v44
	;;#ASMEND
	;;#ASMSTART
	v_dot2_f32_f16 v44, v68, v76, v44
	;;#ASMEND
	;; [unrolled: 13-line block ×5, first 2 shown]
	;;#ASMSTART
	v_dot2_f32_f16 v48, v85, v73, v48
	;;#ASMEND
	;;#ASMSTART
	v_dot2_f32_f16 v48, v86, v74, v48
	;;#ASMEND
	;; [unrolled: 3-line block ×12, first 2 shown]
	s_waitcnt lgkmcnt(1)
	;;#ASMSTART
	v_dot2_f32_f16 v51, v89, v69, v51
	;;#ASMEND
	;;#ASMSTART
	v_dot2_f32_f16 v51, v90, v70, v51
	;;#ASMEND
	;; [unrolled: 3-line block ×16, first 2 shown]
	s_waitcnt lgkmcnt(0)
	;;#ASMSTART
	v_dot2_f32_f16 v55, v93, v69, v55
	;;#ASMEND
	;;#ASMSTART
	v_dot2_f32_f16 v55, v94, v70, v55
	;;#ASMEND
	;; [unrolled: 3-line block ×16, first 2 shown]
	s_barrier
	buffer_gl0_inv
	s_clause 0x3
	global_load_b128 v[65:68], v[14:15], off offset:128
	global_load_b128 v[69:72], v[8:9], off offset:128
	global_load_b128 v[8:11], v[10:11], off offset:128
	global_load_b128 v[12:15], v[12:13], off offset:128
	s_waitcnt vmcnt(3)
	ds_store_b128 v196, v[65:68]
	s_waitcnt vmcnt(2)
	ds_store_b128 v197, v[69:72]
	;; [unrolled: 2-line block ×4, first 2 shown]
	s_waitcnt lgkmcnt(0)
	s_barrier
	buffer_gl0_inv
	ds_load_b128 v[8:11], v200
	ds_load_b128 v[12:15], v201 offset:128
	ds_load_b128 v[65:68], v201 offset:384
	;; [unrolled: 1-line block ×7, first 2 shown]
	s_waitcnt lgkmcnt(6)
	;;#ASMSTART
	v_dot2_f32_f16 v43, v8, v12, v43
	;;#ASMEND
	;;#ASMSTART
	v_dot2_f32_f16 v43, v9, v13, v43
	;;#ASMEND
	;;#ASMSTART
	v_dot2_f32_f16 v43, v10, v14, v43
	;;#ASMEND
	;;#ASMSTART
	v_dot2_f32_f16 v43, v11, v15, v43
	;;#ASMEND
	s_waitcnt lgkmcnt(5)
	;;#ASMSTART
	v_dot2_f32_f16 v44, v8, v65, v44
	;;#ASMEND
	;;#ASMSTART
	v_dot2_f32_f16 v44, v9, v66, v44
	;;#ASMEND
	;;#ASMSTART
	v_dot2_f32_f16 v44, v10, v67, v44
	;;#ASMEND
	;;#ASMSTART
	v_dot2_f32_f16 v44, v11, v68, v44
	;;#ASMEND
	;; [unrolled: 13-line block ×5, first 2 shown]
	;;#ASMSTART
	v_dot2_f32_f16 v48, v77, v65, v48
	;;#ASMEND
	;;#ASMSTART
	v_dot2_f32_f16 v48, v78, v66, v48
	;;#ASMEND
	;; [unrolled: 3-line block ×12, first 2 shown]
	s_waitcnt lgkmcnt(1)
	;;#ASMSTART
	v_dot2_f32_f16 v51, v81, v12, v51
	;;#ASMEND
	;;#ASMSTART
	v_dot2_f32_f16 v51, v82, v13, v51
	;;#ASMEND
	;; [unrolled: 3-line block ×16, first 2 shown]
	s_waitcnt lgkmcnt(0)
	;;#ASMSTART
	v_dot2_f32_f16 v55, v85, v12, v55
	;;#ASMEND
	;;#ASMSTART
	v_dot2_f32_f16 v55, v86, v13, v55
	;;#ASMEND
	;;#ASMSTART
	v_dot2_f32_f16 v55, v87, v14, v55
	;;#ASMEND
	;;#ASMSTART
	v_dot2_f32_f16 v55, v88, v15, v55
	;;#ASMEND
	;;#ASMSTART
	v_dot2_f32_f16 v56, v85, v65, v56
	;;#ASMEND
	;;#ASMSTART
	v_dot2_f32_f16 v56, v86, v66, v56
	;;#ASMEND
	;;#ASMSTART
	v_dot2_f32_f16 v56, v87, v67, v56
	;;#ASMEND
	;;#ASMSTART
	v_dot2_f32_f16 v56, v88, v68, v56
	;;#ASMEND
	;;#ASMSTART
	v_dot2_f32_f16 v57, v85, v69, v57
	;;#ASMEND
	;;#ASMSTART
	v_dot2_f32_f16 v57, v86, v70, v57
	;;#ASMEND
	;;#ASMSTART
	v_dot2_f32_f16 v57, v87, v71, v57
	;;#ASMEND
	;;#ASMSTART
	v_dot2_f32_f16 v57, v88, v72, v57
	;;#ASMEND
	;;#ASMSTART
	v_dot2_f32_f16 v58, v85, v73, v58
	;;#ASMEND
	;;#ASMSTART
	v_dot2_f32_f16 v58, v86, v74, v58
	;;#ASMEND
	;;#ASMSTART
	v_dot2_f32_f16 v58, v87, v75, v58
	;;#ASMEND
	;;#ASMSTART
	v_dot2_f32_f16 v58, v88, v76, v58
	;;#ASMEND
	ds_load_b128 v[8:11], v200 offset:16
	ds_load_b128 v[12:15], v201 offset:144
	ds_load_b128 v[65:68], v201 offset:400
	ds_load_b128 v[69:72], v201 offset:656
	ds_load_b128 v[73:76], v201 offset:912
	ds_load_b128 v[77:80], v200 offset:4624
	ds_load_b128 v[81:84], v200 offset:9232
	ds_load_b128 v[85:88], v200 offset:13840
	s_waitcnt lgkmcnt(6)
	;;#ASMSTART
	v_dot2_f32_f16 v43, v8, v12, v43
	;;#ASMEND
	;;#ASMSTART
	v_dot2_f32_f16 v43, v9, v13, v43
	;;#ASMEND
	;;#ASMSTART
	v_dot2_f32_f16 v43, v10, v14, v43
	;;#ASMEND
	;;#ASMSTART
	v_dot2_f32_f16 v43, v11, v15, v43
	;;#ASMEND
	s_waitcnt lgkmcnt(5)
	;;#ASMSTART
	v_dot2_f32_f16 v44, v8, v65, v44
	;;#ASMEND
	;;#ASMSTART
	v_dot2_f32_f16 v44, v9, v66, v44
	;;#ASMEND
	;;#ASMSTART
	v_dot2_f32_f16 v44, v10, v67, v44
	;;#ASMEND
	;;#ASMSTART
	v_dot2_f32_f16 v44, v11, v68, v44
	;;#ASMEND
	s_waitcnt lgkmcnt(4)
	;;#ASMSTART
	v_dot2_f32_f16 v45, v8, v69, v45
	;;#ASMEND
	;;#ASMSTART
	v_dot2_f32_f16 v45, v9, v70, v45
	;;#ASMEND
	;;#ASMSTART
	v_dot2_f32_f16 v45, v10, v71, v45
	;;#ASMEND
	;;#ASMSTART
	v_dot2_f32_f16 v45, v11, v72, v45
	;;#ASMEND
	s_waitcnt lgkmcnt(3)
	;;#ASMSTART
	v_dot2_f32_f16 v46, v8, v73, v46
	;;#ASMEND
	;;#ASMSTART
	v_dot2_f32_f16 v46, v9, v74, v46
	;;#ASMEND
	;;#ASMSTART
	v_dot2_f32_f16 v46, v10, v75, v46
	;;#ASMEND
	;;#ASMSTART
	v_dot2_f32_f16 v46, v11, v76, v46
	;;#ASMEND
	s_waitcnt lgkmcnt(2)
	;;#ASMSTART
	v_dot2_f32_f16 v47, v77, v12, v47
	;;#ASMEND
	;;#ASMSTART
	v_dot2_f32_f16 v47, v78, v13, v47
	;;#ASMEND
	;;#ASMSTART
	v_dot2_f32_f16 v47, v79, v14, v47
	;;#ASMEND
	;;#ASMSTART
	v_dot2_f32_f16 v47, v80, v15, v47
	;;#ASMEND
	;;#ASMSTART
	v_dot2_f32_f16 v48, v77, v65, v48
	;;#ASMEND
	;;#ASMSTART
	v_dot2_f32_f16 v48, v78, v66, v48
	;;#ASMEND
	;; [unrolled: 3-line block ×12, first 2 shown]
	s_waitcnt lgkmcnt(1)
	;;#ASMSTART
	v_dot2_f32_f16 v51, v81, v12, v51
	;;#ASMEND
	;;#ASMSTART
	v_dot2_f32_f16 v51, v82, v13, v51
	;;#ASMEND
	;; [unrolled: 3-line block ×16, first 2 shown]
	s_waitcnt lgkmcnt(0)
	;;#ASMSTART
	v_dot2_f32_f16 v55, v85, v12, v55
	;;#ASMEND
	;;#ASMSTART
	v_dot2_f32_f16 v55, v86, v13, v55
	;;#ASMEND
	;; [unrolled: 3-line block ×16, first 2 shown]
	ds_load_b128 v[8:11], v200 offset:32
	ds_load_b128 v[12:15], v201 offset:160
	;; [unrolled: 1-line block ×8, first 2 shown]
	s_waitcnt lgkmcnt(6)
	;;#ASMSTART
	v_dot2_f32_f16 v43, v8, v12, v43
	;;#ASMEND
	;;#ASMSTART
	v_dot2_f32_f16 v43, v9, v13, v43
	;;#ASMEND
	;;#ASMSTART
	v_dot2_f32_f16 v43, v10, v14, v43
	;;#ASMEND
	;;#ASMSTART
	v_dot2_f32_f16 v43, v11, v15, v43
	;;#ASMEND
	s_waitcnt lgkmcnt(5)
	;;#ASMSTART
	v_dot2_f32_f16 v44, v8, v65, v44
	;;#ASMEND
	;;#ASMSTART
	v_dot2_f32_f16 v44, v9, v66, v44
	;;#ASMEND
	;;#ASMSTART
	v_dot2_f32_f16 v44, v10, v67, v44
	;;#ASMEND
	;;#ASMSTART
	v_dot2_f32_f16 v44, v11, v68, v44
	;;#ASMEND
	;; [unrolled: 13-line block ×5, first 2 shown]
	;;#ASMSTART
	v_dot2_f32_f16 v48, v77, v65, v48
	;;#ASMEND
	;;#ASMSTART
	v_dot2_f32_f16 v48, v78, v66, v48
	;;#ASMEND
	;; [unrolled: 3-line block ×12, first 2 shown]
	s_waitcnt lgkmcnt(1)
	;;#ASMSTART
	v_dot2_f32_f16 v51, v81, v12, v51
	;;#ASMEND
	;;#ASMSTART
	v_dot2_f32_f16 v51, v82, v13, v51
	;;#ASMEND
	;; [unrolled: 3-line block ×16, first 2 shown]
	s_waitcnt lgkmcnt(0)
	;;#ASMSTART
	v_dot2_f32_f16 v55, v85, v12, v55
	;;#ASMEND
	;;#ASMSTART
	v_dot2_f32_f16 v55, v86, v13, v55
	;;#ASMEND
	;; [unrolled: 3-line block ×16, first 2 shown]
	ds_load_b128 v[8:11], v200 offset:48
	ds_load_b128 v[12:15], v201 offset:176
	;; [unrolled: 1-line block ×8, first 2 shown]
	s_waitcnt lgkmcnt(6)
	;;#ASMSTART
	v_dot2_f32_f16 v43, v8, v12, v43
	;;#ASMEND
	;;#ASMSTART
	v_dot2_f32_f16 v43, v9, v13, v43
	;;#ASMEND
	;;#ASMSTART
	v_dot2_f32_f16 v43, v10, v14, v43
	;;#ASMEND
	;;#ASMSTART
	v_dot2_f32_f16 v43, v11, v15, v43
	;;#ASMEND
	s_waitcnt lgkmcnt(5)
	;;#ASMSTART
	v_dot2_f32_f16 v44, v8, v65, v44
	;;#ASMEND
	;;#ASMSTART
	v_dot2_f32_f16 v44, v9, v66, v44
	;;#ASMEND
	;;#ASMSTART
	v_dot2_f32_f16 v44, v10, v67, v44
	;;#ASMEND
	;;#ASMSTART
	v_dot2_f32_f16 v44, v11, v68, v44
	;;#ASMEND
	;; [unrolled: 13-line block ×5, first 2 shown]
	;;#ASMSTART
	v_dot2_f32_f16 v48, v77, v65, v48
	;;#ASMEND
	;;#ASMSTART
	v_dot2_f32_f16 v48, v78, v66, v48
	;;#ASMEND
	;; [unrolled: 3-line block ×12, first 2 shown]
	s_waitcnt lgkmcnt(1)
	;;#ASMSTART
	v_dot2_f32_f16 v51, v81, v12, v51
	;;#ASMEND
	;;#ASMSTART
	v_dot2_f32_f16 v51, v82, v13, v51
	;;#ASMEND
	;;#ASMSTART
	v_dot2_f32_f16 v51, v83, v14, v51
	;;#ASMEND
	;;#ASMSTART
	v_dot2_f32_f16 v51, v84, v15, v51
	;;#ASMEND
	;;#ASMSTART
	v_dot2_f32_f16 v52, v81, v65, v52
	;;#ASMEND
	;;#ASMSTART
	v_dot2_f32_f16 v52, v82, v66, v52
	;;#ASMEND
	;;#ASMSTART
	v_dot2_f32_f16 v52, v83, v67, v52
	;;#ASMEND
	;;#ASMSTART
	v_dot2_f32_f16 v52, v84, v68, v52
	;;#ASMEND
	;;#ASMSTART
	v_dot2_f32_f16 v53, v81, v69, v53
	;;#ASMEND
	;;#ASMSTART
	v_dot2_f32_f16 v53, v82, v70, v53
	;;#ASMEND
	;;#ASMSTART
	v_dot2_f32_f16 v53, v83, v71, v53
	;;#ASMEND
	;;#ASMSTART
	v_dot2_f32_f16 v53, v84, v72, v53
	;;#ASMEND
	;;#ASMSTART
	v_dot2_f32_f16 v54, v81, v73, v54
	;;#ASMEND
	;;#ASMSTART
	v_dot2_f32_f16 v54, v82, v74, v54
	;;#ASMEND
	;;#ASMSTART
	v_dot2_f32_f16 v54, v83, v75, v54
	;;#ASMEND
	;;#ASMSTART
	v_dot2_f32_f16 v54, v84, v76, v54
	;;#ASMEND
	s_waitcnt lgkmcnt(0)
	;;#ASMSTART
	v_dot2_f32_f16 v55, v85, v12, v55
	;;#ASMEND
	;;#ASMSTART
	v_dot2_f32_f16 v55, v86, v13, v55
	;;#ASMEND
	;; [unrolled: 3-line block ×16, first 2 shown]
	ds_load_b128 v[8:11], v200 offset:64
	ds_load_b128 v[12:15], v201 offset:192
	;; [unrolled: 1-line block ×8, first 2 shown]
	s_waitcnt lgkmcnt(6)
	;;#ASMSTART
	v_dot2_f32_f16 v43, v8, v12, v43
	;;#ASMEND
	;;#ASMSTART
	v_dot2_f32_f16 v43, v9, v13, v43
	;;#ASMEND
	;;#ASMSTART
	v_dot2_f32_f16 v43, v10, v14, v43
	;;#ASMEND
	;;#ASMSTART
	v_dot2_f32_f16 v43, v11, v15, v43
	;;#ASMEND
	s_waitcnt lgkmcnt(5)
	;;#ASMSTART
	v_dot2_f32_f16 v44, v8, v65, v44
	;;#ASMEND
	;;#ASMSTART
	v_dot2_f32_f16 v44, v9, v66, v44
	;;#ASMEND
	;;#ASMSTART
	v_dot2_f32_f16 v44, v10, v67, v44
	;;#ASMEND
	;;#ASMSTART
	v_dot2_f32_f16 v44, v11, v68, v44
	;;#ASMEND
	;; [unrolled: 13-line block ×5, first 2 shown]
	;;#ASMSTART
	v_dot2_f32_f16 v48, v77, v65, v48
	;;#ASMEND
	;;#ASMSTART
	v_dot2_f32_f16 v48, v78, v66, v48
	;;#ASMEND
	;; [unrolled: 3-line block ×12, first 2 shown]
	s_waitcnt lgkmcnt(1)
	;;#ASMSTART
	v_dot2_f32_f16 v51, v81, v12, v51
	;;#ASMEND
	;;#ASMSTART
	v_dot2_f32_f16 v51, v82, v13, v51
	;;#ASMEND
	;; [unrolled: 3-line block ×16, first 2 shown]
	s_waitcnt lgkmcnt(0)
	;;#ASMSTART
	v_dot2_f32_f16 v55, v85, v12, v55
	;;#ASMEND
	;;#ASMSTART
	v_dot2_f32_f16 v55, v86, v13, v55
	;;#ASMEND
	;; [unrolled: 3-line block ×16, first 2 shown]
	ds_load_b128 v[8:11], v200 offset:80
	ds_load_b128 v[12:15], v201 offset:208
	;; [unrolled: 1-line block ×8, first 2 shown]
	s_waitcnt lgkmcnt(6)
	;;#ASMSTART
	v_dot2_f32_f16 v43, v8, v12, v43
	;;#ASMEND
	;;#ASMSTART
	v_dot2_f32_f16 v43, v9, v13, v43
	;;#ASMEND
	;;#ASMSTART
	v_dot2_f32_f16 v43, v10, v14, v43
	;;#ASMEND
	;;#ASMSTART
	v_dot2_f32_f16 v43, v11, v15, v43
	;;#ASMEND
	s_waitcnt lgkmcnt(5)
	;;#ASMSTART
	v_dot2_f32_f16 v44, v8, v65, v44
	;;#ASMEND
	;;#ASMSTART
	v_dot2_f32_f16 v44, v9, v66, v44
	;;#ASMEND
	;;#ASMSTART
	v_dot2_f32_f16 v44, v10, v67, v44
	;;#ASMEND
	;;#ASMSTART
	v_dot2_f32_f16 v44, v11, v68, v44
	;;#ASMEND
	;; [unrolled: 13-line block ×5, first 2 shown]
	;;#ASMSTART
	v_dot2_f32_f16 v48, v77, v65, v48
	;;#ASMEND
	;;#ASMSTART
	v_dot2_f32_f16 v48, v78, v66, v48
	;;#ASMEND
	;; [unrolled: 3-line block ×12, first 2 shown]
	s_waitcnt lgkmcnt(1)
	;;#ASMSTART
	v_dot2_f32_f16 v51, v81, v12, v51
	;;#ASMEND
	;;#ASMSTART
	v_dot2_f32_f16 v51, v82, v13, v51
	;;#ASMEND
	;; [unrolled: 3-line block ×16, first 2 shown]
	s_waitcnt lgkmcnt(0)
	;;#ASMSTART
	v_dot2_f32_f16 v55, v85, v12, v55
	;;#ASMEND
	;;#ASMSTART
	v_dot2_f32_f16 v55, v86, v13, v55
	;;#ASMEND
	;; [unrolled: 3-line block ×16, first 2 shown]
	ds_load_b128 v[8:11], v200 offset:96
	ds_load_b128 v[12:15], v201 offset:224
	;; [unrolled: 1-line block ×8, first 2 shown]
	s_waitcnt lgkmcnt(6)
	;;#ASMSTART
	v_dot2_f32_f16 v43, v8, v12, v43
	;;#ASMEND
	;;#ASMSTART
	v_dot2_f32_f16 v43, v9, v13, v43
	;;#ASMEND
	;;#ASMSTART
	v_dot2_f32_f16 v43, v10, v14, v43
	;;#ASMEND
	;;#ASMSTART
	v_dot2_f32_f16 v43, v11, v15, v43
	;;#ASMEND
	s_waitcnt lgkmcnt(5)
	;;#ASMSTART
	v_dot2_f32_f16 v44, v8, v65, v44
	;;#ASMEND
	;;#ASMSTART
	v_dot2_f32_f16 v44, v9, v66, v44
	;;#ASMEND
	;;#ASMSTART
	v_dot2_f32_f16 v44, v10, v67, v44
	;;#ASMEND
	;;#ASMSTART
	v_dot2_f32_f16 v44, v11, v68, v44
	;;#ASMEND
	;; [unrolled: 13-line block ×5, first 2 shown]
	;;#ASMSTART
	v_dot2_f32_f16 v48, v77, v65, v48
	;;#ASMEND
	;;#ASMSTART
	v_dot2_f32_f16 v48, v78, v66, v48
	;;#ASMEND
	;; [unrolled: 3-line block ×12, first 2 shown]
	s_waitcnt lgkmcnt(1)
	;;#ASMSTART
	v_dot2_f32_f16 v51, v81, v12, v51
	;;#ASMEND
	;;#ASMSTART
	v_dot2_f32_f16 v51, v82, v13, v51
	;;#ASMEND
	;; [unrolled: 3-line block ×16, first 2 shown]
	s_waitcnt lgkmcnt(0)
	;;#ASMSTART
	v_dot2_f32_f16 v55, v85, v12, v55
	;;#ASMEND
	;;#ASMSTART
	v_dot2_f32_f16 v55, v86, v13, v55
	;;#ASMEND
	;; [unrolled: 3-line block ×16, first 2 shown]
	ds_load_b128 v[8:11], v200 offset:112
	ds_load_b128 v[12:15], v201 offset:240
	;; [unrolled: 1-line block ×8, first 2 shown]
	s_waitcnt lgkmcnt(6)
	;;#ASMSTART
	v_dot2_f32_f16 v43, v8, v12, v43
	;;#ASMEND
	;;#ASMSTART
	v_dot2_f32_f16 v43, v9, v13, v43
	;;#ASMEND
	;;#ASMSTART
	v_dot2_f32_f16 v43, v10, v14, v43
	;;#ASMEND
	;;#ASMSTART
	v_dot2_f32_f16 v43, v11, v15, v43
	;;#ASMEND
	s_waitcnt lgkmcnt(5)
	;;#ASMSTART
	v_dot2_f32_f16 v44, v8, v65, v44
	;;#ASMEND
	;;#ASMSTART
	v_dot2_f32_f16 v44, v9, v66, v44
	;;#ASMEND
	;;#ASMSTART
	v_dot2_f32_f16 v44, v10, v67, v44
	;;#ASMEND
	;;#ASMSTART
	v_dot2_f32_f16 v44, v11, v68, v44
	;;#ASMEND
	;; [unrolled: 13-line block ×5, first 2 shown]
	;;#ASMSTART
	v_dot2_f32_f16 v48, v77, v65, v48
	;;#ASMEND
	;;#ASMSTART
	v_dot2_f32_f16 v48, v78, v66, v48
	;;#ASMEND
	;; [unrolled: 3-line block ×12, first 2 shown]
	s_waitcnt lgkmcnt(1)
	;;#ASMSTART
	v_dot2_f32_f16 v51, v81, v12, v51
	;;#ASMEND
	;;#ASMSTART
	v_dot2_f32_f16 v51, v82, v13, v51
	;;#ASMEND
	;; [unrolled: 3-line block ×16, first 2 shown]
	s_waitcnt lgkmcnt(0)
	;;#ASMSTART
	v_dot2_f32_f16 v55, v85, v12, v55
	;;#ASMEND
	;;#ASMSTART
	v_dot2_f32_f16 v55, v86, v13, v55
	;;#ASMEND
	;;#ASMSTART
	v_dot2_f32_f16 v55, v87, v14, v55
	;;#ASMEND
	;;#ASMSTART
	v_dot2_f32_f16 v55, v88, v15, v55
	;;#ASMEND
	;;#ASMSTART
	v_dot2_f32_f16 v56, v85, v65, v56
	;;#ASMEND
	;;#ASMSTART
	v_dot2_f32_f16 v56, v86, v66, v56
	;;#ASMEND
	;;#ASMSTART
	v_dot2_f32_f16 v56, v87, v67, v56
	;;#ASMEND
	;;#ASMSTART
	v_dot2_f32_f16 v56, v88, v68, v56
	;;#ASMEND
	;;#ASMSTART
	v_dot2_f32_f16 v57, v85, v69, v57
	;;#ASMEND
	;;#ASMSTART
	v_dot2_f32_f16 v57, v86, v70, v57
	;;#ASMEND
	;;#ASMSTART
	v_dot2_f32_f16 v57, v87, v71, v57
	;;#ASMEND
	;;#ASMSTART
	v_dot2_f32_f16 v57, v88, v72, v57
	;;#ASMEND
	;;#ASMSTART
	v_dot2_f32_f16 v58, v85, v73, v58
	;;#ASMEND
	;;#ASMSTART
	v_dot2_f32_f16 v58, v86, v74, v58
	;;#ASMEND
	;;#ASMSTART
	v_dot2_f32_f16 v58, v87, v75, v58
	;;#ASMEND
	;;#ASMSTART
	v_dot2_f32_f16 v58, v88, v76, v58
	;;#ASMEND
	s_clause 0x3
	flat_load_u16 v65, v[6:7] offset:64
	flat_load_u16 v66, v[6:7] offset:128
	flat_load_u16 v67, v[6:7]
	flat_load_u16 v68, v[6:7] offset:192
	s_waitcnt vmcnt(0) lgkmcnt(0)
	s_barrier
	buffer_gl0_inv
	s_clause 0x3
	global_load_b128 v[4:7], v[4:5], off
	global_load_b128 v[8:11], v[0:1], off
	;; [unrolled: 1-line block ×4, first 2 shown]
	v_cvt_f32_f16_e32 v0, v65
	v_cvt_f32_f16_e32 v1, v66
	v_cvt_f32_f16_e32 v2, v67
	v_cvt_f32_f16_e32 v3, v68
	s_delay_alu instid0(VALU_DEP_4) | instskip(NEXT) | instid1(VALU_DEP_4)
	v_add_f32_e32 v47, v47, v0
	v_add_f32_e32 v51, v51, v1
	s_delay_alu instid0(VALU_DEP_4)
	v_dual_add_f32 v43, v43, v2 :: v_dual_add_f32 v48, v48, v0
	v_dual_add_f32 v52, v52, v1 :: v_dual_add_f32 v49, v49, v0
	;; [unrolled: 1-line block ×6, first 2 shown]
	s_delay_alu instid0(VALU_DEP_3) | instskip(SKIP_1) | instid1(VALU_DEP_4)
	v_dual_add_f32 v0, 0x40051340, v47 :: v_dual_add_f32 v71, 0x40051340, v45
	v_dual_add_f32 v2, 0x40051340, v49 :: v_dual_add_f32 v67, 0x40051340, v51
	;; [unrolled: 1-line block ×3, first 2 shown]
	s_delay_alu instid0(VALU_DEP_3) | instskip(SKIP_3) | instid1(VALU_DEP_4)
	v_max3_f32 v0, v42, v65, v0
	v_dual_add_f32 v53, v53, v1 :: v_dual_add_f32 v56, v56, v3
	v_dual_add_f32 v1, 0x40051340, v48 :: v_dual_add_f32 v58, v58, v3
	v_add_f32_e32 v3, 0x40051340, v50
	v_max3_f32 v0, v0, v67, v69
	s_delay_alu instid0(VALU_DEP_4)
	v_dual_add_f32 v68, 0x40051340, v52 :: v_dual_add_f32 v73, 0x40051340, v53
	v_dual_add_f32 v70, 0x40051340, v56 :: v_dual_add_f32 v75, 0x40051340, v57
	ds_bpermute_b32 v65, v64, v0
	v_add_f32_e32 v72, 0x40051340, v46
	v_max3_f32 v1, v41, v66, v1
	v_add_f32_e32 v74, 0x40051340, v54
	v_add_f32_e32 v76, 0x40051340, v58
	v_max3_f32 v2, v40, v71, v2
	s_delay_alu instid0(VALU_DEP_4) | instskip(NEXT) | instid1(VALU_DEP_2)
	v_max3_f32 v1, v1, v68, v70
	v_max3_f32 v2, v2, v73, v75
	ds_bpermute_b32 v66, v64, v1
	s_waitcnt lgkmcnt(1)
	v_max_f32_e32 v65, v65, v65
	v_max3_f32 v3, v39, v72, v3
	s_delay_alu instid0(VALU_DEP_2) | instskip(NEXT) | instid1(VALU_DEP_2)
	v_max_f32_e32 v0, v0, v65
	v_max3_f32 v3, v3, v74, v76
	ds_bpermute_b32 v67, v64, v3
	ds_bpermute_b32 v64, v64, v2
	s_waitcnt lgkmcnt(2)
	v_max_f32_e32 v66, v66, v66
	s_delay_alu instid0(VALU_DEP_1) | instskip(SKIP_3) | instid1(VALU_DEP_1)
	v_max_f32_e32 v1, v1, v66
	ds_bpermute_b32 v65, v63, v1
	s_waitcnt lgkmcnt(1)
	v_dual_max_f32 v67, v67, v67 :: v_dual_max_f32 v64, v64, v64
	v_max_f32_e32 v3, v3, v67
	ds_bpermute_b32 v66, v63, v3
	s_waitcnt lgkmcnt(1)
	v_dual_max_f32 v65, v65, v65 :: v_dual_max_f32 v2, v2, v64
	ds_bpermute_b32 v64, v63, v0
	v_max_f32_e32 v1, v1, v65
	ds_bpermute_b32 v63, v63, v2
	s_waitcnt lgkmcnt(2)
	v_max_f32_e32 v66, v66, v66
	s_waitcnt lgkmcnt(1)
	s_delay_alu instid0(VALU_DEP_1)
	v_dual_max_f32 v64, v64, v64 :: v_dual_max_f32 v3, v3, v66
	s_waitcnt lgkmcnt(0)
	v_max_f32_e32 v63, v63, v63
	ds_bpermute_b32 v65, v62, v3
	v_max_f32_e32 v0, v0, v64
	ds_bpermute_b32 v64, v62, v1
	s_waitcnt lgkmcnt(0)
	v_dual_max_f32 v65, v65, v65 :: v_dual_max_f32 v64, v64, v64
	s_delay_alu instid0(VALU_DEP_1) | instskip(NEXT) | instid1(VALU_DEP_2)
	v_dual_max_f32 v3, v3, v65 :: v_dual_max_f32 v2, v2, v63
	v_max_f32_e32 v1, v1, v64
	ds_bpermute_b32 v63, v62, v0
	ds_bpermute_b32 v64, v61, v3
	;; [unrolled: 1-line block ×3, first 2 shown]
	s_waitcnt lgkmcnt(1)
	v_dual_max_f32 v63, v63, v63 :: v_dual_max_f32 v64, v64, v64
	s_delay_alu instid0(VALU_DEP_1) | instskip(SKIP_4) | instid1(VALU_DEP_1)
	v_max_f32_e32 v0, v0, v63
	ds_bpermute_b32 v63, v61, v1
	s_waitcnt lgkmcnt(1)
	v_dual_max_f32 v62, v62, v62 :: v_dual_max_f32 v3, v3, v64
	s_waitcnt lgkmcnt(0)
	v_dual_max_f32 v63, v63, v63 :: v_dual_max_f32 v2, v2, v62
	ds_bpermute_b32 v62, v61, v0
	v_max_f32_e32 v1, v1, v63
	ds_bpermute_b32 v61, v61, v2
	ds_bpermute_b32 v63, v60, v3
	s_waitcnt lgkmcnt(1)
	v_dual_max_f32 v62, v62, v62 :: v_dual_max_f32 v61, v61, v61
	s_waitcnt lgkmcnt(0)
	s_delay_alu instid0(VALU_DEP_1) | instskip(SKIP_2) | instid1(VALU_DEP_1)
	v_dual_max_f32 v0, v0, v62 :: v_dual_max_f32 v63, v63, v63
	ds_bpermute_b32 v62, v60, v1
	v_max_f32_e32 v3, v3, v63
	v_sub_f32_e32 v39, v39, v3
	v_sub_f32_e32 v50, v50, v3
	s_delay_alu instid0(VALU_DEP_2) | instskip(NEXT) | instid1(VALU_DEP_2)
	v_mul_f32_e32 v79, 0x3fb8aa3b, v39
	v_cmp_ngt_f32_e64 s17, 0xc2ce8ed0, v50
	v_cmp_nlt_f32_e64 s38, 0x42b17218, v50
	v_cmp_ngt_f32_e64 s20, 0xc2ce8ed0, v39
	v_cmp_nlt_f32_e64 s41, 0x42b17218, v39
	v_fma_f32 v118, 0x3fb8aa3b, v39, -v79
	s_waitcnt lgkmcnt(0)
	v_max_f32_e32 v62, v62, v62
	v_max_f32_e32 v2, v2, v61
	ds_bpermute_b32 v61, v60, v0
	v_rndne_f32_e32 v119, v79
	v_dual_fmac_f32 v118, 0x32a5705f, v39 :: v_dual_max_f32 v1, v1, v62
	ds_bpermute_b32 v60, v60, v2
	v_sub_f32_e32 v39, v79, v119
	v_cvt_i32_f32_e32 v79, v119
	v_sub_f32_e32 v41, v41, v1
	v_sub_f32_e32 v44, v44, v1
	;; [unrolled: 1-line block ×5, first 2 shown]
	v_dual_mul_f32 v69, 0x3fb8aa3b, v41 :: v_dual_sub_f32 v58, v58, v3
	s_delay_alu instid0(VALU_DEP_3) | instskip(NEXT) | instid1(VALU_DEP_3)
	v_dual_add_f32 v39, v39, v118 :: v_dual_mul_f32 v66, 0x3fb8aa3b, v48
	v_mul_f32_e32 v67, 0x3fb8aa3b, v52
	v_cmp_ngt_f32_e64 s6, 0xc2ce8ed0, v48
	v_cmp_nlt_f32_e64 s26, 0x42b17218, v48
	s_waitcnt lgkmcnt(1)
	v_max_f32_e32 v61, v61, v61
	v_fma_f32 v92, 0x3fb8aa3b, v48, -v66
	v_rndne_f32_e32 v93, v66
	v_exp_f32_e32 v39, v39
	s_waitcnt lgkmcnt(0)
	v_max_f32_e32 v60, v60, v60
	v_fma_f32 v98, 0x3fb8aa3b, v41, -v69
	v_fmac_f32_e32 v92, 0x32a5705f, v48
	v_rndne_f32_e32 v99, v69
	v_cmp_ngt_f32_e32 vcc_lo, 0xc2ce8ed0, v44
	v_max_f32_e32 v2, v2, v60
	v_max_f32_e32 v0, v0, v61
	v_dual_sub_f32 v46, v46, v3 :: v_dual_mul_f32 v61, 0x3fb8aa3b, v44
	v_ldexp_f32 v39, v39, v79
	s_delay_alu instid0(VALU_DEP_4)
	v_sub_f32_e32 v53, v53, v2
	v_sub_f32_e32 v49, v49, v2
	;; [unrolled: 1-line block ×3, first 2 shown]
	v_dual_sub_f32 v42, v42, v0 :: v_dual_sub_f32 v45, v45, v2
	v_dual_sub_f32 v55, v55, v0 :: v_dual_sub_f32 v40, v40, v2
	;; [unrolled: 1-line block ×3, first 2 shown]
	s_delay_alu instid0(VALU_DEP_3) | instskip(NEXT) | instid1(VALU_DEP_3)
	v_dual_mul_f32 v65, 0x3fb8aa3b, v42 :: v_dual_mul_f32 v60, 0x3fb8aa3b, v47
	v_dual_mul_f32 v64, 0x3fb8aa3b, v55 :: v_dual_mul_f32 v73, 0x3fb8aa3b, v53
	s_delay_alu instid0(VALU_DEP_3) | instskip(SKIP_1) | instid1(VALU_DEP_4)
	v_dual_mul_f32 v68, 0x3fb8aa3b, v56 :: v_dual_mul_f32 v77, 0x3fb8aa3b, v54
	v_dual_mul_f32 v70, 0x3fb8aa3b, v49 :: v_dual_mul_f32 v75, 0x3fb8aa3b, v40
	v_fma_f32 v80, 0x3fb8aa3b, v47, -v60
	v_rndne_f32_e32 v81, v60
	v_mul_f32_e32 v76, 0x3fb8aa3b, v50
	v_cmp_ngt_f32_e64 s28, 0xc2ce8ed0, v47
	v_cmp_nlt_f32_e64 s42, 0x42b17218, v47
	v_rndne_f32_e32 v89, v64
	v_fma_f32 v110, 0x3fb8aa3b, v40, -v75
	v_rndne_f32_e32 v111, v75
	v_fma_f32 v114, 0x3fb8aa3b, v54, -v77
	v_rndne_f32_e32 v115, v77
	v_dual_fmac_f32 v80, 0x32a5705f, v47 :: v_dual_sub_f32 v47, v60, v81
	v_fma_f32 v112, 0x3fb8aa3b, v50, -v76
	v_rndne_f32_e32 v113, v76
	v_cmp_ngt_f32_e64 s16, 0xc2ce8ed0, v40
	v_cmp_ngt_f32_e64 s18, 0xc2ce8ed0, v54
	v_cmp_nlt_f32_e64 s37, 0x42b17218, v40
	v_cmp_nlt_f32_e64 s39, 0x42b17218, v54
	v_fmac_f32_e32 v110, 0x32a5705f, v40
	v_sub_f32_e32 v40, v75, v111
	v_fmac_f32_e32 v112, 0x32a5705f, v50
	v_sub_f32_e32 v50, v76, v113
	v_fmac_f32_e32 v114, 0x32a5705f, v54
	v_dual_sub_f32 v54, v77, v115 :: v_dual_sub_f32 v43, v43, v0
	v_add_f32_e32 v40, v40, v110
	s_delay_alu instid0(VALU_DEP_4) | instskip(NEXT) | instid1(VALU_DEP_3)
	v_add_f32_e32 v50, v50, v112
	v_dual_sub_f32 v51, v51, v0 :: v_dual_add_f32 v54, v54, v114
	s_delay_alu instid0(VALU_DEP_4) | instskip(NEXT) | instid1(VALU_DEP_4)
	v_dual_mul_f32 v62, 0x3fb8aa3b, v43 :: v_dual_mul_f32 v71, 0x3fb8aa3b, v46
	v_exp_f32_e32 v40, v40
	s_delay_alu instid0(VALU_DEP_3) | instskip(NEXT) | instid1(VALU_DEP_2)
	v_exp_f32_e32 v50, v50
	v_exp_f32_e32 v54, v54
	v_dual_mul_f32 v63, 0x3fb8aa3b, v51 :: v_dual_mul_f32 v72, 0x3fb8aa3b, v45
	v_fma_f32 v84, 0x3fb8aa3b, v43, -v62
	v_rndne_f32_e32 v85, v62
	v_cvt_i32_f32_e32 v75, v111
	v_cvt_i32_f32_e32 v76, v113
	;; [unrolled: 1-line block ×3, first 2 shown]
	v_mul_f32_e32 v78, 0x3fb8aa3b, v58
	v_cmp_ngt_f32_e64 s2, 0xc2ce8ed0, v43
	v_cmp_nlt_f32_e64 s22, 0x42b17218, v43
	v_fma_f32 v86, 0x3fb8aa3b, v51, -v63
	v_rndne_f32_e32 v87, v63
	v_mul_f32_e32 v74, 0x3fb8aa3b, v57
	v_fma_f32 v88, 0x3fb8aa3b, v55, -v64
	v_fma_f32 v90, 0x3fb8aa3b, v42, -v65
	v_rndne_f32_e32 v91, v65
	v_fma_f32 v104, 0x3fb8aa3b, v45, -v72
	v_rndne_f32_e32 v105, v72
	v_dual_fmac_f32 v84, 0x32a5705f, v43 :: v_dual_sub_f32 v43, v62, v85
	v_ldexp_f32 v40, v40, v75
	v_ldexp_f32 v50, v50, v76
	v_ldexp_f32 v54, v54, v77
	v_cmp_ngt_f32_e64 s3, 0xc2ce8ed0, v51
	v_cmp_ngt_f32_e64 s4, 0xc2ce8ed0, v55
	v_cmp_ngt_f32_e64 s5, 0xc2ce8ed0, v42
	v_cmp_ngt_f32_e64 s12, 0xc2ce8ed0, v45
	v_cmp_nlt_f32_e64 s23, 0x42b17218, v51
	v_cmp_nlt_f32_e64 s24, 0x42b17218, v55
	;; [unrolled: 1-line block ×4, first 2 shown]
	v_rndne_f32_e32 v107, v73
	v_fmac_f32_e32 v86, 0x32a5705f, v51
	v_sub_f32_e32 v51, v63, v87
	v_fma_f32 v108, 0x3fb8aa3b, v57, -v74
	v_rndne_f32_e32 v109, v74
	v_dual_fmac_f32 v88, 0x32a5705f, v55 :: v_dual_sub_f32 v55, v64, v89
	v_dual_add_f32 v47, v47, v80 :: v_dual_fmac_f32 v90, 0x32a5705f, v42
	v_fmac_f32_e32 v104, 0x32a5705f, v45
	v_dual_sub_f32 v45, v72, v105 :: v_dual_sub_f32 v42, v65, v91
	v_add_f32_e32 v43, v43, v84
	v_cndmask_b32_e64 v40, 0, v40, s16
	v_cndmask_b32_e64 v50, 0, v50, s17
	v_cndmask_b32_e64 v54, 0, v54, s18
	v_cmp_ngt_f32_e64 s15, 0xc2ce8ed0, v57
	v_cmp_nlt_f32_e64 s36, 0x42b17218, v57
	v_exp_f32_e32 v47, v47
	v_exp_f32_e32 v43, v43
	v_cndmask_b32_e64 v239, 0x7f800000, v40, s37
	v_cndmask_b32_e64 v40, 0x7f800000, v50, s38
	;; [unrolled: 1-line block ×3, first 2 shown]
	v_fmac_f32_e32 v108, 0x32a5705f, v57
	v_sub_f32_e32 v57, v74, v109
	v_dual_sub_f32 v48, v66, v93 :: v_dual_add_f32 v51, v51, v86
	v_cvt_i32_f32_e32 v60, v81
	v_cvt_i32_f32_e32 v62, v85
	;; [unrolled: 1-line block ×3, first 2 shown]
	v_fma_f32 v82, 0x3fb8aa3b, v44, -v61
	v_exp_f32_e32 v51, v51
	v_ldexp_f32 v47, v47, v60
	v_ldexp_f32 v43, v43, v62
	v_rndne_f32_e32 v83, v61
	v_fma_f32 v100, 0x3fb8aa3b, v49, -v70
	v_rndne_f32_e32 v101, v70
	v_cndmask_b32_e64 v47, 0, v47, s28
	v_cndmask_b32_e64 v43, 0, v43, s2
	v_cmp_ngt_f32_e64 s9, 0xc2ce8ed0, v41
	v_cmp_ngt_f32_e64 s10, 0xc2ce8ed0, v49
	v_ldexp_f32 v51, v51, v63
	v_cmp_nlt_f32_e64 s21, 0x42b17218, v44
	v_cmp_nlt_f32_e64 s30, 0x42b17218, v41
	;; [unrolled: 1-line block ×3, first 2 shown]
	v_fma_f32 v94, 0x3fb8aa3b, v52, -v67
	v_rndne_f32_e32 v95, v67
	v_fma_f32 v102, 0x3fb8aa3b, v46, -v71
	v_fma_f32 v106, 0x3fb8aa3b, v53, -v73
	v_fmac_f32_e32 v82, 0x32a5705f, v44
	v_sub_f32_e32 v44, v61, v83
	v_dual_fmac_f32 v98, 0x32a5705f, v41 :: v_dual_add_f32 v45, v45, v104
	v_dual_sub_f32 v41, v69, v99 :: v_dual_fmac_f32 v100, 0x32a5705f, v49
	v_add_f32_e32 v57, v57, v108
	v_sub_f32_e32 v49, v70, v101
	v_cndmask_b32_e64 v51, 0, v51, s3
	v_cndmask_b32_e64 v39, 0, v39, s20
	;; [unrolled: 1-line block ×4, first 2 shown]
	v_cmp_ngt_f32_e64 s7, 0xc2ce8ed0, v52
	v_cmp_ngt_f32_e64 s13, 0xc2ce8ed0, v53
	v_cmp_nlt_f32_e64 s27, 0x42b17218, v52
	v_cmp_nlt_f32_e64 s35, 0x42b17218, v53
	v_fma_f32 v96, 0x3fb8aa3b, v56, -v68
	v_dual_fmac_f32 v94, 0x32a5705f, v52 :: v_dual_add_f32 v41, v41, v98
	v_dual_sub_f32 v52, v67, v95 :: v_dual_add_f32 v49, v49, v100
	v_fmac_f32_e32 v102, 0x32a5705f, v46
	v_cndmask_b32_e64 v51, 0x7f800000, v51, s23
	v_cndmask_b32_e64 v240, 0x7f800000, v39, s41
	v_dual_add_f32 v39, v43, v47 :: v_dual_fmac_f32 v106, 0x32a5705f, v53
	v_sub_f32_e32 v53, v73, v107
	v_exp_f32_e32 v41, v41
	v_exp_f32_e32 v49, v49
	;; [unrolled: 1-line block ×3, first 2 shown]
	v_cvt_f16_f32_e32 v54, v51
	v_dual_add_f32 v51, v51, v39 :: v_dual_fmac_f32 v96, 0x32a5705f, v56
	v_add_f32_e32 v53, v53, v106
	v_cvt_i32_f32_e32 v69, v99
	v_cvt_i32_f32_e32 v70, v101
	;; [unrolled: 1-line block ×4, first 2 shown]
	v_exp_f32_e32 v53, v53
	v_add_f32_e32 v44, v44, v82
	v_exp_f32_e32 v57, v57
	v_ldexp_f32 v41, v41, v69
	v_ldexp_f32 v49, v49, v70
	;; [unrolled: 1-line block ×3, first 2 shown]
	v_cvt_i32_f32_e32 v74, v109
	v_exp_f32_e32 v44, v44
	v_cndmask_b32_e64 v41, 0, v41, s9
	v_cndmask_b32_e64 v49, 0, v49, s10
	v_ldexp_f32 v53, v53, v73
	v_cndmask_b32_e64 v45, 0, v45, s12
	v_rndne_f32_e32 v103, v71
	v_cvt_i32_f32_e32 v61, v83
	v_ldexp_f32 v57, v57, v74
	v_cndmask_b32_e64 v53, 0, v53, s13
	v_cndmask_b32_e64 v238, 0x7f800000, v41, s30
	;; [unrolled: 1-line block ×4, first 2 shown]
	v_cmp_ngt_f32_e64 s11, 0xc2ce8ed0, v46
	v_cmp_nlt_f32_e64 s33, 0x42b17218, v46
	v_sub_f32_e32 v46, v71, v103
	v_ldexp_f32 v44, v44, v61
	v_add_f32_e32 v61, v45, v41
	v_cndmask_b32_e64 v57, 0, v57, s15
	v_cndmask_b32_e64 v49, 0x7f800000, v53, s35
	v_rndne_f32_e32 v97, v68
	v_fma_f32 v116, 0x3fb8aa3b, v58, -v78
	v_rndne_f32_e32 v117, v78
	v_cndmask_b32_e64 v221, 0x7f800000, v57, s36
	v_add_f32_e32 v241, v49, v61
	v_cmp_ngt_f32_e64 s8, 0xc2ce8ed0, v56
	v_cmp_ngt_f32_e64 s19, 0xc2ce8ed0, v58
	v_cmp_nlt_f32_e64 s29, 0x42b17218, v56
	v_cmp_nlt_f32_e64 s40, 0x42b17218, v58
	v_dual_sub_f32 v56, v68, v97 :: v_dual_add_f32 v55, v55, v88
	v_cvt_f16_f32_e64 v63, v221
	v_dual_add_f32 v221, v221, v241 :: v_dual_fmac_f32 v116, 0x32a5705f, v58
	v_sub_f32_e32 v58, v78, v117
	v_add_f32_e32 v42, v42, v90
	v_add_f32_e32 v48, v48, v92
	s_delay_alu instid0(VALU_DEP_4)
	v_dual_fmac_f32 v221, v36, v239 :: v_dual_add_f32 v46, v46, v102
	v_add_f32_e32 v52, v52, v94
	v_add_f32_e32 v56, v56, v96
	v_add_f32_e32 v58, v58, v116
	v_exp_f32_e32 v42, v42
	v_exp_f32_e32 v48, v48
	;; [unrolled: 1-line block ×7, first 2 shown]
	v_cvt_i32_f32_e32 v65, v91
	v_cvt_i32_f32_e32 v66, v93
	v_cvt_i32_f32_e32 v71, v103
	v_cvt_i32_f32_e32 v64, v89
	v_cvt_i32_f32_e32 v67, v95
	v_cvt_i32_f32_e32 v68, v97
	v_cvt_i32_f32_e32 v78, v117
	v_ldexp_f32 v42, v42, v65
	v_ldexp_f32 v48, v48, v66
	v_ldexp_f32 v46, v46, v71
	v_ldexp_f32 v55, v55, v64
	v_ldexp_f32 v52, v52, v67
	v_ldexp_f32 v56, v56, v68
	v_ldexp_f32 v58, v58, v78
	v_cndmask_b32_e32 v44, 0, v44, vcc_lo
	v_cndmask_b32_e64 v42, 0, v42, s5
	v_cndmask_b32_e64 v48, 0, v48, s6
	;; [unrolled: 1-line block ×15, first 2 shown]
	v_cvt_f16_f32_e32 v47, v47
	v_cvt_f16_f32_e32 v57, v44
	;; [unrolled: 1-line block ×3, first 2 shown]
	v_add_f32_e32 v44, v44, v42
	v_cvt_f16_f32_e32 v42, v42
	v_cvt_f16_f32_e32 v41, v41
	v_cvt_f16_f32_e64 v224, v239
	v_cvt_f16_f32_e32 v64, v46
	v_cvt_f16_f32_e32 v45, v45
	v_add_f32_e32 v46, v46, v40
	v_cvt_f16_f32_e32 v40, v40
	v_cvt_f16_f32_e64 v67, v240
	v_cvt_f16_f32_e32 v56, v55
	v_cvt_f16_f32_e32 v58, v48
	;; [unrolled: 1-line block ×6, first 2 shown]
	v_cvt_f16_f32_e64 v222, v218
	v_cvt_f16_f32_e64 v223, v238
	v_add_f32_e32 v48, v48, v44
	v_pk_mul_f16 v226, v224, v31 op_sel_hi:[0,1]
	v_add_f32_e32 v31, v50, v46
	v_pk_mul_f16 v227, v67, v29 op_sel_hi:[0,1]
	v_pk_mul_f16 v228, v67, v28 op_sel_hi:[0,1]
	v_pack_b32_f16 v29, v45, v64
	v_pack_b32_f16 v28, v43, v57
	;; [unrolled: 1-line block ×8, first 2 shown]
	v_pk_mul_f16 v35, v222, v35 op_sel_hi:[0,1]
	v_pk_mul_f16 v225, v223, v33 op_sel_hi:[0,1]
	v_dual_add_f32 v219, v55, v51 :: v_dual_add_f32 v220, v52, v48
	v_add_f32_e32 v242, v53, v31
	ds_store_2addr_b64 v209, v[28:29], v[39:40] offset1:32
	ds_store_2addr_b64 v209, v[41:42], v[43:44] offset0:64 offset1:96
	s_waitcnt vmcnt(3)
	ds_store_b128 v202, v[4:7]
	s_waitcnt vmcnt(2)
	ds_store_b128 v205, v[8:11]
	;; [unrolled: 2-line block ×4, first 2 shown]
	s_waitcnt lgkmcnt(0)
	s_barrier
	buffer_gl0_inv
	ds_load_2addr_b64 v[4:7], v204 offset1:32
	ds_load_b128 v[8:11], v203
	ds_load_b128 v[12:15], v203 offset:16
	ds_load_b128 v[16:19], v203 offset:32
	ds_load_b128 v[39:42], v203 offset:48
	ds_load_2addr_b64 v[43:46], v204 offset0:64 offset1:96
	ds_load_2addr_b64 v[47:50], v204 offset0:128 offset1:160
	;; [unrolled: 1-line block ×3, first 2 shown]
	ds_load_2addr_b64 v[55:58], v211 offset1:32
	ds_load_2addr_b64 v[60:63], v211 offset0:64 offset1:96
	ds_load_b128 v[64:67], v203 offset:64
	ds_load_b128 v[68:71], v203 offset:80
	ds_load_2addr_b64 v[72:75], v211 offset0:128 offset1:160
	ds_load_2addr_b64 v[76:79], v211 offset0:192 offset1:224
	ds_load_b128 v[80:83], v203 offset:96
	ds_load_b128 v[84:87], v203 offset:112
	ds_load_2addr_b64 v[88:91], v212 offset1:32
	ds_load_2addr_b64 v[92:95], v212 offset0:64 offset1:96
	ds_load_b128 v[96:99], v203 offset:128
	ds_load_b128 v[100:103], v203 offset:144
	ds_load_2addr_b64 v[104:107], v212 offset0:128 offset1:160
	ds_load_2addr_b64 v[108:111], v212 offset0:192 offset1:224
	ds_load_b128 v[112:115], v203 offset:160
	ds_load_b128 v[116:119], v203 offset:176
	;; [unrolled: 8-line block ×3, first 2 shown]
	ds_load_2addr_b64 v[152:155], v214 offset1:32
	ds_load_2addr_b64 v[156:159], v214 offset0:64 offset1:96
	ds_load_b128 v[160:163], v203 offset:256
	ds_load_b128 v[164:167], v203 offset:272
	s_waitcnt lgkmcnt(34)
	v_pk_mul_f16 v28, v4, v8 op_sel_hi:[1,0]
	v_pk_mul_f16 v29, v4, v8 op_sel:[0,1]
	v_pk_fma_f16 v35, v5, v8, v35 op_sel_hi:[1,0,1]
	v_pk_fma_f16 v8, v5, v8, v225 op_sel:[0,1,0]
	v_fmac_f32_e32 v219, v38, v218
	v_pk_fma_f16 v28, v222, v34, v28 op_sel_hi:[0,1,1]
	v_pk_fma_f16 v29, v223, v32, v29 op_sel_hi:[0,1,1]
	v_pk_mul_f16 v222, v4, v9 op_sel_hi:[1,0]
	v_pk_fma_f16 v4, v4, v9, v227 op_sel:[0,1,0]
	v_pk_fma_f16 v223, v5, v9, v226 op_sel_hi:[1,0,1]
	v_pk_fma_f16 v5, v5, v9, v228 op_sel:[0,1,0]
	v_pk_fma_f16 v8, v7, v10, v8 op_sel:[0,1,0]
	v_pk_fma_f16 v9, v224, v30, v222 op_sel_hi:[0,1,1]
	v_pk_fma_f16 v4, v6, v11, v4 op_sel:[0,1,0]
	v_pk_fma_f16 v30, v7, v10, v35 op_sel_hi:[1,0,1]
	v_pk_fma_f16 v35, v7, v11, v223 op_sel_hi:[1,0,1]
	v_pk_fma_f16 v5, v7, v11, v5 op_sel:[0,1,0]
	v_pk_fma_f16 v7, v6, v10, v28 op_sel_hi:[1,0,1]
	v_pk_fma_f16 v10, v6, v10, v29 op_sel:[0,1,0]
	v_pk_fma_f16 v6, v6, v11, v9 op_sel_hi:[1,0,1]
	s_waitcnt lgkmcnt(30)
	v_pk_fma_f16 v4, v43, v13, v4 op_sel:[0,1,0]
	v_pk_fma_f16 v9, v44, v12, v30 op_sel_hi:[1,0,1]
	v_pk_fma_f16 v8, v44, v12, v8 op_sel:[0,1,0]
	v_pk_fma_f16 v11, v44, v13, v35 op_sel_hi:[1,0,1]
	v_pk_fma_f16 v5, v44, v13, v5 op_sel:[0,1,0]
	v_pk_fma_f16 v10, v43, v12, v10 op_sel:[0,1,0]
	v_pk_fma_f16 v7, v43, v12, v7 op_sel_hi:[1,0,1]
	v_pk_fma_f16 v6, v43, v13, v6 op_sel_hi:[1,0,1]
	v_pk_fma_f16 v4, v45, v15, v4 op_sel:[0,1,0]
	v_pk_fma_f16 v9, v46, v14, v9 op_sel_hi:[1,0,1]
	v_pk_fma_f16 v8, v46, v14, v8 op_sel:[0,1,0]
	v_pk_fma_f16 v11, v46, v15, v11 op_sel_hi:[1,0,1]
	v_pk_fma_f16 v5, v46, v15, v5 op_sel:[0,1,0]
	v_pk_fma_f16 v10, v45, v14, v10 op_sel:[0,1,0]
	v_pk_fma_f16 v7, v45, v14, v7 op_sel_hi:[1,0,1]
	v_pk_fma_f16 v6, v45, v15, v6 op_sel_hi:[1,0,1]
	s_waitcnt lgkmcnt(29)
	v_pk_fma_f16 v4, v47, v17, v4 op_sel:[0,1,0]
	v_pk_fma_f16 v9, v48, v16, v9 op_sel_hi:[1,0,1]
	v_pk_fma_f16 v8, v48, v16, v8 op_sel:[0,1,0]
	v_pk_fma_f16 v11, v48, v17, v11 op_sel_hi:[1,0,1]
	v_pk_fma_f16 v5, v48, v17, v5 op_sel:[0,1,0]
	v_pk_fma_f16 v10, v47, v16, v10 op_sel:[0,1,0]
	v_pk_fma_f16 v7, v47, v16, v7 op_sel_hi:[1,0,1]
	v_pk_fma_f16 v6, v47, v17, v6 op_sel_hi:[1,0,1]
	v_pk_fma_f16 v4, v49, v19, v4 op_sel:[0,1,0]
	v_pk_fma_f16 v9, v50, v18, v9 op_sel_hi:[1,0,1]
	v_pk_fma_f16 v8, v50, v18, v8 op_sel:[0,1,0]
	v_pk_fma_f16 v11, v50, v19, v11 op_sel_hi:[1,0,1]
	v_pk_fma_f16 v5, v50, v19, v5 op_sel:[0,1,0]
	v_pk_fma_f16 v10, v49, v18, v10 op_sel:[0,1,0]
	v_pk_fma_f16 v7, v49, v18, v7 op_sel_hi:[1,0,1]
	v_pk_fma_f16 v6, v49, v19, v6 op_sel_hi:[1,0,1]
	s_waitcnt lgkmcnt(28)
	v_pk_fma_f16 v4, v51, v40, v4 op_sel:[0,1,0]
	v_pk_fma_f16 v9, v52, v39, v9 op_sel_hi:[1,0,1]
	v_pk_fma_f16 v8, v52, v39, v8 op_sel:[0,1,0]
	v_pk_fma_f16 v11, v52, v40, v11 op_sel_hi:[1,0,1]
	v_pk_fma_f16 v5, v52, v40, v5 op_sel:[0,1,0]
	v_pk_fma_f16 v10, v51, v39, v10 op_sel:[0,1,0]
	v_pk_fma_f16 v7, v51, v39, v7 op_sel_hi:[1,0,1]
	v_pk_fma_f16 v6, v51, v40, v6 op_sel_hi:[1,0,1]
	v_pk_fma_f16 v4, v53, v42, v4 op_sel:[0,1,0]
	v_pk_fma_f16 v9, v54, v41, v9 op_sel_hi:[1,0,1]
	v_pk_fma_f16 v8, v54, v41, v8 op_sel:[0,1,0]
	v_pk_fma_f16 v11, v54, v42, v11 op_sel_hi:[1,0,1]
	v_pk_fma_f16 v5, v54, v42, v5 op_sel:[0,1,0]
	v_pk_fma_f16 v10, v53, v41, v10 op_sel:[0,1,0]
	v_pk_fma_f16 v7, v53, v41, v7 op_sel_hi:[1,0,1]
	v_pk_fma_f16 v6, v53, v42, v6 op_sel_hi:[1,0,1]
	s_waitcnt lgkmcnt(25)
	v_pk_fma_f16 v4, v55, v65, v4 op_sel:[0,1,0]
	v_pk_fma_f16 v9, v56, v64, v9 op_sel_hi:[1,0,1]
	v_pk_fma_f16 v8, v56, v64, v8 op_sel:[0,1,0]
	v_pk_fma_f16 v11, v56, v65, v11 op_sel_hi:[1,0,1]
	v_pk_fma_f16 v5, v56, v65, v5 op_sel:[0,1,0]
	v_pk_fma_f16 v10, v55, v64, v10 op_sel:[0,1,0]
	v_pk_fma_f16 v7, v55, v64, v7 op_sel_hi:[1,0,1]
	v_pk_fma_f16 v6, v55, v65, v6 op_sel_hi:[1,0,1]
	v_pk_fma_f16 v4, v57, v67, v4 op_sel:[0,1,0]
	v_pk_fma_f16 v9, v58, v66, v9 op_sel_hi:[1,0,1]
	v_pk_fma_f16 v8, v58, v66, v8 op_sel:[0,1,0]
	v_pk_fma_f16 v11, v58, v67, v11 op_sel_hi:[1,0,1]
	v_pk_fma_f16 v5, v58, v67, v5 op_sel:[0,1,0]
	v_pk_fma_f16 v10, v57, v66, v10 op_sel:[0,1,0]
	v_pk_fma_f16 v7, v57, v66, v7 op_sel_hi:[1,0,1]
	v_pk_fma_f16 v6, v57, v67, v6 op_sel_hi:[1,0,1]
	s_waitcnt lgkmcnt(24)
	v_pk_fma_f16 v4, v60, v69, v4 op_sel:[0,1,0]
	v_pk_fma_f16 v9, v61, v68, v9 op_sel_hi:[1,0,1]
	v_pk_fma_f16 v8, v61, v68, v8 op_sel:[0,1,0]
	v_pk_fma_f16 v11, v61, v69, v11 op_sel_hi:[1,0,1]
	v_pk_fma_f16 v5, v61, v69, v5 op_sel:[0,1,0]
	v_pk_fma_f16 v10, v60, v68, v10 op_sel:[0,1,0]
	v_pk_fma_f16 v7, v60, v68, v7 op_sel_hi:[1,0,1]
	v_pk_fma_f16 v6, v60, v69, v6 op_sel_hi:[1,0,1]
	v_pk_fma_f16 v4, v62, v71, v4 op_sel:[0,1,0]
	v_pk_fma_f16 v9, v63, v70, v9 op_sel_hi:[1,0,1]
	v_pk_fma_f16 v8, v63, v70, v8 op_sel:[0,1,0]
	v_pk_fma_f16 v11, v63, v71, v11 op_sel_hi:[1,0,1]
	v_pk_fma_f16 v5, v63, v71, v5 op_sel:[0,1,0]
	v_pk_fma_f16 v10, v62, v70, v10 op_sel:[0,1,0]
	v_pk_fma_f16 v7, v62, v70, v7 op_sel_hi:[1,0,1]
	v_pk_fma_f16 v6, v62, v71, v6 op_sel_hi:[1,0,1]
	s_waitcnt lgkmcnt(21)
	v_pk_fma_f16 v4, v72, v81, v4 op_sel:[0,1,0]
	v_pk_fma_f16 v9, v73, v80, v9 op_sel_hi:[1,0,1]
	v_pk_fma_f16 v8, v73, v80, v8 op_sel:[0,1,0]
	v_pk_fma_f16 v11, v73, v81, v11 op_sel_hi:[1,0,1]
	v_pk_fma_f16 v5, v73, v81, v5 op_sel:[0,1,0]
	v_pk_fma_f16 v10, v72, v80, v10 op_sel:[0,1,0]
	v_pk_fma_f16 v7, v72, v80, v7 op_sel_hi:[1,0,1]
	v_pk_fma_f16 v6, v72, v81, v6 op_sel_hi:[1,0,1]
	v_pk_fma_f16 v4, v74, v83, v4 op_sel:[0,1,0]
	v_pk_fma_f16 v9, v75, v82, v9 op_sel_hi:[1,0,1]
	v_pk_fma_f16 v8, v75, v82, v8 op_sel:[0,1,0]
	v_pk_fma_f16 v11, v75, v83, v11 op_sel_hi:[1,0,1]
	v_pk_fma_f16 v5, v75, v83, v5 op_sel:[0,1,0]
	v_pk_fma_f16 v10, v74, v82, v10 op_sel:[0,1,0]
	v_pk_fma_f16 v7, v74, v82, v7 op_sel_hi:[1,0,1]
	v_pk_fma_f16 v6, v74, v83, v6 op_sel_hi:[1,0,1]
	s_waitcnt lgkmcnt(20)
	v_pk_fma_f16 v4, v76, v85, v4 op_sel:[0,1,0]
	v_pk_fma_f16 v9, v77, v84, v9 op_sel_hi:[1,0,1]
	v_pk_fma_f16 v8, v77, v84, v8 op_sel:[0,1,0]
	v_pk_fma_f16 v11, v77, v85, v11 op_sel_hi:[1,0,1]
	v_pk_fma_f16 v5, v77, v85, v5 op_sel:[0,1,0]
	v_pk_fma_f16 v10, v76, v84, v10 op_sel:[0,1,0]
	v_pk_fma_f16 v7, v76, v84, v7 op_sel_hi:[1,0,1]
	v_pk_fma_f16 v6, v76, v85, v6 op_sel_hi:[1,0,1]
	v_pk_fma_f16 v4, v78, v87, v4 op_sel:[0,1,0]
	v_pk_fma_f16 v9, v79, v86, v9 op_sel_hi:[1,0,1]
	v_pk_fma_f16 v8, v79, v86, v8 op_sel:[0,1,0]
	v_pk_fma_f16 v11, v79, v87, v11 op_sel_hi:[1,0,1]
	v_pk_fma_f16 v5, v79, v87, v5 op_sel:[0,1,0]
	v_pk_fma_f16 v10, v78, v86, v10 op_sel:[0,1,0]
	v_pk_fma_f16 v7, v78, v86, v7 op_sel_hi:[1,0,1]
	v_pk_fma_f16 v6, v78, v87, v6 op_sel_hi:[1,0,1]
	s_waitcnt lgkmcnt(17)
	v_pk_fma_f16 v4, v88, v97, v4 op_sel:[0,1,0]
	v_pk_fma_f16 v9, v89, v96, v9 op_sel_hi:[1,0,1]
	v_pk_fma_f16 v8, v89, v96, v8 op_sel:[0,1,0]
	v_pk_fma_f16 v11, v89, v97, v11 op_sel_hi:[1,0,1]
	v_pk_fma_f16 v5, v89, v97, v5 op_sel:[0,1,0]
	v_pk_fma_f16 v10, v88, v96, v10 op_sel:[0,1,0]
	v_pk_fma_f16 v7, v88, v96, v7 op_sel_hi:[1,0,1]
	v_pk_fma_f16 v6, v88, v97, v6 op_sel_hi:[1,0,1]
	v_pk_fma_f16 v4, v90, v99, v4 op_sel:[0,1,0]
	v_pk_fma_f16 v9, v91, v98, v9 op_sel_hi:[1,0,1]
	v_pk_fma_f16 v8, v91, v98, v8 op_sel:[0,1,0]
	v_pk_fma_f16 v11, v91, v99, v11 op_sel_hi:[1,0,1]
	v_pk_fma_f16 v5, v91, v99, v5 op_sel:[0,1,0]
	v_pk_fma_f16 v10, v90, v98, v10 op_sel:[0,1,0]
	v_pk_fma_f16 v7, v90, v98, v7 op_sel_hi:[1,0,1]
	v_pk_fma_f16 v6, v90, v99, v6 op_sel_hi:[1,0,1]
	s_waitcnt lgkmcnt(16)
	v_pk_fma_f16 v4, v92, v101, v4 op_sel:[0,1,0]
	v_pk_fma_f16 v9, v93, v100, v9 op_sel_hi:[1,0,1]
	v_pk_fma_f16 v8, v93, v100, v8 op_sel:[0,1,0]
	v_pk_fma_f16 v11, v93, v101, v11 op_sel_hi:[1,0,1]
	v_pk_fma_f16 v5, v93, v101, v5 op_sel:[0,1,0]
	v_pk_fma_f16 v10, v92, v100, v10 op_sel:[0,1,0]
	v_pk_fma_f16 v7, v92, v100, v7 op_sel_hi:[1,0,1]
	v_pk_fma_f16 v6, v92, v101, v6 op_sel_hi:[1,0,1]
	v_pk_fma_f16 v4, v94, v103, v4 op_sel:[0,1,0]
	v_pk_fma_f16 v9, v95, v102, v9 op_sel_hi:[1,0,1]
	v_pk_fma_f16 v8, v95, v102, v8 op_sel:[0,1,0]
	v_pk_fma_f16 v11, v95, v103, v11 op_sel_hi:[1,0,1]
	v_pk_fma_f16 v5, v95, v103, v5 op_sel:[0,1,0]
	v_pk_fma_f16 v10, v94, v102, v10 op_sel:[0,1,0]
	v_pk_fma_f16 v7, v94, v102, v7 op_sel_hi:[1,0,1]
	v_pk_fma_f16 v6, v94, v103, v6 op_sel_hi:[1,0,1]
	s_waitcnt lgkmcnt(13)
	v_pk_fma_f16 v4, v104, v113, v4 op_sel:[0,1,0]
	v_pk_fma_f16 v9, v105, v112, v9 op_sel_hi:[1,0,1]
	v_pk_fma_f16 v8, v105, v112, v8 op_sel:[0,1,0]
	v_pk_fma_f16 v11, v105, v113, v11 op_sel_hi:[1,0,1]
	v_pk_fma_f16 v5, v105, v113, v5 op_sel:[0,1,0]
	v_pk_fma_f16 v10, v104, v112, v10 op_sel:[0,1,0]
	v_pk_fma_f16 v7, v104, v112, v7 op_sel_hi:[1,0,1]
	v_pk_fma_f16 v6, v104, v113, v6 op_sel_hi:[1,0,1]
	v_pk_fma_f16 v4, v106, v115, v4 op_sel:[0,1,0]
	v_pk_fma_f16 v9, v107, v114, v9 op_sel_hi:[1,0,1]
	v_pk_fma_f16 v8, v107, v114, v8 op_sel:[0,1,0]
	v_pk_fma_f16 v11, v107, v115, v11 op_sel_hi:[1,0,1]
	v_pk_fma_f16 v5, v107, v115, v5 op_sel:[0,1,0]
	v_pk_fma_f16 v10, v106, v114, v10 op_sel:[0,1,0]
	v_pk_fma_f16 v7, v106, v114, v7 op_sel_hi:[1,0,1]
	v_pk_fma_f16 v6, v106, v115, v6 op_sel_hi:[1,0,1]
	s_waitcnt lgkmcnt(12)
	v_pk_fma_f16 v4, v108, v117, v4 op_sel:[0,1,0]
	v_pk_fma_f16 v9, v109, v116, v9 op_sel_hi:[1,0,1]
	v_pk_fma_f16 v8, v109, v116, v8 op_sel:[0,1,0]
	v_pk_fma_f16 v11, v109, v117, v11 op_sel_hi:[1,0,1]
	v_pk_fma_f16 v5, v109, v117, v5 op_sel:[0,1,0]
	v_pk_fma_f16 v10, v108, v116, v10 op_sel:[0,1,0]
	v_pk_fma_f16 v7, v108, v116, v7 op_sel_hi:[1,0,1]
	v_pk_fma_f16 v6, v108, v117, v6 op_sel_hi:[1,0,1]
	v_pk_fma_f16 v4, v110, v119, v4 op_sel:[0,1,0]
	v_pk_fma_f16 v12, v111, v118, v9 op_sel_hi:[1,0,1]
	v_pk_fma_f16 v13, v111, v118, v8 op_sel:[0,1,0]
	v_pk_fma_f16 v14, v111, v119, v11 op_sel_hi:[1,0,1]
	v_pk_fma_f16 v5, v111, v119, v5 op_sel:[0,1,0]
	v_pk_fma_f16 v15, v110, v118, v10 op_sel:[0,1,0]
	v_pk_fma_f16 v7, v110, v118, v7 op_sel_hi:[1,0,1]
	v_pk_fma_f16 v6, v110, v119, v6 op_sel_hi:[1,0,1]
	s_waitcnt lgkmcnt(9)
	v_pk_fma_f16 v4, v120, v129, v4 op_sel:[0,1,0]
	v_pk_fma_f16 v12, v121, v128, v12 op_sel_hi:[1,0,1]
	v_pk_fma_f16 v13, v121, v128, v13 op_sel:[0,1,0]
	v_pk_fma_f16 v14, v121, v129, v14 op_sel_hi:[1,0,1]
	v_pk_fma_f16 v5, v121, v129, v5 op_sel:[0,1,0]
	v_pk_fma_f16 v15, v120, v128, v15 op_sel:[0,1,0]
	v_pk_fma_f16 v7, v120, v128, v7 op_sel_hi:[1,0,1]
	v_pk_fma_f16 v6, v120, v129, v6 op_sel_hi:[1,0,1]
	v_pk_fma_f16 v28, v122, v131, v4 op_sel:[0,1,0]
	v_pk_fma_f16 v12, v123, v130, v12 op_sel_hi:[1,0,1]
	v_pk_fma_f16 v13, v123, v130, v13 op_sel:[0,1,0]
	v_pk_fma_f16 v14, v123, v131, v14 op_sel_hi:[1,0,1]
	v_pk_fma_f16 v29, v123, v131, v5 op_sel:[0,1,0]
	v_pk_fma_f16 v15, v122, v130, v15 op_sel:[0,1,0]
	v_pk_fma_f16 v30, v122, v130, v7 op_sel_hi:[1,0,1]
	v_pk_fma_f16 v35, v122, v131, v6 op_sel_hi:[1,0,1]
	s_waitcnt lgkmcnt(8)
	v_pk_fma_f16 v28, v124, v133, v28 op_sel:[0,1,0]
	v_pk_fma_f16 v12, v125, v132, v12 op_sel_hi:[1,0,1]
	v_pk_fma_f16 v13, v125, v132, v13 op_sel:[0,1,0]
	v_pk_fma_f16 v14, v125, v133, v14 op_sel_hi:[1,0,1]
	v_pk_fma_f16 v29, v125, v133, v29 op_sel:[0,1,0]
	v_pk_fma_f16 v15, v124, v132, v15 op_sel:[0,1,0]
	ds_load_2addr_b64 v[31:34], v214 offset0:128 offset1:160
	ds_load_2addr_b64 v[222:225], v214 offset0:192 offset1:224
	ds_load_b128 v[226:229], v203 offset:288
	ds_load_b128 v[43:46], v203 offset:304
	ds_load_2addr_b64 v[230:233], v215 offset1:32
	ds_load_2addr_b64 v[47:50], v215 offset0:64 offset1:96
	ds_load_b128 v[234:237], v203 offset:320
	ds_load_b128 v[39:42], v203 offset:336
	ds_load_2addr_b64 v[51:54], v215 offset0:128 offset1:160
	ds_load_2addr_b64 v[55:58], v215 offset0:192 offset1:224
	ds_load_b128 v[64:67], v203 offset:352
	ds_load_b128 v[60:63], v203 offset:368
	ds_load_2addr_b64 v[68:71], v216 offset1:32
	ds_load_2addr_b64 v[72:75], v216 offset0:64 offset1:96
	ds_load_b128 v[80:83], v203 offset:384
	ds_load_b128 v[76:79], v203 offset:400
	;; [unrolled: 8-line block ×3, first 2 shown]
	ds_load_2addr_b64 v[8:11], v217 offset0:128 offset1:160
	ds_load_2addr_b64 v[4:7], v217 offset0:192 offset1:224
	ds_load_b128 v[16:19], v203 offset:480
	v_pk_fma_f16 v30, v124, v132, v30 op_sel_hi:[1,0,1]
	v_pk_fma_f16 v35, v124, v133, v35 op_sel_hi:[1,0,1]
	v_pk_fma_f16 v124, v126, v135, v28 op_sel:[0,1,0]
	v_pk_fma_f16 v125, v127, v134, v12 op_sel_hi:[1,0,1]
	v_pk_fma_f16 v128, v127, v134, v13 op_sel:[0,1,0]
	;; [unrolled: 2-line block ×3, first 2 shown]
	v_pk_fma_f16 v130, v126, v134, v15 op_sel:[0,1,0]
	ds_load_b128 v[12:15], v203 offset:496
	s_waitcnt lgkmcnt(0)
	s_barrier
	buffer_gl0_inv
	s_clause 0x3
	global_load_b128 v[26:29], v[26:27], off
	global_load_b128 v[116:119], v[22:23], off
	;; [unrolled: 1-line block ×4, first 2 shown]
	v_pk_fma_f16 v30, v126, v134, v30 op_sel_hi:[1,0,1]
	v_pk_fma_f16 v35, v126, v135, v35 op_sel_hi:[1,0,1]
	v_mov_b32_e32 v218, v242
	v_fmac_f32_e32 v220, v37, v238
	v_pk_fma_f16 v20, v136, v145, v124 op_sel:[0,1,0]
	v_pk_fma_f16 v21, v137, v144, v125 op_sel_hi:[1,0,1]
	v_pk_fma_f16 v36, v137, v144, v128 op_sel:[0,1,0]
	v_fmac_f32_e32 v218, v59, v240
	v_pk_fma_f16 v37, v137, v145, v129 op_sel_hi:[1,0,1]
	v_pk_fma_f16 v38, v137, v145, v127 op_sel:[0,1,0]
	v_pk_fma_f16 v30, v136, v144, v30 op_sel_hi:[1,0,1]
	v_pk_fma_f16 v59, v136, v144, v130 op_sel:[0,1,0]
	;; [unrolled: 2-line block ×142, first 2 shown]
	v_pk_fma_f16 v229, v6, v15, v4 op_sel_hi:[1,0,1]
	s_waitcnt vmcnt(3)
	ds_store_b128 v202, v[26:29]
	s_waitcnt vmcnt(2)
	ds_store_b128 v205, v[116:119]
	;; [unrolled: 2-line block ×4, first 2 shown]
	s_waitcnt lgkmcnt(0)
	s_barrier
	buffer_gl0_inv
	ds_load_2addr_b64 v[112:115], v204 offset1:32
	ds_load_b128 v[124:127], v203 offset:512
	ds_load_b128 v[128:131], v203 offset:528
	;; [unrolled: 1-line block ×4, first 2 shown]
	ds_load_2addr_b64 v[144:147], v204 offset0:64 offset1:96
	ds_load_2addr_b64 v[156:159], v204 offset0:128 offset1:160
	;; [unrolled: 1-line block ×3, first 2 shown]
	ds_load_2addr_b64 v[148:151], v211 offset1:32
	ds_load_2addr_b64 v[132:135], v211 offset0:64 offset1:96
	ds_load_b128 v[164:167], v203 offset:576
	ds_load_b128 v[140:143], v203 offset:592
	ds_load_2addr_b64 v[116:119], v211 offset0:128 offset1:160
	ds_load_2addr_b64 v[100:103], v211 offset0:192 offset1:224
	ds_load_b128 v[136:139], v203 offset:608
	ds_load_b128 v[108:111], v203 offset:624
	ds_load_2addr_b64 v[96:99], v212 offset1:32
	ds_load_2addr_b64 v[84:87], v212 offset0:64 offset1:96
	ds_load_b128 v[104:107], v203 offset:640
	ds_load_b128 v[92:95], v203 offset:656
	ds_load_2addr_b64 v[64:67], v212 offset0:128 offset1:160
	ds_load_2addr_b64 v[24:27], v212 offset0:192 offset1:224
	ds_load_b128 v[88:91], v203 offset:672
	ds_load_b128 v[32:35], v203 offset:688
	ds_load_2addr_b64 v[20:23], v213 offset1:32
	ds_load_2addr_b64 v[28:31], v213 offset0:64 offset1:96
	ds_load_b128 v[56:59], v203 offset:704
	ds_load_b128 v[36:39], v203 offset:720
	ds_load_2addr_b64 v[40:43], v213 offset0:128 offset1:160
	ds_load_2addr_b64 v[44:47], v213 offset0:192 offset1:224
	ds_load_b128 v[76:79], v203 offset:736
	ds_load_b128 v[48:51], v203 offset:752
	ds_load_2addr_b64 v[52:55], v214 offset1:32
	ds_load_2addr_b64 v[60:63], v214 offset0:64 offset1:96
	ds_load_b128 v[80:83], v203 offset:768
	ds_load_b128 v[68:71], v203 offset:784
	ds_load_2addr_b64 v[72:75], v214 offset0:128 offset1:160
	s_waitcnt lgkmcnt(35)
	v_pk_fma_f16 v223, v112, v125, v223 op_sel:[0,1,0]
	v_pk_fma_f16 v224, v113, v124, v224 op_sel_hi:[1,0,1]
	v_pk_fma_f16 v225, v113, v124, v225 op_sel:[0,1,0]
	v_pk_fma_f16 v226, v113, v125, v226 op_sel_hi:[1,0,1]
	v_pk_fma_f16 v113, v113, v125, v227 op_sel:[0,1,0]
	v_pk_fma_f16 v222, v112, v124, v222 op_sel_hi:[1,0,1]
	v_pk_fma_f16 v124, v112, v124, v228 op_sel:[0,1,0]
	v_pk_fma_f16 v112, v112, v125, v229 op_sel_hi:[1,0,1]
	v_pk_fma_f16 v223, v114, v127, v223 op_sel:[0,1,0]
	v_pk_fma_f16 v224, v115, v126, v224 op_sel_hi:[1,0,1]
	v_pk_fma_f16 v225, v115, v126, v225 op_sel:[0,1,0]
	v_pk_fma_f16 v226, v115, v127, v226 op_sel_hi:[1,0,1]
	v_pk_fma_f16 v227, v115, v127, v113 op_sel:[0,1,0]
	v_pk_fma_f16 v222, v114, v126, v222 op_sel_hi:[1,0,1]
	v_pk_fma_f16 v228, v114, v126, v124 op_sel:[0,1,0]
	v_pk_fma_f16 v229, v114, v127, v112 op_sel_hi:[1,0,1]
	s_waitcnt lgkmcnt(31)
	v_pk_fma_f16 v223, v144, v129, v223 op_sel:[0,1,0]
	v_pk_fma_f16 v224, v145, v128, v224 op_sel_hi:[1,0,1]
	v_pk_fma_f16 v225, v145, v128, v225 op_sel:[0,1,0]
	v_pk_fma_f16 v226, v145, v129, v226 op_sel_hi:[1,0,1]
	v_pk_fma_f16 v145, v145, v129, v227 op_sel:[0,1,0]
	v_pk_fma_f16 v222, v144, v128, v222 op_sel_hi:[1,0,1]
	v_pk_fma_f16 v128, v144, v128, v228 op_sel:[0,1,0]
	v_pk_fma_f16 v129, v144, v129, v229 op_sel_hi:[1,0,1]
	v_pk_fma_f16 v223, v146, v131, v223 op_sel:[0,1,0]
	v_pk_fma_f16 v224, v147, v130, v224 op_sel_hi:[1,0,1]
	v_pk_fma_f16 v225, v147, v130, v225 op_sel:[0,1,0]
	v_pk_fma_f16 v226, v147, v131, v226 op_sel_hi:[1,0,1]
	v_pk_fma_f16 v227, v147, v131, v145 op_sel:[0,1,0]
	v_pk_fma_f16 v222, v146, v130, v222 op_sel_hi:[1,0,1]
	v_pk_fma_f16 v228, v146, v130, v128 op_sel:[0,1,0]
	v_pk_fma_f16 v229, v146, v131, v129 op_sel_hi:[1,0,1]
	;; [unrolled: 17-line block ×16, first 2 shown]
	ds_load_2addr_b64 v[8:11], v214 offset0:192 offset1:224
	ds_load_b128 v[16:19], v203 offset:800
	s_waitcnt lgkmcnt(4)
	v_pk_fma_f16 v22, v52, v81, v22 op_sel:[0,1,0]
	v_pk_fma_f16 v28, v53, v80, v28 op_sel_hi:[1,0,1]
	v_pk_fma_f16 v30, v53, v80, v30 op_sel:[0,1,0]
	v_pk_fma_f16 v31, v53, v81, v31 op_sel_hi:[1,0,1]
	;; [unrolled: 2-line block ×8, first 2 shown]
	s_waitcnt lgkmcnt(3)
	v_pk_fma_f16 v22, v60, v69, v22 op_sel:[0,1,0]
	v_pk_fma_f16 v28, v61, v68, v28 op_sel_hi:[1,0,1]
	v_pk_fma_f16 v30, v61, v68, v30 op_sel:[0,1,0]
	v_pk_fma_f16 v31, v61, v69, v31 op_sel_hi:[1,0,1]
	;; [unrolled: 2-line block ×4, first 2 shown]
	ds_load_b128 v[12:15], v203 offset:816
	ds_load_2addr_b64 v[4:7], v215 offset1:32
	v_pk_fma_f16 v22, v62, v71, v22 op_sel:[0,1,0]
	v_pk_fma_f16 v28, v63, v70, v28 op_sel_hi:[1,0,1]
	v_pk_fma_f16 v30, v63, v70, v30 op_sel:[0,1,0]
	v_pk_fma_f16 v31, v63, v71, v31 op_sel_hi:[1,0,1]
	;; [unrolled: 2-line block ×4, first 2 shown]
	ds_load_2addr_b64 v[112:115], v215 offset0:64 offset1:96
	ds_load_b128 v[124:127], v203 offset:832
	s_waitcnt lgkmcnt(4)
	v_pk_fma_f16 v22, v72, v17, v22 op_sel:[0,1,0]
	v_pk_fma_f16 v28, v73, v16, v28 op_sel_hi:[1,0,1]
	v_pk_fma_f16 v30, v73, v16, v30 op_sel:[0,1,0]
	v_pk_fma_f16 v31, v73, v17, v31 op_sel_hi:[1,0,1]
	;; [unrolled: 2-line block ×8, first 2 shown]
	s_waitcnt lgkmcnt(3)
	v_pk_fma_f16 v18, v8, v13, v20 op_sel:[0,1,0]
	v_pk_fma_f16 v19, v9, v12, v22 op_sel_hi:[1,0,1]
	v_pk_fma_f16 v20, v9, v12, v28 op_sel:[0,1,0]
	v_pk_fma_f16 v22, v9, v13, v29 op_sel_hi:[1,0,1]
	;; [unrolled: 2-line block ×4, first 2 shown]
	ds_load_b128 v[144:147], v203 offset:848
	ds_load_2addr_b64 v[128:131], v215 offset0:128 offset1:160
	v_pk_fma_f16 v13, v10, v15, v18 op_sel:[0,1,0]
	v_pk_fma_f16 v16, v11, v14, v19 op_sel_hi:[1,0,1]
	v_pk_fma_f16 v17, v11, v14, v20 op_sel:[0,1,0]
	v_pk_fma_f16 v18, v11, v15, v22 op_sel_hi:[1,0,1]
	;; [unrolled: 2-line block ×4, first 2 shown]
	ds_load_2addr_b64 v[152:155], v215 offset0:192 offset1:224
	ds_load_b128 v[156:159], v203 offset:864
	s_waitcnt lgkmcnt(4)
	v_pk_fma_f16 v10, v4, v125, v13 op_sel:[0,1,0]
	v_pk_fma_f16 v13, v5, v124, v16 op_sel_hi:[1,0,1]
	v_pk_fma_f16 v14, v5, v124, v17 op_sel:[0,1,0]
	v_pk_fma_f16 v15, v5, v125, v18 op_sel_hi:[1,0,1]
	;; [unrolled: 2-line block ×8, first 2 shown]
	s_waitcnt lgkmcnt(3)
	v_pk_fma_f16 v6, v112, v145, v8 op_sel:[0,1,0]
	v_pk_fma_f16 v8, v113, v144, v10 op_sel_hi:[1,0,1]
	v_pk_fma_f16 v10, v113, v144, v12 op_sel:[0,1,0]
	v_pk_fma_f16 v11, v113, v145, v13 op_sel_hi:[1,0,1]
	v_pk_fma_f16 v5, v113, v145, v5 op_sel:[0,1,0]
	v_pk_fma_f16 v7, v112, v144, v7 op_sel_hi:[1,0,1]
	v_pk_fma_f16 v9, v112, v144, v9 op_sel:[0,1,0]
	v_pk_fma_f16 v4, v112, v145, v4 op_sel_hi:[1,0,1]
	ds_load_b128 v[160:163], v203 offset:880
	ds_load_2addr_b64 v[120:123], v216 offset1:32
	v_pk_fma_f16 v6, v114, v147, v6 op_sel:[0,1,0]
	v_pk_fma_f16 v8, v115, v146, v8 op_sel_hi:[1,0,1]
	v_pk_fma_f16 v10, v115, v146, v10 op_sel:[0,1,0]
	v_pk_fma_f16 v11, v115, v147, v11 op_sel_hi:[1,0,1]
	;; [unrolled: 2-line block ×4, first 2 shown]
	ds_load_2addr_b64 v[148:151], v216 offset0:64 offset1:96
	ds_load_b128 v[164:167], v203 offset:896
	s_waitcnt lgkmcnt(4)
	v_pk_fma_f16 v6, v128, v157, v6 op_sel:[0,1,0]
	v_pk_fma_f16 v8, v129, v156, v8 op_sel_hi:[1,0,1]
	v_pk_fma_f16 v10, v129, v156, v10 op_sel:[0,1,0]
	v_pk_fma_f16 v11, v129, v157, v11 op_sel_hi:[1,0,1]
	;; [unrolled: 2-line block ×8, first 2 shown]
	s_waitcnt lgkmcnt(3)
	v_pk_fma_f16 v6, v152, v161, v6 op_sel:[0,1,0]
	v_pk_fma_f16 v8, v153, v160, v8 op_sel_hi:[1,0,1]
	v_pk_fma_f16 v10, v153, v160, v10 op_sel:[0,1,0]
	v_pk_fma_f16 v11, v153, v161, v11 op_sel_hi:[1,0,1]
	v_pk_fma_f16 v5, v153, v161, v5 op_sel:[0,1,0]
	v_pk_fma_f16 v7, v152, v160, v7 op_sel_hi:[1,0,1]
	v_pk_fma_f16 v9, v152, v160, v9 op_sel:[0,1,0]
	v_pk_fma_f16 v4, v152, v161, v4 op_sel_hi:[1,0,1]
	ds_load_b128 v[132:135], v203 offset:912
	ds_load_2addr_b64 v[140:143], v216 offset0:128 offset1:160
	v_pk_fma_f16 v6, v154, v163, v6 op_sel:[0,1,0]
	v_pk_fma_f16 v8, v155, v162, v8 op_sel_hi:[1,0,1]
	v_pk_fma_f16 v10, v155, v162, v10 op_sel:[0,1,0]
	v_pk_fma_f16 v11, v155, v163, v11 op_sel_hi:[1,0,1]
	;; [unrolled: 2-line block ×4, first 2 shown]
	ds_load_2addr_b64 v[116:119], v216 offset0:192 offset1:224
	ds_load_b128 v[136:139], v203 offset:928
	s_waitcnt lgkmcnt(4)
	v_pk_fma_f16 v6, v120, v165, v6 op_sel:[0,1,0]
	v_pk_fma_f16 v8, v121, v164, v8 op_sel_hi:[1,0,1]
	v_pk_fma_f16 v10, v121, v164, v10 op_sel:[0,1,0]
	v_pk_fma_f16 v11, v121, v165, v11 op_sel_hi:[1,0,1]
	;; [unrolled: 2-line block ×8, first 2 shown]
	s_waitcnt lgkmcnt(3)
	v_pk_fma_f16 v6, v148, v133, v6 op_sel:[0,1,0]
	v_pk_fma_f16 v8, v149, v132, v8 op_sel_hi:[1,0,1]
	v_pk_fma_f16 v10, v149, v132, v10 op_sel:[0,1,0]
	v_pk_fma_f16 v11, v149, v133, v11 op_sel_hi:[1,0,1]
	;; [unrolled: 2-line block ×4, first 2 shown]
	ds_load_b128 v[100:103], v203 offset:944
	ds_load_2addr_b64 v[108:111], v217 offset1:32
	v_pk_fma_f16 v6, v150, v135, v6 op_sel:[0,1,0]
	v_pk_fma_f16 v8, v151, v134, v8 op_sel_hi:[1,0,1]
	v_pk_fma_f16 v10, v151, v134, v10 op_sel:[0,1,0]
	v_pk_fma_f16 v11, v151, v135, v11 op_sel_hi:[1,0,1]
	;; [unrolled: 2-line block ×4, first 2 shown]
	ds_load_2addr_b64 v[96:99], v217 offset0:64 offset1:96
	ds_load_b128 v[104:107], v203 offset:960
	s_waitcnt lgkmcnt(4)
	v_pk_fma_f16 v6, v140, v137, v6 op_sel:[0,1,0]
	v_pk_fma_f16 v8, v141, v136, v8 op_sel_hi:[1,0,1]
	v_pk_fma_f16 v10, v141, v136, v10 op_sel:[0,1,0]
	v_pk_fma_f16 v11, v141, v137, v11 op_sel_hi:[1,0,1]
	;; [unrolled: 2-line block ×8, first 2 shown]
	s_waitcnt lgkmcnt(3)
	v_pk_fma_f16 v6, v116, v101, v6 op_sel:[0,1,0]
	v_pk_fma_f16 v8, v117, v100, v8 op_sel_hi:[1,0,1]
	v_pk_fma_f16 v10, v117, v100, v10 op_sel:[0,1,0]
	v_pk_fma_f16 v11, v117, v101, v11 op_sel_hi:[1,0,1]
	;; [unrolled: 2-line block ×4, first 2 shown]
	ds_load_b128 v[84:87], v203 offset:976
	ds_load_2addr_b64 v[92:95], v217 offset0:128 offset1:160
	v_pk_fma_f16 v6, v118, v103, v6 op_sel:[0,1,0]
	v_pk_fma_f16 v8, v119, v102, v8 op_sel_hi:[1,0,1]
	v_pk_fma_f16 v10, v119, v102, v10 op_sel:[0,1,0]
	v_pk_fma_f16 v11, v119, v103, v11 op_sel_hi:[1,0,1]
	;; [unrolled: 2-line block ×4, first 2 shown]
	ds_load_2addr_b64 v[64:67], v217 offset0:192 offset1:224
	ds_load_b128 v[88:91], v203 offset:992
	s_waitcnt lgkmcnt(4)
	v_pk_fma_f16 v6, v108, v105, v6 op_sel:[0,1,0]
	v_pk_fma_f16 v8, v109, v104, v8 op_sel_hi:[1,0,1]
	v_pk_fma_f16 v10, v109, v104, v10 op_sel:[0,1,0]
	v_pk_fma_f16 v11, v109, v105, v11 op_sel_hi:[1,0,1]
	;; [unrolled: 2-line block ×8, first 2 shown]
	ds_load_b128 v[24:27], v203 offset:1008
	s_waitcnt lgkmcnt(4)
	v_pk_fma_f16 v6, v96, v85, v6 op_sel:[0,1,0]
	v_pk_fma_f16 v8, v97, v84, v8 op_sel_hi:[1,0,1]
	v_pk_fma_f16 v10, v97, v84, v10 op_sel:[0,1,0]
	v_pk_fma_f16 v11, v97, v85, v11 op_sel_hi:[1,0,1]
	;; [unrolled: 2-line block ×4, first 2 shown]
	s_waitcnt lgkmcnt(0)
	s_barrier
	buffer_gl0_inv
	s_load_b32 s2, s[46:47], 0x4
	v_pk_fma_f16 v6, v98, v87, v6 op_sel:[0,1,0]
	v_pk_fma_f16 v8, v99, v86, v8 op_sel_hi:[1,0,1]
	v_pk_fma_f16 v10, v99, v86, v10 op_sel:[0,1,0]
	v_pk_fma_f16 v11, v99, v87, v11 op_sel_hi:[1,0,1]
	;; [unrolled: 2-line block ×16, first 2 shown]
	s_waitcnt lgkmcnt(0)
	s_lshl_b32 s2, s2, 7
	v_pk_fma_f16 v29, v66, v27, v6 op_sel:[0,1,0]
	v_pk_fma_f16 v35, v67, v26, v8 op_sel_hi:[1,0,1]
	v_pk_fma_f16 v33, v67, v26, v10 op_sel:[0,1,0]
	v_pk_fma_f16 v31, v67, v27, v11 op_sel_hi:[1,0,1]
	;; [unrolled: 2-line block ×4, first 2 shown]
	s_add_i32 s43, s2, s43
	s_delay_alu instid0(SALU_CYCLE_1)
	s_cmp_ge_i32 s43, s56
	s_cbranch_scc0 .LBB5_9
; %bb.10:
	v_mov_b32_e32 v7, v189
.LBB5_11:
	v_cmp_lt_i32_e32 vcc_lo, v195, v190
	s_cmp_lg_u64 s[44:45], 0
	s_cselect_b32 s2, -1, 0
	s_cmp_eq_u32 s14, 0
	v_cndmask_b32_e32 v4, v7, v195, vcc_lo
	v_cmp_lt_i32_e32 vcc_lo, v194, v190
	s_cselect_b32 s3, -1, 0
	s_delay_alu instid0(SALU_CYCLE_1) | instskip(SKIP_2) | instid1(VALU_DEP_2)
	s_and_b32 s2, s3, s2
	v_cndmask_b32_e32 v9, v7, v194, vcc_lo
	v_cmp_lt_i32_e32 vcc_lo, v193, v190
	v_lshlrev_b32_e32 v9, 2, v9
	v_dual_cndmask_b32 v13, v7, v193 :: v_dual_lshlrev_b32 v4, 2, v4
	v_cmp_lt_i32_e32 vcc_lo, v192, v190
	ds_bpermute_b32 v5, v4, v219
	v_lshlrev_b32_e32 v13, 2, v13
	s_waitcnt lgkmcnt(0)
	v_add_f32_e32 v5, v219, v5
	ds_bpermute_b32 v6, v4, v220
	ds_bpermute_b32 v8, v4, v221
	;; [unrolled: 1-line block ×4, first 2 shown]
	s_waitcnt lgkmcnt(3)
	v_add_f32_e32 v6, v220, v6
	s_waitcnt lgkmcnt(2)
	v_add_f32_e32 v8, v221, v8
	;; [unrolled: 2-line block ×3, first 2 shown]
	ds_bpermute_b32 v11, v9, v6
	ds_bpermute_b32 v12, v9, v8
	;; [unrolled: 1-line block ×3, first 2 shown]
	s_waitcnt lgkmcnt(2)
	v_dual_add_f32 v5, v5, v10 :: v_dual_add_f32 v6, v6, v11
	s_waitcnt lgkmcnt(1)
	v_add_f32_e32 v8, v8, v12
	s_waitcnt lgkmcnt(0)
	v_add_f32_e32 v4, v4, v9
	ds_bpermute_b32 v9, v13, v5
	ds_bpermute_b32 v10, v13, v6
	;; [unrolled: 1-line block ×4, first 2 shown]
	v_cndmask_b32_e32 v13, v7, v192, vcc_lo
	v_cmp_lt_i32_e32 vcc_lo, v191, v190
	s_delay_alu instid0(VALU_DEP_2)
	v_lshlrev_b32_e32 v13, 2, v13
	v_cndmask_b32_e32 v7, v7, v191, vcc_lo
	s_and_b32 vcc_lo, exec_lo, s2
	s_waitcnt lgkmcnt(2)
	v_dual_add_f32 v5, v5, v9 :: v_dual_add_f32 v6, v6, v10
	s_waitcnt lgkmcnt(0)
	v_add_f32_e32 v4, v4, v12
	ds_bpermute_b32 v9, v13, v5
	v_add_f32_e32 v8, v8, v11
	ds_bpermute_b32 v10, v13, v6
	v_lshlrev_b32_e32 v7, 2, v7
	ds_bpermute_b32 v12, v13, v4
	s_waitcnt lgkmcnt(2)
	v_add_f32_e32 v5, v5, v9
	ds_bpermute_b32 v11, v13, v8
	s_waitcnt lgkmcnt(1)
	v_dual_add_f32 v6, v6, v10 :: v_dual_add_f32 v9, v4, v12
	ds_bpermute_b32 v4, v7, v5
	ds_bpermute_b32 v10, v7, v6
	s_waitcnt lgkmcnt(2)
	v_add_f32_e32 v8, v8, v11
	s_waitcnt lgkmcnt(0)
	v_dual_add_f32 v4, v5, v4 :: v_dual_add_f32 v5, v6, v10
	ds_bpermute_b32 v11, v7, v8
	ds_bpermute_b32 v7, v7, v9
	s_waitcnt lgkmcnt(1)
	v_add_f32_e32 v6, v8, v11
	s_waitcnt lgkmcnt(0)
	v_add_f32_e32 v7, v9, v7
	s_cbranch_vccz .LBB5_14
; %bb.12:
	v_dual_max_f32 v13, v1, v1 :: v_dual_add_nc_u32 v8, s61, v188
	s_delay_alu instid0(VALU_DEP_1) | instskip(NEXT) | instid1(VALU_DEP_1)
	v_ashrrev_i32_e32 v9, 31, v8
	v_lshlrev_b64 v[8:9], 2, v[8:9]
	s_delay_alu instid0(VALU_DEP_1) | instskip(NEXT) | instid1(VALU_DEP_2)
	v_add_co_u32 v8, vcc_lo, s44, v8
	v_add_co_ci_u32_e32 v9, vcc_lo, s45, v9, vcc_lo
	global_load_b128 v[8:11], v[8:9], off
	v_max_f32_e32 v12, v0, v0
	s_waitcnt vmcnt(0)
	v_dual_max_f32 v14, v2, v2 :: v_dual_max_f32 v15, v8, v8
	v_dual_max_f32 v17, v9, v9 :: v_dual_max_f32 v16, v3, v3
	v_dual_max_f32 v18, v10, v10 :: v_dual_max_f32 v19, v11, v11
	s_delay_alu instid0(VALU_DEP_2) | instskip(NEXT) | instid1(VALU_DEP_2)
	v_dual_max_f32 v13, v13, v17 :: v_dual_max_f32 v12, v12, v15
	v_dual_max_f32 v14, v14, v18 :: v_dual_max_f32 v15, v16, v19
	s_delay_alu instid0(VALU_DEP_2) | instskip(SKIP_1) | instid1(VALU_DEP_3)
	v_dual_sub_f32 v17, v1, v13 :: v_dual_sub_f32 v16, v0, v12
	v_dual_sub_f32 v9, v9, v13 :: v_dual_sub_f32 v8, v8, v12
	;; [unrolled: 1-line block ×3, first 2 shown]
	v_dual_sub_f32 v11, v11, v15 :: v_dual_mov_b32 v0, v12
	v_dual_mov_b32 v3, v15 :: v_dual_sub_f32 v10, v10, v14
	v_dual_mov_b32 v1, v13 :: v_dual_mov_b32 v2, v14
	v_mul_f32_e32 v13, 0x3fb8aa3b, v8
	v_dual_mul_f32 v12, 0x3fb8aa3b, v16 :: v_dual_mul_f32 v15, 0x3fb8aa3b, v9
	s_delay_alu instid0(VALU_DEP_4) | instskip(NEXT) | instid1(VALU_DEP_3)
	v_dual_mul_f32 v14, 0x3fb8aa3b, v17 :: v_dual_mul_f32 v21, 0x3fb8aa3b, v10
	v_fma_f32 v26, 0x3fb8aa3b, v8, -v13
	s_delay_alu instid0(VALU_DEP_3)
	v_fma_f32 v24, 0x3fb8aa3b, v16, -v12
	v_rndne_f32_e32 v25, v12
	v_rndne_f32_e32 v27, v13
	;; [unrolled: 1-line block ×3, first 2 shown]
	v_fma_f32 v38, 0x3fb8aa3b, v9, -v15
	v_fmac_f32_e32 v24, 0x32a5705f, v16
	v_sub_f32_e32 v12, v12, v25
	v_fma_f32 v42, 0x3fb8aa3b, v10, -v21
	v_sub_f32_e32 v15, v15, v39
	v_rndne_f32_e32 v43, v21
	v_dual_fmac_f32 v26, 0x32a5705f, v8 :: v_dual_sub_f32 v13, v13, v27
	v_add_f32_e32 v12, v12, v24
	v_dual_mul_f32 v20, 0x3fb8aa3b, v18 :: v_dual_mul_f32 v23, 0x3fb8aa3b, v11
	v_fma_f32 v36, 0x3fb8aa3b, v17, -v14
	v_rndne_f32_e32 v37, v14
	v_dual_fmac_f32 v42, 0x32a5705f, v10 :: v_dual_sub_f32 v21, v21, v43
	v_dual_mul_f32 v22, 0x3fb8aa3b, v19 :: v_dual_add_f32 v13, v13, v26
	v_exp_f32_e32 v12, v12
	v_rndne_f32_e32 v47, v23
	v_cvt_i32_f32_e32 v25, v25
	v_fmac_f32_e32 v36, 0x32a5705f, v17
	v_dual_fmac_f32 v38, 0x32a5705f, v9 :: v_dual_add_f32 v21, v21, v42
	v_sub_f32_e32 v14, v14, v37
	v_exp_f32_e32 v13, v13
	v_fma_f32 v40, 0x3fb8aa3b, v18, -v20
	s_delay_alu instid0(VALU_DEP_3)
	v_add_f32_e32 v15, v15, v38
	v_rndne_f32_e32 v41, v20
	v_fma_f32 v46, 0x3fb8aa3b, v11, -v23
	v_cvt_i32_f32_e32 v27, v27
	v_dual_sub_f32 v23, v23, v47 :: v_dual_add_f32 v14, v14, v36
	v_ldexp_f32 v12, v12, v25
	v_cmp_ngt_f32_e32 vcc_lo, 0xc2ce8ed0, v16
	v_fmac_f32_e32 v46, 0x32a5705f, v11
	v_sub_f32_e32 v20, v20, v41
	v_exp_f32_e32 v14, v14
	v_ldexp_f32 v13, v13, v27
	v_cndmask_b32_e32 v12, 0, v12, vcc_lo
	v_cmp_ngt_f32_e32 vcc_lo, 0xc2ce8ed0, v8
	v_fmac_f32_e32 v40, 0x32a5705f, v18
	v_cvt_i32_f32_e32 v37, v37
	v_add_f32_e32 v23, v23, v46
	v_exp_f32_e32 v15, v15
	s_delay_alu instid0(VALU_DEP_3)
	v_dual_cndmask_b32 v13, 0, v13 :: v_dual_add_f32 v20, v20, v40
	v_cvt_i32_f32_e32 v39, v39
	v_ldexp_f32 v14, v14, v37
	v_cmp_ngt_f32_e32 vcc_lo, 0xc2ce8ed0, v17
	v_cvt_i32_f32_e32 v41, v41
	v_exp_f32_e32 v20, v20
	v_exp_f32_e32 v21, v21
	;; [unrolled: 1-line block ×3, first 2 shown]
	v_ldexp_f32 v15, v15, v39
	v_cndmask_b32_e32 v14, 0, v14, vcc_lo
	v_cmp_ngt_f32_e32 vcc_lo, 0xc2ce8ed0, v9
	v_fma_f32 v44, 0x3fb8aa3b, v19, -v22
	v_rndne_f32_e32 v45, v22
	v_cvt_i32_f32_e32 v43, v43
	v_cvt_i32_f32_e32 v26, v47
	v_ldexp_f32 v20, v20, v41
	v_cndmask_b32_e32 v15, 0, v15, vcc_lo
	v_cmp_ngt_f32_e32 vcc_lo, 0xc2ce8ed0, v18
	v_ldexp_f32 v21, v21, v43
	v_ldexp_f32 v23, v23, v26
	v_sub_f32_e32 v22, v22, v45
	v_cvt_i32_f32_e32 v24, v45
	v_cndmask_b32_e32 v20, 0, v20, vcc_lo
	v_cmp_ngt_f32_e32 vcc_lo, 0xc2ce8ed0, v10
	v_dual_fmac_f32 v44, 0x32a5705f, v19 :: v_dual_cndmask_b32 v21, 0, v21
	s_delay_alu instid0(VALU_DEP_1) | instskip(SKIP_1) | instid1(VALU_DEP_2)
	v_add_f32_e32 v22, v22, v44
	v_cmp_ngt_f32_e32 vcc_lo, 0xc2ce8ed0, v19
	v_exp_f32_e32 v22, v22
	s_waitcnt_depctr 0xfff
	v_ldexp_f32 v22, v22, v24
	s_delay_alu instid0(VALU_DEP_1)
	v_cndmask_b32_e32 v22, 0, v22, vcc_lo
	v_cmp_ngt_f32_e32 vcc_lo, 0xc2ce8ed0, v11
	v_cndmask_b32_e32 v23, 0, v23, vcc_lo
	v_cmp_nlt_f32_e32 vcc_lo, 0x42b17218, v16
	v_cndmask_b32_e32 v12, 0x7f800000, v12, vcc_lo
	v_cmp_nlt_f32_e32 vcc_lo, 0x42b17218, v8
	;; [unrolled: 2-line block ×3, first 2 shown]
	s_delay_alu instid0(VALU_DEP_2) | instskip(SKIP_4) | instid1(VALU_DEP_3)
	v_dual_fmac_f32 v8, v4, v12 :: v_dual_cndmask_b32 v13, 0x7f800000, v14
	v_cmp_nlt_f32_e32 vcc_lo, 0x42b17218, v9
	v_cvt_f16_f32_e32 v4, v12
	v_cndmask_b32_e32 v9, 0x7f800000, v15, vcc_lo
	v_cmp_nlt_f32_e32 vcc_lo, 0x42b17218, v18
	v_pk_mul_f16 v34, v4, v34 op_sel_hi:[0,1]
	v_pk_mul_f16 v35, v4, v35 op_sel_hi:[0,1]
	s_delay_alu instid0(VALU_DEP_4)
	v_dual_mov_b32 v4, v8 :: v_dual_fmac_f32 v9, v5, v13
	v_cndmask_b32_e32 v14, 0x7f800000, v20, vcc_lo
	v_cmp_nlt_f32_e32 vcc_lo, 0x42b17218, v10
	v_cvt_f16_f32_e32 v5, v13
	v_cndmask_b32_e32 v10, 0x7f800000, v21, vcc_lo
	v_cmp_nlt_f32_e32 vcc_lo, 0x42b17218, v19
	s_delay_alu instid0(VALU_DEP_3) | instskip(SKIP_1) | instid1(VALU_DEP_4)
	v_pk_mul_f16 v32, v5, v32 op_sel_hi:[0,1]
	v_pk_mul_f16 v33, v5, v33 op_sel_hi:[0,1]
	v_dual_mov_b32 v5, v9 :: v_dual_fmac_f32 v10, v6, v14
	v_cndmask_b32_e32 v15, 0x7f800000, v22, vcc_lo
	v_cmp_nlt_f32_e32 vcc_lo, 0x42b17218, v11
	v_cvt_f16_f32_e32 v6, v14
	v_cndmask_b32_e32 v11, 0x7f800000, v23, vcc_lo
	s_delay_alu instid0(VALU_DEP_2) | instskip(SKIP_1) | instid1(VALU_DEP_3)
	v_pk_mul_f16 v30, v6, v30 op_sel_hi:[0,1]
	v_pk_mul_f16 v31, v6, v31 op_sel_hi:[0,1]
	v_dual_mov_b32 v6, v10 :: v_dual_fmac_f32 v11, v7, v15
	v_cvt_f16_f32_e32 v7, v15
	s_delay_alu instid0(VALU_DEP_1) | instskip(SKIP_1) | instid1(VALU_DEP_4)
	v_pk_mul_f16 v29, v7, v29 op_sel_hi:[0,1]
	v_pk_mul_f16 v28, v7, v28 op_sel_hi:[0,1]
	v_mov_b32_e32 v7, v11
	s_mov_b32 s2, exec_lo
	v_cmpx_gt_i32_e64 s54, v169
	s_cbranch_execnz .LBB5_15
.LBB5_13:
	s_nop 0
	s_sendmsg sendmsg(MSG_DEALLOC_VGPRS)
	s_endpgm
.LBB5_14:
	s_delay_alu instid0(VALU_DEP_1)
	v_dual_mov_b32 v11, v7 :: v_dual_mov_b32 v10, v6
	v_dual_mov_b32 v9, v5 :: v_dual_mov_b32 v8, v4
	s_mov_b32 s2, exec_lo
	v_cmpx_gt_i32_e64 s54, v169
	s_cbranch_execz .LBB5_13
.LBB5_15:
	s_load_b32 s1, s[0:1], 0xd4
	v_mov_b32_e32 v14, 1.0
	s_waitcnt lgkmcnt(0)
	s_cmp_lg_u32 s1, 1
	s_cselect_b32 s3, -1, 0
	s_cmp_eq_u32 s1, 1
	s_cselect_b32 s2, -1, 0
	s_and_b32 vcc_lo, exec_lo, s3
	s_cbranch_vccnz .LBB5_17
; %bb.16:
	v_div_scale_f32 v12, null, v4, v4, 1.0
	s_delay_alu instid0(VALU_DEP_1) | instskip(SKIP_2) | instid1(VALU_DEP_1)
	v_rcp_f32_e32 v13, v12
	s_waitcnt_depctr 0xfff
	v_fma_f32 v14, -v12, v13, 1.0
	v_fmac_f32_e32 v13, v14, v13
	v_div_scale_f32 v14, vcc_lo, 1.0, v4, 1.0
	s_delay_alu instid0(VALU_DEP_1) | instskip(NEXT) | instid1(VALU_DEP_1)
	v_mul_f32_e32 v15, v14, v13
	v_fma_f32 v16, -v12, v15, v14
	s_delay_alu instid0(VALU_DEP_1) | instskip(NEXT) | instid1(VALU_DEP_1)
	v_fmac_f32_e32 v15, v16, v13
	v_fma_f32 v12, -v12, v15, v14
	s_delay_alu instid0(VALU_DEP_1) | instskip(NEXT) | instid1(VALU_DEP_1)
	v_div_fmas_f32 v12, v12, v13, v15
	v_div_fixup_f32 v14, v12, v4, 1.0
.LBB5_17:
	v_mad_u64_u32 v[12:13], null, s60, s54, v[169:170]
	v_cvt_f32_f16_e32 v17, v34
	v_mov_b32_e32 v16, 0
	v_cvt_f32_f16_e32 v18, v35
	v_cmp_eq_u32_e32 vcc_lo, 0, v168
	v_mul_lo_u32 v4, v12, s55
	s_delay_alu instid0(VALU_DEP_1) | instskip(NEXT) | instid1(VALU_DEP_1)
	v_add3_u32 v4, s61, v188, v4
	v_mad_u64_u32 v[12:13], null, s1, v4, s[14:15]
	v_lshrrev_b32_e32 v13, 16, v35
	v_lshrrev_b32_e32 v4, 16, v34
	s_delay_alu instid0(VALU_DEP_2) | instskip(NEXT) | instid1(VALU_DEP_4)
	v_cvt_f32_f16_e32 v13, v13
	v_lshl_add_u32 v15, v12, 7, v187
	s_delay_alu instid0(VALU_DEP_3) | instskip(NEXT) | instid1(VALU_DEP_2)
	v_cvt_f32_f16_e32 v4, v4
	v_lshlrev_b64 v[19:20], 2, v[15:16]
	v_mul_f32_e32 v15, v14, v17
	v_mul_f32_e32 v17, v14, v18
	;; [unrolled: 1-line block ×4, first 2 shown]
	v_add_co_u32 v13, s0, s48, v19
	s_delay_alu instid0(VALU_DEP_1)
	v_add_co_ci_u32_e64 v14, s0, s49, v20, s0
	s_and_b32 s0, vcc_lo, s3
	global_store_b128 v[13:14], v[15:18], off
	s_and_saveexec_b32 s3, s0
	s_cbranch_execz .LBB5_19
; %bb.18:
	v_ashrrev_i32_e32 v13, 31, v12
	v_mov_b32_e32 v15, v0
	v_mov_b32_e32 v16, v8
	s_delay_alu instid0(VALU_DEP_3) | instskip(NEXT) | instid1(VALU_DEP_1)
	v_lshlrev_b64 v[13:14], 3, v[12:13]
	v_add_co_u32 v13, vcc_lo, s50, v13
	s_delay_alu instid0(VALU_DEP_2)
	v_add_co_ci_u32_e32 v14, vcc_lo, s51, v14, vcc_lo
	global_store_b64 v[13:14], v[15:16], off
.LBB5_19:
	s_or_b32 exec_lo, exec_lo, s3
	v_cndmask_b32_e64 v13, 0, 1, s2
	v_mov_b32_e32 v0, 1.0
	s_and_not1_b32 vcc_lo, exec_lo, s2
	s_cbranch_vccnz .LBB5_21
; %bb.20:
	v_div_scale_f32 v0, null, v5, v5, 1.0
	s_delay_alu instid0(VALU_DEP_1) | instskip(SKIP_2) | instid1(VALU_DEP_1)
	v_rcp_f32_e32 v4, v0
	s_waitcnt_depctr 0xfff
	v_fma_f32 v8, -v0, v4, 1.0
	v_fmac_f32_e32 v4, v8, v4
	v_div_scale_f32 v8, vcc_lo, 1.0, v5, 1.0
	s_delay_alu instid0(VALU_DEP_1) | instskip(NEXT) | instid1(VALU_DEP_1)
	v_mul_f32_e32 v14, v8, v4
	v_fma_f32 v15, -v0, v14, v8
	s_delay_alu instid0(VALU_DEP_1) | instskip(NEXT) | instid1(VALU_DEP_1)
	v_fmac_f32_e32 v14, v15, v4
	v_fma_f32 v0, -v0, v14, v8
	s_delay_alu instid0(VALU_DEP_1) | instskip(NEXT) | instid1(VALU_DEP_1)
	v_div_fmas_f32 v0, v0, v4, v14
	v_div_fixup_f32 v0, v0, v5, 1.0
.LBB5_21:
	v_dual_mov_b32 v15, 0 :: v_dual_add_nc_u32 v4, s1, v12
	v_lshrrev_b32_e32 v5, 16, v32
	v_lshrrev_b32_e32 v8, 16, v33
	v_cvt_f32_f16_e32 v12, v32
	s_delay_alu instid0(VALU_DEP_4) | instskip(SKIP_3) | instid1(VALU_DEP_4)
	v_lshl_add_u32 v14, v4, 7, v187
	v_cvt_f32_f16_e32 v16, v33
	v_cvt_f32_f16_e32 v5, v5
	;; [unrolled: 1-line block ×3, first 2 shown]
	v_lshlrev_b64 v[18:19], 2, v[14:15]
	v_mul_f32_e32 v14, v0, v12
	v_mul_f32_e32 v16, v0, v16
	;; [unrolled: 1-line block ×4, first 2 shown]
	v_add_co_u32 v18, vcc_lo, s48, v18
	v_add_co_ci_u32_e32 v19, vcc_lo, s49, v19, vcc_lo
	global_store_b128 v[18:19], v[14:17], off
	s_and_saveexec_b32 s2, s0
	s_cbranch_execz .LBB5_23
; %bb.22:
	v_ashrrev_i32_e32 v5, 31, v4
	v_mov_b32_e32 v8, v1
	s_delay_alu instid0(VALU_DEP_2) | instskip(NEXT) | instid1(VALU_DEP_1)
	v_lshlrev_b64 v[14:15], 3, v[4:5]
	v_add_co_u32 v14, vcc_lo, s50, v14
	s_delay_alu instid0(VALU_DEP_2)
	v_add_co_ci_u32_e32 v15, vcc_lo, s51, v15, vcc_lo
	global_store_b64 v[14:15], v[8:9], off
.LBB5_23:
	s_or_b32 exec_lo, exec_lo, s2
	v_cmp_ne_u32_e32 vcc_lo, 1, v13
	v_mov_b32_e32 v1, 1.0
	s_cbranch_vccnz .LBB5_25
; %bb.24:
	v_div_scale_f32 v0, null, v6, v6, 1.0
	s_delay_alu instid0(VALU_DEP_1) | instskip(SKIP_2) | instid1(VALU_DEP_1)
	v_rcp_f32_e32 v1, v0
	s_waitcnt_depctr 0xfff
	v_fma_f32 v5, -v0, v1, 1.0
	v_fmac_f32_e32 v1, v5, v1
	v_div_scale_f32 v5, vcc_lo, 1.0, v6, 1.0
	s_delay_alu instid0(VALU_DEP_1) | instskip(NEXT) | instid1(VALU_DEP_1)
	v_mul_f32_e32 v8, v5, v1
	v_fma_f32 v9, -v0, v8, v5
	s_delay_alu instid0(VALU_DEP_1) | instskip(NEXT) | instid1(VALU_DEP_1)
	v_fmac_f32_e32 v8, v9, v1
	v_fma_f32 v0, -v0, v8, v5
	s_delay_alu instid0(VALU_DEP_1) | instskip(NEXT) | instid1(VALU_DEP_1)
	v_div_fmas_f32 v0, v0, v1, v8
	v_div_fixup_f32 v1, v0, v6, 1.0
.LBB5_25:
	v_dual_mov_b32 v5, 0 :: v_dual_add_nc_u32 v0, s1, v4
	v_lshrrev_b32_e32 v6, 16, v30
	v_lshrrev_b32_e32 v8, 16, v31
	v_cvt_f32_f16_e32 v9, v30
	s_delay_alu instid0(VALU_DEP_4)
	v_lshl_add_u32 v4, v0, 7, v187
	v_cvt_f32_f16_e32 v12, v31
	v_cvt_f32_f16_e32 v6, v6
	;; [unrolled: 1-line block ×3, first 2 shown]
	v_mul_f32_e32 v14, v1, v9
	v_lshlrev_b64 v[4:5], 2, v[4:5]
	v_mul_f32_e32 v16, v1, v12
	v_mul_f32_e32 v15, v1, v6
	;; [unrolled: 1-line block ×3, first 2 shown]
	s_delay_alu instid0(VALU_DEP_4)
	v_add_co_u32 v4, vcc_lo, s48, v4
	v_add_co_ci_u32_e32 v5, vcc_lo, s49, v5, vcc_lo
	global_store_b128 v[4:5], v[14:17], off
	s_and_saveexec_b32 s2, s0
	s_cbranch_execz .LBB5_27
; %bb.26:
	v_ashrrev_i32_e32 v1, 31, v0
	v_mov_b32_e32 v9, v2
	s_delay_alu instid0(VALU_DEP_2) | instskip(NEXT) | instid1(VALU_DEP_1)
	v_lshlrev_b64 v[4:5], 3, v[0:1]
	v_add_co_u32 v4, vcc_lo, s50, v4
	s_delay_alu instid0(VALU_DEP_2)
	v_add_co_ci_u32_e32 v5, vcc_lo, s51, v5, vcc_lo
	global_store_b64 v[4:5], v[9:10], off
.LBB5_27:
	s_or_b32 exec_lo, exec_lo, s2
	v_cmp_ne_u32_e32 vcc_lo, 1, v13
	v_mov_b32_e32 v1, 1.0
	s_cbranch_vccnz .LBB5_29
; %bb.28:
	v_div_scale_f32 v1, null, v7, v7, 1.0
	s_delay_alu instid0(VALU_DEP_1) | instskip(SKIP_2) | instid1(VALU_DEP_1)
	v_rcp_f32_e32 v2, v1
	s_waitcnt_depctr 0xfff
	v_fma_f32 v4, -v1, v2, 1.0
	v_fmac_f32_e32 v2, v4, v2
	v_div_scale_f32 v4, vcc_lo, 1.0, v7, 1.0
	s_delay_alu instid0(VALU_DEP_1) | instskip(NEXT) | instid1(VALU_DEP_1)
	v_mul_f32_e32 v5, v4, v2
	v_fma_f32 v6, -v1, v5, v4
	s_delay_alu instid0(VALU_DEP_1) | instskip(NEXT) | instid1(VALU_DEP_1)
	v_fmac_f32_e32 v5, v6, v2
	v_fma_f32 v1, -v1, v5, v4
	s_delay_alu instid0(VALU_DEP_1) | instskip(NEXT) | instid1(VALU_DEP_1)
	v_div_fmas_f32 v1, v1, v2, v5
	v_div_fixup_f32 v1, v1, v7, 1.0
.LBB5_29:
	v_dual_mov_b32 v5, 0 :: v_dual_add_nc_u32 v0, s1, v0
	v_lshrrev_b32_e32 v2, 16, v29
	v_lshrrev_b32_e32 v6, 16, v28
	v_cvt_f32_f16_e32 v7, v29
	s_delay_alu instid0(VALU_DEP_4) | instskip(SKIP_3) | instid1(VALU_DEP_4)
	v_lshl_add_u32 v4, v0, 7, v187
	v_cvt_f32_f16_e32 v10, v28
	v_cvt_f32_f16_e32 v2, v2
	;; [unrolled: 1-line block ×3, first 2 shown]
	v_lshlrev_b64 v[8:9], 2, v[4:5]
	v_mul_f32_e32 v4, v1, v7
	v_mul_f32_e32 v6, v1, v10
	;; [unrolled: 1-line block ×4, first 2 shown]
	v_add_co_u32 v1, vcc_lo, s48, v8
	v_add_co_ci_u32_e32 v2, vcc_lo, s49, v9, vcc_lo
	global_store_b128 v[1:2], v[4:7], off
	s_and_b32 exec_lo, exec_lo, s0
	s_cbranch_execz .LBB5_13
; %bb.30:
	v_ashrrev_i32_e32 v1, 31, v0
	v_mov_b32_e32 v10, v3
	s_delay_alu instid0(VALU_DEP_2) | instskip(NEXT) | instid1(VALU_DEP_1)
	v_lshlrev_b64 v[0:1], 3, v[0:1]
	v_add_co_u32 v0, vcc_lo, s50, v0
	s_delay_alu instid0(VALU_DEP_2)
	v_add_co_ci_u32_e32 v1, vcc_lo, s51, v1, vcc_lo
	global_store_b64 v[0:1], v[10:11], off
	s_nop 0
	s_sendmsg sendmsg(MSG_DEALLOC_VGPRS)
	s_endpgm
	.section	.rodata,"a",@progbits
	.p2align	6, 0x0
	.amdhsa_kernel _ZL15flash_attn_tileILi128ELi128ELi4ELi8ELb0EEvPKcS1_S1_S1_S1_PKiPfP15HIP_vector_typeIfLj2EEffffjfiS5_IjLj3EEiiiiiiiiiiiliiliiiiil
		.amdhsa_group_segment_fixed_size 34816
		.amdhsa_private_segment_fixed_size 0
		.amdhsa_kernarg_size 464
		.amdhsa_user_sgpr_count 13
		.amdhsa_user_sgpr_dispatch_ptr 0
		.amdhsa_user_sgpr_queue_ptr 0
		.amdhsa_user_sgpr_kernarg_segment_ptr 1
		.amdhsa_user_sgpr_dispatch_id 0
		.amdhsa_user_sgpr_private_segment_size 0
		.amdhsa_wavefront_size32 1
		.amdhsa_uses_dynamic_stack 0
		.amdhsa_enable_private_segment 0
		.amdhsa_system_sgpr_workgroup_id_x 1
		.amdhsa_system_sgpr_workgroup_id_y 1
		.amdhsa_system_sgpr_workgroup_id_z 1
		.amdhsa_system_sgpr_workgroup_info 0
		.amdhsa_system_vgpr_workitem_id 1
		.amdhsa_next_free_vgpr 243
		.amdhsa_next_free_sgpr 65
		.amdhsa_reserve_vcc 1
		.amdhsa_float_round_mode_32 0
		.amdhsa_float_round_mode_16_64 0
		.amdhsa_float_denorm_mode_32 3
		.amdhsa_float_denorm_mode_16_64 3
		.amdhsa_dx10_clamp 1
		.amdhsa_ieee_mode 1
		.amdhsa_fp16_overflow 0
		.amdhsa_workgroup_processor_mode 1
		.amdhsa_memory_ordered 1
		.amdhsa_forward_progress 0
		.amdhsa_shared_vgpr_count 0
		.amdhsa_exception_fp_ieee_invalid_op 0
		.amdhsa_exception_fp_denorm_src 0
		.amdhsa_exception_fp_ieee_div_zero 0
		.amdhsa_exception_fp_ieee_overflow 0
		.amdhsa_exception_fp_ieee_underflow 0
		.amdhsa_exception_fp_ieee_inexact 0
		.amdhsa_exception_int_div_zero 0
	.end_amdhsa_kernel
	.section	.text._ZL15flash_attn_tileILi128ELi128ELi4ELi8ELb0EEvPKcS1_S1_S1_S1_PKiPfP15HIP_vector_typeIfLj2EEffffjfiS5_IjLj3EEiiiiiiiiiiiliiliiiiil,"axG",@progbits,_ZL15flash_attn_tileILi128ELi128ELi4ELi8ELb0EEvPKcS1_S1_S1_S1_PKiPfP15HIP_vector_typeIfLj2EEffffjfiS5_IjLj3EEiiiiiiiiiiiliiliiiiil,comdat
.Lfunc_end5:
	.size	_ZL15flash_attn_tileILi128ELi128ELi4ELi8ELb0EEvPKcS1_S1_S1_S1_PKiPfP15HIP_vector_typeIfLj2EEffffjfiS5_IjLj3EEiiiiiiiiiiiliiliiiiil, .Lfunc_end5-_ZL15flash_attn_tileILi128ELi128ELi4ELi8ELb0EEvPKcS1_S1_S1_S1_PKiPfP15HIP_vector_typeIfLj2EEffffjfiS5_IjLj3EEiiiiiiiiiiiliiliiiiil
                                        ; -- End function
	.section	.AMDGPU.csdata,"",@progbits
; Kernel info:
; codeLenInByte = 40336
; NumSgprs: 67
; NumVgprs: 243
; ScratchSize: 0
; MemoryBound: 0
; FloatMode: 240
; IeeeMode: 1
; LDSByteSize: 34816 bytes/workgroup (compile time only)
; SGPRBlocks: 8
; VGPRBlocks: 30
; NumSGPRsForWavesPerEU: 67
; NumVGPRsForWavesPerEU: 243
; Occupancy: 5
; WaveLimiterHint : 1
; COMPUTE_PGM_RSRC2:SCRATCH_EN: 0
; COMPUTE_PGM_RSRC2:USER_SGPR: 13
; COMPUTE_PGM_RSRC2:TRAP_HANDLER: 0
; COMPUTE_PGM_RSRC2:TGID_X_EN: 1
; COMPUTE_PGM_RSRC2:TGID_Y_EN: 1
; COMPUTE_PGM_RSRC2:TGID_Z_EN: 1
; COMPUTE_PGM_RSRC2:TIDIG_COMP_CNT: 1
	.section	.text._ZL25flash_attn_mask_to_KV_maxILi4EEvPK7__half2Piiii,"axG",@progbits,_ZL25flash_attn_mask_to_KV_maxILi4EEvPK7__half2Piiii,comdat
	.globl	_ZL25flash_attn_mask_to_KV_maxILi4EEvPK7__half2Piiii ; -- Begin function _ZL25flash_attn_mask_to_KV_maxILi4EEvPK7__half2Piiii
	.p2align	8
	.type	_ZL25flash_attn_mask_to_KV_maxILi4EEvPK7__half2Piiii,@function
_ZL25flash_attn_mask_to_KV_maxILi4EEvPK7__half2Piiii: ; @_ZL25flash_attn_mask_to_KV_maxILi4EEvPK7__half2Piiii
; %bb.0:
	s_load_b128 s[4:7], s[0:1], 0x0
	s_mov_b32 s2, exec_lo
	v_cmpx_gt_u32_e32 32, v0
	s_cbranch_execz .LBB6_2
; %bb.1:
	v_dual_mov_b32 v2, 1 :: v_dual_lshlrev_b32 v1, 2, v0
	ds_store_b32 v1, v2
.LBB6_2:
	s_or_b32 exec_lo, exec_lo, s2
	s_clause 0x1
	s_load_b128 s[8:11], s[0:1], 0x10
	s_load_b32 s1, s[0:1], 0x20
	v_dual_mov_b32 v2, 0 :: v_dual_and_b32 v1, 31, v0
	v_lshrrev_b32_e32 v5, 3, v0
	s_waitcnt lgkmcnt(0)
	s_barrier
	s_delay_alu instid0(VALU_DEP_2) | instskip(SKIP_4) | instid1(SALU_CYCLE_1)
	v_lshlrev_b32_e32 v6, 2, v1
	buffer_gl0_inv
	s_mul_i32 s0, s14, s9
	s_mul_i32 s2, s15, s10
	s_lshl_b32 s0, s0, 2
	s_add_i32 s2, s2, s0
	v_cmp_eq_u32_e64 s0, 0, v1
	s_ashr_i32 s3, s2, 31
	s_delay_alu instid0(SALU_CYCLE_1) | instskip(NEXT) | instid1(SALU_CYCLE_1)
	s_lshl_b64 s[10:11], s[2:3], 2
	s_add_u32 s3, s4, s10
	s_addc_u32 s4, s5, s11
	s_lshl_b32 s5, s8, 8
	s_branch .LBB6_4
.LBB6_3:                                ;   in Loop: Header=BB6_4 Depth=1
	s_or_b32 exec_lo, exec_lo, s10
	s_waitcnt lgkmcnt(0)
	s_barrier
	buffer_gl0_inv
	ds_load_b32 v1, v6
	s_waitcnt lgkmcnt(0)
	s_barrier
	buffer_gl0_inv
	;;#ASMSTART
	;;#ASMEND
	v_cmp_ne_u32_e32 vcc_lo, 0, v1
	s_cmp_lg_u32 vcc_lo, exec_lo
	s_cselect_b32 s8, -1, 0
	s_delay_alu instid0(SALU_CYCLE_1)
	s_and_b32 vcc_lo, exec_lo, s8
	s_cbranch_vccnz .LBB6_20
.LBB6_4:                                ; =>This Inner Loop Header: Depth=1
	s_mov_b32 s2, s5
	s_addk_i32 s5, 0xff00
	s_delay_alu instid0(SALU_CYCLE_1)
	s_cmp_lt_i32 s5, 0
	s_cbranch_scc1 .LBB6_19
; %bb.5:                                ;   in Loop: Header=BB6_4 Depth=1
	s_lshr_b32 s8, s5, 1
	s_mov_b32 s10, 0
	v_add_nc_u32_e32 v1, s8, v0
	s_delay_alu instid0(VALU_DEP_1) | instskip(NEXT) | instid1(VALU_DEP_1)
	v_lshlrev_b64 v[3:4], 2, v[1:2]
	v_add_co_u32 v3, vcc_lo, s3, v3
	s_delay_alu instid0(VALU_DEP_2) | instskip(SKIP_4) | instid1(VALU_DEP_2)
	v_add_co_ci_u32_e32 v4, vcc_lo, s4, v4, vcc_lo
	global_load_b32 v3, v[3:4], off
	s_waitcnt vmcnt(0)
	v_lshrrev_b32_e32 v4, 16, v3
	v_cmp_class_f16_e64 s8, v3, 0x204
	v_and_b32_e32 v4, 0x7fff, v4
	s_delay_alu instid0(VALU_DEP_1) | instskip(NEXT) | instid1(VALU_DEP_3)
	v_cmp_eq_f16_e32 vcc_lo, 0x7c00, v4
	s_and_b32 s11, s8, vcc_lo
	s_delay_alu instid0(SALU_CYCLE_1)
	s_and_saveexec_b32 s8, s11
	s_cbranch_execz .LBB6_17
; %bb.6:                                ;   in Loop: Header=BB6_4 Depth=1
	v_add_nc_u32_e32 v3, s9, v1
	s_mov_b32 s11, 0
	s_delay_alu instid0(VALU_DEP_1) | instskip(NEXT) | instid1(VALU_DEP_1)
	v_ashrrev_i32_e32 v4, 31, v3
	v_lshlrev_b64 v[7:8], 2, v[3:4]
	s_delay_alu instid0(VALU_DEP_1) | instskip(NEXT) | instid1(VALU_DEP_2)
	v_add_co_u32 v7, vcc_lo, s3, v7
	v_add_co_ci_u32_e32 v8, vcc_lo, s4, v8, vcc_lo
	global_load_b32 v1, v[7:8], off
	s_waitcnt vmcnt(0)
	v_cmp_class_f16_e64 s12, v1, 0x204
	s_delay_alu instid0(VALU_DEP_1)
	s_and_saveexec_b32 s10, s12
	s_cbranch_execz .LBB6_16
; %bb.7:                                ;   in Loop: Header=BB6_4 Depth=1
	v_lshrrev_b32_e32 v1, 16, v1
	s_mov_b32 s12, 0
	s_delay_alu instid0(VALU_DEP_1) | instskip(NEXT) | instid1(VALU_DEP_1)
	v_cmp_class_f16_e64 s13, v1, 0x204
	s_and_saveexec_b32 s11, s13
	s_cbranch_execz .LBB6_15
; %bb.8:                                ;   in Loop: Header=BB6_4 Depth=1
	v_add_nc_u32_e32 v3, s9, v3
	s_mov_b32 s13, 0
	s_delay_alu instid0(VALU_DEP_1) | instskip(NEXT) | instid1(VALU_DEP_1)
	v_ashrrev_i32_e32 v4, 31, v3
	v_lshlrev_b64 v[7:8], 2, v[3:4]
	s_delay_alu instid0(VALU_DEP_1) | instskip(NEXT) | instid1(VALU_DEP_2)
	v_add_co_u32 v7, vcc_lo, s3, v7
	v_add_co_ci_u32_e32 v8, vcc_lo, s4, v8, vcc_lo
	global_load_b32 v1, v[7:8], off
	s_waitcnt vmcnt(0)
	v_cmp_class_f16_e64 s16, v1, 0x204
	s_delay_alu instid0(VALU_DEP_1)
	s_and_saveexec_b32 s12, s16
	s_cbranch_execz .LBB6_14
; %bb.9:                                ;   in Loop: Header=BB6_4 Depth=1
	v_lshrrev_b32_e32 v1, 16, v1
	s_mov_b32 s16, 0
	s_delay_alu instid0(VALU_DEP_1) | instskip(NEXT) | instid1(VALU_DEP_1)
	v_cmp_class_f16_e64 s17, v1, 0x204
	s_and_saveexec_b32 s13, s17
	s_cbranch_execz .LBB6_13
; %bb.10:                               ;   in Loop: Header=BB6_4 Depth=1
	v_add_nc_u32_e32 v3, s9, v3
	s_delay_alu instid0(VALU_DEP_1) | instskip(NEXT) | instid1(VALU_DEP_1)
	v_ashrrev_i32_e32 v4, 31, v3
	v_lshlrev_b64 v[3:4], 2, v[3:4]
	s_delay_alu instid0(VALU_DEP_1) | instskip(NEXT) | instid1(VALU_DEP_2)
	v_add_co_u32 v3, vcc_lo, s3, v3
	v_add_co_ci_u32_e32 v4, vcc_lo, s4, v4, vcc_lo
	global_load_b32 v1, v[3:4], off
	s_waitcnt vmcnt(0)
	v_cmp_class_f16_e64 s18, v1, 0x204
	s_delay_alu instid0(VALU_DEP_1)
	s_and_saveexec_b32 s17, s18
; %bb.11:                               ;   in Loop: Header=BB6_4 Depth=1
	v_lshrrev_b32_e32 v1, 16, v1
	s_delay_alu instid0(VALU_DEP_1) | instskip(NEXT) | instid1(VALU_DEP_1)
	v_cmp_class_f16_e64 s16, v1, 0x204
	s_and_b32 s16, s16, exec_lo
; %bb.12:                               ;   in Loop: Header=BB6_4 Depth=1
	s_or_b32 exec_lo, exec_lo, s17
	s_delay_alu instid0(SALU_CYCLE_1)
	s_and_b32 s16, s16, exec_lo
.LBB6_13:                               ;   in Loop: Header=BB6_4 Depth=1
	s_or_b32 exec_lo, exec_lo, s13
	s_delay_alu instid0(SALU_CYCLE_1)
	s_and_b32 s13, s16, exec_lo
.LBB6_14:                               ;   in Loop: Header=BB6_4 Depth=1
	s_or_b32 exec_lo, exec_lo, s12
	s_delay_alu instid0(SALU_CYCLE_1)
	s_and_b32 s12, s13, exec_lo
.LBB6_15:                               ;   in Loop: Header=BB6_4 Depth=1
	s_or_b32 exec_lo, exec_lo, s11
	s_delay_alu instid0(SALU_CYCLE_1)
	s_and_b32 s11, s12, exec_lo
.LBB6_16:                               ;   in Loop: Header=BB6_4 Depth=1
	s_or_b32 exec_lo, exec_lo, s10
	s_delay_alu instid0(SALU_CYCLE_1)
	s_and_b32 s10, s11, exec_lo
.LBB6_17:                               ;   in Loop: Header=BB6_4 Depth=1
	s_or_b32 exec_lo, exec_lo, s8
	v_cndmask_b32_e64 v1, 0, 1, s10
	;;#ASMSTART
	;;#ASMEND
	s_delay_alu instid0(VALU_DEP_1)
	v_cmp_ne_u32_e32 vcc_lo, 0, v1
	s_mov_b32 s8, exec_lo
	s_and_saveexec_b32 s10, s0
	s_cbranch_execz .LBB6_3
; %bb.18:                               ;   in Loop: Header=BB6_4 Depth=1
	s_cmp_eq_u32 vcc_lo, s8
	s_cselect_b32 s8, -1, 0
	s_delay_alu instid0(SALU_CYCLE_1)
	v_cndmask_b32_e64 v1, 0, 1, s8
	ds_store_b32 v5, v1
	s_branch .LBB6_3
.LBB6_19:                               ;   in Loop: Header=BB6_4 Depth=1
                                        ; implicit-def: $sgpr5
	s_cbranch_execz .LBB6_4
.LBB6_20:
	s_mov_b32 s0, exec_lo
	v_cmpx_eq_u32_e32 0, v0
	s_cbranch_execz .LBB6_22
; %bb.21:
	s_mul_i32 s0, s1, s15
	v_dual_mov_b32 v0, 0 :: v_dual_mov_b32 v1, s2
	s_add_i32 s0, s0, s14
	s_delay_alu instid0(SALU_CYCLE_1) | instskip(NEXT) | instid1(SALU_CYCLE_1)
	s_ashr_i32 s1, s0, 31
	s_lshl_b64 s[0:1], s[0:1], 2
	s_delay_alu instid0(SALU_CYCLE_1)
	s_add_u32 s0, s6, s0
	s_addc_u32 s1, s7, s1
	global_store_b32 v0, v1, s[0:1]
.LBB6_22:
	s_nop 0
	s_sendmsg sendmsg(MSG_DEALLOC_VGPRS)
	s_endpgm
	.section	.rodata,"a",@progbits
	.p2align	6, 0x0
	.amdhsa_kernel _ZL25flash_attn_mask_to_KV_maxILi4EEvPK7__half2Piiii
		.amdhsa_group_segment_fixed_size 128
		.amdhsa_private_segment_fixed_size 0
		.amdhsa_kernarg_size 288
		.amdhsa_user_sgpr_count 14
		.amdhsa_user_sgpr_dispatch_ptr 0
		.amdhsa_user_sgpr_queue_ptr 0
		.amdhsa_user_sgpr_kernarg_segment_ptr 1
		.amdhsa_user_sgpr_dispatch_id 0
		.amdhsa_user_sgpr_private_segment_size 0
		.amdhsa_wavefront_size32 1
		.amdhsa_uses_dynamic_stack 0
		.amdhsa_enable_private_segment 0
		.amdhsa_system_sgpr_workgroup_id_x 1
		.amdhsa_system_sgpr_workgroup_id_y 1
		.amdhsa_system_sgpr_workgroup_id_z 0
		.amdhsa_system_sgpr_workgroup_info 0
		.amdhsa_system_vgpr_workitem_id 0
		.amdhsa_next_free_vgpr 9
		.amdhsa_next_free_sgpr 19
		.amdhsa_reserve_vcc 1
		.amdhsa_float_round_mode_32 0
		.amdhsa_float_round_mode_16_64 0
		.amdhsa_float_denorm_mode_32 3
		.amdhsa_float_denorm_mode_16_64 3
		.amdhsa_dx10_clamp 1
		.amdhsa_ieee_mode 1
		.amdhsa_fp16_overflow 0
		.amdhsa_workgroup_processor_mode 1
		.amdhsa_memory_ordered 1
		.amdhsa_forward_progress 0
		.amdhsa_shared_vgpr_count 0
		.amdhsa_exception_fp_ieee_invalid_op 0
		.amdhsa_exception_fp_denorm_src 0
		.amdhsa_exception_fp_ieee_div_zero 0
		.amdhsa_exception_fp_ieee_overflow 0
		.amdhsa_exception_fp_ieee_underflow 0
		.amdhsa_exception_fp_ieee_inexact 0
		.amdhsa_exception_int_div_zero 0
	.end_amdhsa_kernel
	.section	.text._ZL25flash_attn_mask_to_KV_maxILi4EEvPK7__half2Piiii,"axG",@progbits,_ZL25flash_attn_mask_to_KV_maxILi4EEvPK7__half2Piiii,comdat
.Lfunc_end6:
	.size	_ZL25flash_attn_mask_to_KV_maxILi4EEvPK7__half2Piiii, .Lfunc_end6-_ZL25flash_attn_mask_to_KV_maxILi4EEvPK7__half2Piiii
                                        ; -- End function
	.section	.AMDGPU.csdata,"",@progbits
; Kernel info:
; codeLenInByte = 848
; NumSgprs: 21
; NumVgprs: 9
; ScratchSize: 0
; MemoryBound: 0
; FloatMode: 240
; IeeeMode: 1
; LDSByteSize: 128 bytes/workgroup (compile time only)
; SGPRBlocks: 2
; VGPRBlocks: 1
; NumSGPRsForWavesPerEU: 21
; NumVGPRsForWavesPerEU: 9
; Occupancy: 16
; WaveLimiterHint : 0
; COMPUTE_PGM_RSRC2:SCRATCH_EN: 0
; COMPUTE_PGM_RSRC2:USER_SGPR: 14
; COMPUTE_PGM_RSRC2:TRAP_HANDLER: 0
; COMPUTE_PGM_RSRC2:TGID_X_EN: 1
; COMPUTE_PGM_RSRC2:TGID_Y_EN: 1
; COMPUTE_PGM_RSRC2:TGID_Z_EN: 0
; COMPUTE_PGM_RSRC2:TIDIG_COMP_CNT: 0
	.section	.text._ZL33flash_attn_stream_k_fixup_uniformILi128ELi4ELi8EEvPfPK15HIP_vector_typeIfLj2EEiiiiiiS1_IjLj3EES5_S5_,"axG",@progbits,_ZL33flash_attn_stream_k_fixup_uniformILi128ELi4ELi8EEvPfPK15HIP_vector_typeIfLj2EEiiiiiiS1_IjLj3EES5_S5_,comdat
	.globl	_ZL33flash_attn_stream_k_fixup_uniformILi128ELi4ELi8EEvPfPK15HIP_vector_typeIfLj2EEiiiiiiS1_IjLj3EES5_S5_ ; -- Begin function _ZL33flash_attn_stream_k_fixup_uniformILi128ELi4ELi8EEvPfPK15HIP_vector_typeIfLj2EEiiiiiiS1_IjLj3EES5_S5_
	.p2align	8
	.type	_ZL33flash_attn_stream_k_fixup_uniformILi128ELi4ELi8EEvPfPK15HIP_vector_typeIfLj2EEiiiiiiS1_IjLj3EES5_S5_,@function
_ZL33flash_attn_stream_k_fixup_uniformILi128ELi4ELi8EEvPfPK15HIP_vector_typeIfLj2EEiiiiiiS1_IjLj3EES5_S5_: ; @_ZL33flash_attn_stream_k_fixup_uniformILi128ELi4ELi8EEvPfPK15HIP_vector_typeIfLj2EEiiiiiiS1_IjLj3EES5_S5_
; %bb.0:
	s_clause 0x1
	s_load_b256 s[4:11], s[0:1], 0x1c
	s_load_b128 s[16:19], s[0:1], 0x3c
	s_waitcnt lgkmcnt(0)
	s_mul_hi_u32 s2, s7, s13
	s_delay_alu instid0(SALU_CYCLE_1) | instskip(NEXT) | instid1(SALU_CYCLE_1)
	s_add_i32 s2, s13, s2
	s_lshr_b32 s2, s2, s8
	s_delay_alu instid0(SALU_CYCLE_1) | instskip(SKIP_2) | instid1(SALU_CYCLE_1)
	s_mul_i32 s3, s2, s9
	s_load_b64 s[8:9], s[0:1], 0x10
	s_sub_i32 s7, s13, s3
	s_mul_hi_u32 s3, s7, s10
	s_delay_alu instid0(SALU_CYCLE_1) | instskip(NEXT) | instid1(SALU_CYCLE_1)
	s_add_i32 s3, s7, s3
	s_lshr_b32 s3, s3, s11
	s_delay_alu instid0(SALU_CYCLE_1) | instskip(NEXT) | instid1(SALU_CYCLE_1)
	s_mul_i32 s10, s3, s16
	s_sub_i32 s7, s7, s10
	s_delay_alu instid0(SALU_CYCLE_1) | instskip(NEXT) | instid1(SALU_CYCLE_1)
	s_mul_hi_u32 s10, s7, s17
	s_add_i32 s10, s7, s10
	s_delay_alu instid0(SALU_CYCLE_1) | instskip(NEXT) | instid1(SALU_CYCLE_1)
	s_lshr_b32 s10, s10, s18
	s_mul_i32 s11, s10, s19
	s_lshl_b32 s10, s10, 3
	s_sub_i32 s7, s7, s11
	s_delay_alu instid0(SALU_CYCLE_1) | instskip(NEXT) | instid1(SALU_CYCLE_1)
	s_lshl_b32 s11, s7, 2
	s_add_i32 s11, s11, s14
	s_waitcnt lgkmcnt(0)
	s_cmp_lt_i32 s11, s8
	s_cselect_b32 s11, -1, 0
	s_add_i32 s12, s10, s15
	s_delay_alu instid0(SALU_CYCLE_1) | instskip(SKIP_1) | instid1(SALU_CYCLE_1)
	s_cmp_lt_i32 s12, s5
	s_cselect_b32 s12, -1, 0
	s_and_b32 s11, s11, s12
	s_delay_alu instid0(SALU_CYCLE_1)
	s_and_not1_b32 vcc_lo, exec_lo, s11
	s_cbranch_vccnz .LBB7_6
; %bb.1:
	s_mul_i32 s2, s2, s8
	s_mul_i32 s5, s3, s5
	s_add_i32 s2, s2, s14
	s_mul_i32 s7, s9, s7
	s_mul_i32 s2, s2, s9
	s_lshl_b32 s7, s7, 9
	s_add_i32 s8, s2, s15
	s_load_b128 s[0:3], s[0:1], 0x0
	s_add_i32 s5, s8, s5
	s_lshl_b32 s9, s14, 3
	s_add_i32 s5, s5, s10
	s_delay_alu instid0(SALU_CYCLE_1) | instskip(NEXT) | instid1(SALU_CYCLE_1)
	s_lshl_b32 s5, s5, 7
	s_add_i32 s7, s7, s5
	s_mul_i32 s5, s13, s6
	v_or_b32_e32 v1, s7, v0
	s_add_i32 s10, s5, s6
	s_delay_alu instid0(VALU_DEP_1) | instskip(NEXT) | instid1(VALU_DEP_1)
	v_ashrrev_i32_e32 v2, 31, v1
	v_lshlrev_b64 v[1:2], 2, v[1:2]
	s_waitcnt lgkmcnt(0)
	s_delay_alu instid0(VALU_DEP_1) | instskip(NEXT) | instid1(VALU_DEP_2)
	v_add_co_u32 v1, vcc_lo, s0, v1
	v_add_co_ci_u32_e32 v2, vcc_lo, s1, v2, vcc_lo
	s_add_i32 s0, s9, s15
	s_lshl_b32 s1, s10, 5
	s_delay_alu instid0(SALU_CYCLE_1) | instskip(SKIP_2) | instid1(SALU_CYCLE_1)
	s_add_i32 s0, s0, s1
	global_load_b32 v5, v[1:2], off
	s_sub_i32 s0, s0, 32
	s_ashr_i32 s1, s0, 31
	s_delay_alu instid0(SALU_CYCLE_1) | instskip(NEXT) | instid1(SALU_CYCLE_1)
	s_lshl_b64 s[0:1], s[0:1], 3
	s_add_u32 s0, s2, s0
	s_addc_u32 s1, s3, s1
	s_add_i32 s7, s10, -2
	s_load_b32 s11, s[0:1], 0x4
	s_cmp_lt_i32 s7, s5
	s_cbranch_scc1 .LBB7_4
; %bb.2:
	s_lshl_b32 s16, s4, 7
	s_load_b32 s12, s[0:1], 0x0
	s_ashr_i32 s17, s16, 31
	s_delay_alu instid0(SALU_CYCLE_1) | instskip(NEXT) | instid1(SALU_CYCLE_1)
	s_lshl_b64 s[0:1], s[16:17], 2
	s_add_u32 s7, s2, s0
	s_addc_u32 s8, s3, s1
	s_add_i32 s13, s13, 1
	s_lshl_b32 s0, s14, 10
	s_lshl_b32 s1, s15, 7
	s_mul_i32 s6, s6, s13
	s_add_i32 s0, s1, s0
	s_lshl_b32 s1, s6, 12
	s_delay_alu instid0(SALU_CYCLE_1)
	s_add_i32 s0, s0, s1
	s_lshl_b32 s1, s6, 5
	v_or_b32_e32 v0, s0, v0
	s_lshl_b32 s0, s4, 5
	s_add_i32 s1, s15, s1
	s_waitcnt lgkmcnt(0)
	v_mov_b32_e32 v6, s11
	s_add_i32 s0, s1, s0
	v_dual_mov_b32 v0, s12 :: v_dual_add_nc_u32 v3, 0xffffe000, v0
	s_add_i32 s0, s0, s9
	s_add_i32 s4, s10, -1
	s_sub_i32 s0, s0, 64
.LBB7_3:                                ; =>This Inner Loop Header: Depth=1
	s_delay_alu instid0(VALU_DEP_1) | instskip(SKIP_1) | instid1(SALU_CYCLE_1)
	v_ashrrev_i32_e32 v4, 31, v3
	s_ashr_i32 s1, s0, 31
	s_lshl_b64 s[10:11], s[0:1], 3
	s_delay_alu instid0(SALU_CYCLE_1) | instskip(NEXT) | instid1(VALU_DEP_1)
	s_add_u32 s10, s2, s10
	v_lshlrev_b64 v[7:8], 2, v[3:4]
	s_addc_u32 s11, s3, s11
	s_add_i32 s4, s4, -1
	s_sub_i32 s0, s0, 32
	s_cmp_le_i32 s4, s5
	s_load_b64 s[10:11], s[10:11], 0x0
	v_add_co_u32 v7, vcc_lo, s7, v7
	v_add_co_ci_u32_e32 v8, vcc_lo, s8, v8, vcc_lo
	global_load_b32 v4, v[7:8], off
	v_max_f32_e32 v7, v0, v0
	s_waitcnt lgkmcnt(0)
	v_max_f32_e64 v8, s10, s10
	s_delay_alu instid0(VALU_DEP_1) | instskip(NEXT) | instid1(VALU_DEP_1)
	v_max_f32_e32 v7, v7, v8
	v_sub_f32_e32 v8, s10, v7
	s_delay_alu instid0(VALU_DEP_1) | instskip(NEXT) | instid1(VALU_DEP_1)
	v_dual_sub_f32 v0, v0, v7 :: v_dual_mul_f32 v9, 0x3fb8aa3b, v8
	v_fma_f32 v10, 0x3fb8aa3b, v8, -v9
	v_rndne_f32_e32 v11, v9
	s_delay_alu instid0(VALU_DEP_3) | instskip(NEXT) | instid1(VALU_DEP_2)
	v_mul_f32_e32 v12, 0x3fb8aa3b, v0
	v_dual_fmac_f32 v10, 0x32a5705f, v8 :: v_dual_sub_f32 v9, v9, v11
	v_cvt_i32_f32_e32 v11, v11
	s_delay_alu instid0(VALU_DEP_3) | instskip(SKIP_1) | instid1(VALU_DEP_4)
	v_fma_f32 v13, 0x3fb8aa3b, v0, -v12
	v_rndne_f32_e32 v14, v12
	v_add_f32_e32 v9, v9, v10
	v_cmp_ngt_f32_e32 vcc_lo, 0xc2ce8ed0, v8
	s_delay_alu instid0(VALU_DEP_3) | instskip(NEXT) | instid1(VALU_DEP_3)
	v_sub_f32_e32 v10, v12, v14
	v_exp_f32_e32 v9, v9
	s_waitcnt_depctr 0xfff
	v_ldexp_f32 v9, v9, v11
	v_cvt_i32_f32_e32 v11, v14
	s_delay_alu instid0(VALU_DEP_2) | instskip(SKIP_1) | instid1(VALU_DEP_2)
	v_cndmask_b32_e32 v9, 0, v9, vcc_lo
	v_cmp_nlt_f32_e32 vcc_lo, 0x42b17218, v8
	v_cndmask_b32_e32 v9, 0x7f800000, v9, vcc_lo
	v_cmp_ngt_f32_e32 vcc_lo, 0xc2ce8ed0, v0
	v_fmac_f32_e32 v13, 0x32a5705f, v0
	s_delay_alu instid0(VALU_DEP_1) | instskip(NEXT) | instid1(VALU_DEP_1)
	v_add_f32_e32 v10, v10, v13
	v_exp_f32_e32 v10, v10
	s_waitcnt_depctr 0xfff
	v_ldexp_f32 v10, v10, v11
	s_delay_alu instid0(VALU_DEP_1)
	v_dual_mov_b32 v11, v6 :: v_dual_cndmask_b32 v10, 0, v10
	v_cmp_le_f32_e32 vcc_lo, 0xc1a00000, v8
	s_waitcnt vmcnt(1)
	v_dual_cndmask_b32 v8, 0, v9 :: v_dual_mov_b32 v9, v5
	v_cmp_nlt_f32_e32 vcc_lo, 0x42b17218, v0
	v_cndmask_b32_e32 v5, 0x7f800000, v10, vcc_lo
	s_delay_alu instid0(VALU_DEP_3) | instskip(SKIP_2) | instid1(VALU_DEP_3)
	v_mul_f32_e32 v10, s11, v8
	v_cmp_le_f32_e32 vcc_lo, 0xc1a00000, v0
	v_mov_b32_e32 v0, v7
	v_mov_b32_e32 v6, v10
	s_waitcnt vmcnt(0)
	v_dual_cndmask_b32 v12, 0, v5 :: v_dual_mul_f32 v5, v4, v8
	s_delay_alu instid0(VALU_DEP_1) | instskip(NEXT) | instid1(VALU_DEP_2)
	v_dual_fmac_f32 v6, v11, v12 :: v_dual_add_nc_u32 v3, 0xfffff000, v3
	v_fmac_f32_e32 v5, v9, v12
	s_cbranch_scc0 .LBB7_3
	s_branch .LBB7_5
.LBB7_4:
	s_waitcnt lgkmcnt(0)
	v_mov_b32_e32 v6, s11
.LBB7_5:
	s_waitcnt vmcnt(0)
	s_delay_alu instid0(VALU_DEP_1) | instskip(NEXT) | instid1(VALU_DEP_1)
	v_div_scale_f32 v0, null, v6, v6, v5
	v_rcp_f32_e32 v3, v0
	s_waitcnt_depctr 0xfff
	v_fma_f32 v4, -v0, v3, 1.0
	s_delay_alu instid0(VALU_DEP_1) | instskip(SKIP_1) | instid1(VALU_DEP_1)
	v_fmac_f32_e32 v3, v4, v3
	v_div_scale_f32 v4, vcc_lo, v5, v6, v5
	v_mul_f32_e32 v7, v4, v3
	s_delay_alu instid0(VALU_DEP_1) | instskip(NEXT) | instid1(VALU_DEP_1)
	v_fma_f32 v8, -v0, v7, v4
	v_fmac_f32_e32 v7, v8, v3
	s_delay_alu instid0(VALU_DEP_1) | instskip(NEXT) | instid1(VALU_DEP_1)
	v_fma_f32 v0, -v0, v7, v4
	v_div_fmas_f32 v0, v0, v3, v7
	s_delay_alu instid0(VALU_DEP_1)
	v_div_fixup_f32 v0, v0, v6, v5
	global_store_b32 v[1:2], v0, off
.LBB7_6:
	s_nop 0
	s_sendmsg sendmsg(MSG_DEALLOC_VGPRS)
	s_endpgm
	.section	.rodata,"a",@progbits
	.p2align	6, 0x0
	.amdhsa_kernel _ZL33flash_attn_stream_k_fixup_uniformILi128ELi4ELi8EEvPfPK15HIP_vector_typeIfLj2EEiiiiiiS1_IjLj3EES5_S5_
		.amdhsa_group_segment_fixed_size 0
		.amdhsa_private_segment_fixed_size 0
		.amdhsa_kernarg_size 76
		.amdhsa_user_sgpr_count 13
		.amdhsa_user_sgpr_dispatch_ptr 0
		.amdhsa_user_sgpr_queue_ptr 0
		.amdhsa_user_sgpr_kernarg_segment_ptr 1
		.amdhsa_user_sgpr_dispatch_id 0
		.amdhsa_user_sgpr_private_segment_size 0
		.amdhsa_wavefront_size32 1
		.amdhsa_uses_dynamic_stack 0
		.amdhsa_enable_private_segment 0
		.amdhsa_system_sgpr_workgroup_id_x 1
		.amdhsa_system_sgpr_workgroup_id_y 1
		.amdhsa_system_sgpr_workgroup_id_z 1
		.amdhsa_system_sgpr_workgroup_info 0
		.amdhsa_system_vgpr_workitem_id 0
		.amdhsa_next_free_vgpr 15
		.amdhsa_next_free_sgpr 20
		.amdhsa_reserve_vcc 1
		.amdhsa_float_round_mode_32 0
		.amdhsa_float_round_mode_16_64 0
		.amdhsa_float_denorm_mode_32 3
		.amdhsa_float_denorm_mode_16_64 3
		.amdhsa_dx10_clamp 1
		.amdhsa_ieee_mode 1
		.amdhsa_fp16_overflow 0
		.amdhsa_workgroup_processor_mode 1
		.amdhsa_memory_ordered 1
		.amdhsa_forward_progress 0
		.amdhsa_shared_vgpr_count 0
		.amdhsa_exception_fp_ieee_invalid_op 0
		.amdhsa_exception_fp_denorm_src 0
		.amdhsa_exception_fp_ieee_div_zero 0
		.amdhsa_exception_fp_ieee_overflow 0
		.amdhsa_exception_fp_ieee_underflow 0
		.amdhsa_exception_fp_ieee_inexact 0
		.amdhsa_exception_int_div_zero 0
	.end_amdhsa_kernel
	.section	.text._ZL33flash_attn_stream_k_fixup_uniformILi128ELi4ELi8EEvPfPK15HIP_vector_typeIfLj2EEiiiiiiS1_IjLj3EES5_S5_,"axG",@progbits,_ZL33flash_attn_stream_k_fixup_uniformILi128ELi4ELi8EEvPfPK15HIP_vector_typeIfLj2EEiiiiiiS1_IjLj3EES5_S5_,comdat
.Lfunc_end7:
	.size	_ZL33flash_attn_stream_k_fixup_uniformILi128ELi4ELi8EEvPfPK15HIP_vector_typeIfLj2EEiiiiiiS1_IjLj3EES5_S5_, .Lfunc_end7-_ZL33flash_attn_stream_k_fixup_uniformILi128ELi4ELi8EEvPfPK15HIP_vector_typeIfLj2EEiiiiiiS1_IjLj3EES5_S5_
                                        ; -- End function
	.section	.AMDGPU.csdata,"",@progbits
; Kernel info:
; codeLenInByte = 996
; NumSgprs: 22
; NumVgprs: 15
; ScratchSize: 0
; MemoryBound: 0
; FloatMode: 240
; IeeeMode: 1
; LDSByteSize: 0 bytes/workgroup (compile time only)
; SGPRBlocks: 2
; VGPRBlocks: 1
; NumSGPRsForWavesPerEU: 22
; NumVGPRsForWavesPerEU: 15
; Occupancy: 16
; WaveLimiterHint : 0
; COMPUTE_PGM_RSRC2:SCRATCH_EN: 0
; COMPUTE_PGM_RSRC2:USER_SGPR: 13
; COMPUTE_PGM_RSRC2:TRAP_HANDLER: 0
; COMPUTE_PGM_RSRC2:TGID_X_EN: 1
; COMPUTE_PGM_RSRC2:TGID_Y_EN: 1
; COMPUTE_PGM_RSRC2:TGID_Z_EN: 1
; COMPUTE_PGM_RSRC2:TIDIG_COMP_CNT: 0
	.section	.text._ZL33flash_attn_stream_k_fixup_generalILi128ELi4ELi8EEvPfPK15HIP_vector_typeIfLj2EEiiiiS1_IjLj3EES5_S5_S5_,"axG",@progbits,_ZL33flash_attn_stream_k_fixup_generalILi128ELi4ELi8EEvPfPK15HIP_vector_typeIfLj2EEiiiiS1_IjLj3EES5_S5_S5_,comdat
	.globl	_ZL33flash_attn_stream_k_fixup_generalILi128ELi4ELi8EEvPfPK15HIP_vector_typeIfLj2EEiiiiS1_IjLj3EES5_S5_S5_ ; -- Begin function _ZL33flash_attn_stream_k_fixup_generalILi128ELi4ELi8EEvPfPK15HIP_vector_typeIfLj2EEiiiiS1_IjLj3EES5_S5_S5_
	.p2align	8
	.type	_ZL33flash_attn_stream_k_fixup_generalILi128ELi4ELi8EEvPfPK15HIP_vector_typeIfLj2EEiiiiS1_IjLj3EES5_S5_S5_,@function
_ZL33flash_attn_stream_k_fixup_generalILi128ELi4ELi8EEvPfPK15HIP_vector_typeIfLj2EEiiiiS1_IjLj3EES5_S5_S5_: ; @_ZL33flash_attn_stream_k_fixup_generalILi128ELi4ELi8EEvPfPK15HIP_vector_typeIfLj2EEiiiiS1_IjLj3EES5_S5_S5_
; %bb.0:
	s_clause 0x1
	s_load_b128 s[4:7], s[0:1], 0x10
	s_load_b32 s20, s[0:1], 0x50
	s_mov_b32 s2, 0
	s_waitcnt lgkmcnt(0)
	s_mul_hi_i32 s3, s7, s13
	s_mul_i32 s12, s7, s13
	s_cmp_lg_u64 s[2:3], 0
	s_cbranch_scc0 .LBB8_21
; %bb.1:
	v_cvt_f32_ubyte0_e32 v1, 0
	v_cvt_f32_u32_e32 v2, s20
	s_sub_u32 s10, 0, s20
	s_subb_u32 s11, 0, 0
	s_delay_alu instid0(VALU_DEP_1) | instskip(NEXT) | instid1(VALU_DEP_1)
	v_fmamk_f32 v1, v1, 0x4f800000, v2
	v_rcp_f32_e32 v1, v1
	s_waitcnt_depctr 0xfff
	v_mul_f32_e32 v1, 0x5f7ffffc, v1
	s_delay_alu instid0(VALU_DEP_1) | instskip(NEXT) | instid1(VALU_DEP_1)
	v_mul_f32_e32 v2, 0x2f800000, v1
	v_trunc_f32_e32 v2, v2
	s_delay_alu instid0(VALU_DEP_1) | instskip(SKIP_1) | instid1(VALU_DEP_2)
	v_fmamk_f32 v1, v2, 0xcf800000, v1
	v_cvt_u32_f32_e32 v2, v2
	v_cvt_u32_f32_e32 v1, v1
	s_delay_alu instid0(VALU_DEP_2) | instskip(NEXT) | instid1(VALU_DEP_2)
	v_readfirstlane_b32 s8, v2
	v_readfirstlane_b32 s9, v1
	s_delay_alu instid0(VALU_DEP_2) | instskip(NEXT) | instid1(VALU_DEP_1)
	s_mul_i32 s16, s10, s8
	s_mul_hi_u32 s18, s10, s9
	s_mul_i32 s17, s11, s9
	s_add_i32 s16, s18, s16
	s_mul_i32 s19, s10, s9
	s_add_i32 s16, s16, s17
	s_mul_hi_u32 s18, s9, s19
	s_mul_hi_u32 s21, s8, s19
	s_mul_i32 s17, s8, s19
	s_mul_hi_u32 s19, s9, s16
	s_mul_i32 s9, s9, s16
	s_mul_hi_u32 s22, s8, s16
	s_add_u32 s9, s18, s9
	s_addc_u32 s18, 0, s19
	s_add_u32 s9, s9, s17
	s_mul_i32 s16, s8, s16
	s_addc_u32 s9, s18, s21
	s_addc_u32 s17, s22, 0
	s_add_u32 s9, s9, s16
	s_addc_u32 s16, 0, s17
	v_add_co_u32 v1, s9, v1, s9
	s_delay_alu instid0(VALU_DEP_1) | instskip(SKIP_1) | instid1(VALU_DEP_1)
	s_cmp_lg_u32 s9, 0
	s_addc_u32 s8, s8, s16
	v_readfirstlane_b32 s9, v1
	s_mul_i32 s16, s10, s8
	s_delay_alu instid0(VALU_DEP_1)
	s_mul_hi_u32 s17, s10, s9
	s_mul_i32 s11, s11, s9
	s_add_i32 s16, s17, s16
	s_mul_i32 s10, s10, s9
	s_add_i32 s16, s16, s11
	s_mul_hi_u32 s17, s8, s10
	s_mul_i32 s18, s8, s10
	s_mul_hi_u32 s10, s9, s10
	s_mul_hi_u32 s19, s9, s16
	s_mul_i32 s9, s9, s16
	s_mul_hi_u32 s11, s8, s16
	s_add_u32 s9, s10, s9
	s_addc_u32 s10, 0, s19
	s_add_u32 s9, s9, s18
	s_mul_i32 s16, s8, s16
	s_addc_u32 s9, s10, s17
	s_addc_u32 s10, s11, 0
	s_add_u32 s9, s9, s16
	s_addc_u32 s10, 0, s10
	v_add_co_u32 v1, s9, v1, s9
	s_delay_alu instid0(VALU_DEP_1) | instskip(SKIP_2) | instid1(SALU_CYCLE_1)
	s_cmp_lg_u32 s9, 0
	s_addc_u32 s16, s8, s10
	s_ashr_i32 s8, s3, 31
	s_add_u32 s10, s12, s8
	s_addc_u32 s11, s3, s8
	v_readfirstlane_b32 s3, v1
	s_mov_b32 s9, s8
	s_delay_alu instid0(SALU_CYCLE_1) | instskip(NEXT) | instid1(SALU_CYCLE_1)
	s_xor_b64 s[10:11], s[10:11], s[8:9]
	s_mul_i32 s18, s10, s16
	s_delay_alu instid0(VALU_DEP_1)
	s_mul_hi_u32 s19, s10, s3
	s_mul_hi_u32 s17, s10, s16
	;; [unrolled: 1-line block ×3, first 2 shown]
	s_mul_i32 s3, s11, s3
	s_add_u32 s18, s19, s18
	s_addc_u32 s17, 0, s17
	s_mul_hi_u32 s21, s11, s16
	s_add_u32 s3, s18, s3
	s_mul_i32 s16, s11, s16
	s_addc_u32 s3, s17, s22
	s_addc_u32 s17, s21, 0
	s_add_u32 s3, s3, s16
	s_addc_u32 s16, 0, s17
	s_mul_i32 s18, s20, s3
	s_add_u32 s17, s3, 1
	v_sub_co_u32 v1, s10, s10, s18
	s_mul_hi_u32 s18, s20, s3
	s_addc_u32 s19, s16, 0
	s_mul_i32 s21, s20, s16
	s_delay_alu instid0(VALU_DEP_1)
	v_sub_co_u32 v2, s22, v1, s20
	s_add_u32 s23, s3, 2
	s_addc_u32 s24, s16, 0
	s_add_i32 s18, s18, s21
	s_cmp_lg_u32 s10, 0
	v_readfirstlane_b32 s10, v2
	s_subb_u32 s11, s11, s18
	s_cmp_lg_u32 s22, 0
	s_subb_u32 s18, s11, 0
	s_delay_alu instid0(VALU_DEP_1) | instskip(SKIP_4) | instid1(SALU_CYCLE_1)
	s_cmp_ge_u32 s10, s20
	s_cselect_b32 s10, -1, 0
	s_cmp_eq_u32 s18, 0
	v_readfirstlane_b32 s18, v1
	s_cselect_b32 s10, s10, -1
	s_cmp_lg_u32 s10, 0
	s_cselect_b32 s10, s23, s17
	s_cselect_b32 s17, s24, s19
	s_cmp_ge_u32 s18, s20
	s_cselect_b32 s18, -1, 0
	s_cmp_eq_u32 s11, 0
	s_cselect_b32 s11, s18, -1
	s_delay_alu instid0(SALU_CYCLE_1) | instskip(SKIP_2) | instid1(SALU_CYCLE_1)
	s_cmp_lg_u32 s11, 0
	s_cselect_b32 s11, s17, s16
	s_cselect_b32 s10, s10, s3
	s_xor_b64 s[10:11], s[10:11], s[8:9]
	s_delay_alu instid0(SALU_CYCLE_1)
	s_sub_u32 s16, s10, s8
	s_load_b128 s[8:11], s[0:1], 0x44
	s_and_not1_b32 vcc_lo, exec_lo, s2
	s_cbranch_vccnz .LBB8_3
.LBB8_2:
	v_cvt_f32_u32_e32 v1, s20
	s_sub_i32 s3, 0, s20
	s_delay_alu instid0(VALU_DEP_1) | instskip(SKIP_2) | instid1(VALU_DEP_1)
	v_rcp_iflag_f32_e32 v1, v1
	s_waitcnt_depctr 0xfff
	v_mul_f32_e32 v1, 0x4f7ffffe, v1
	v_cvt_u32_f32_e32 v1, v1
	s_delay_alu instid0(VALU_DEP_1) | instskip(NEXT) | instid1(VALU_DEP_1)
	v_readfirstlane_b32 s2, v1
	s_mul_i32 s3, s3, s2
	s_delay_alu instid0(SALU_CYCLE_1) | instskip(NEXT) | instid1(SALU_CYCLE_1)
	s_mul_hi_u32 s3, s2, s3
	s_add_i32 s2, s2, s3
	s_delay_alu instid0(SALU_CYCLE_1) | instskip(NEXT) | instid1(SALU_CYCLE_1)
	s_mul_hi_u32 s2, s12, s2
	s_mul_i32 s3, s2, s20
	s_waitcnt lgkmcnt(0)
	s_add_i32 s11, s2, 1
	s_sub_i32 s3, s12, s3
	s_delay_alu instid0(SALU_CYCLE_1)
	s_sub_i32 s12, s3, s20
	s_cmp_ge_u32 s3, s20
	s_cselect_b32 s2, s11, s2
	s_cselect_b32 s3, s12, s3
	s_add_i32 s11, s2, 1
	s_cmp_ge_u32 s3, s20
	s_cselect_b32 s16, s11, s2
.LBB8_3:
	s_waitcnt lgkmcnt(0)
	s_add_i32 s11, s13, 1
	s_mov_b32 s2, 0
	s_mul_hi_i32 s3, s7, s11
	s_mul_i32 s11, s7, s11
	s_cmp_lg_u64 s[2:3], 0
	s_cbranch_scc0 .LBB8_22
; %bb.4:
	v_cvt_f32_ubyte0_e32 v1, 0
	v_cvt_f32_u32_e32 v2, s20
	s_sub_u32 s18, 0, s20
	s_subb_u32 s19, 0, 0
	s_delay_alu instid0(VALU_DEP_1) | instskip(NEXT) | instid1(VALU_DEP_1)
	v_fmamk_f32 v1, v1, 0x4f800000, v2
	v_rcp_f32_e32 v1, v1
	s_waitcnt_depctr 0xfff
	v_mul_f32_e32 v1, 0x5f7ffffc, v1
	s_delay_alu instid0(VALU_DEP_1) | instskip(NEXT) | instid1(VALU_DEP_1)
	v_mul_f32_e32 v2, 0x2f800000, v1
	v_trunc_f32_e32 v2, v2
	s_delay_alu instid0(VALU_DEP_1) | instskip(SKIP_1) | instid1(VALU_DEP_2)
	v_fmamk_f32 v1, v2, 0xcf800000, v1
	v_cvt_u32_f32_e32 v2, v2
	v_cvt_u32_f32_e32 v1, v1
	s_delay_alu instid0(VALU_DEP_2) | instskip(NEXT) | instid1(VALU_DEP_2)
	v_readfirstlane_b32 s12, v2
	v_readfirstlane_b32 s17, v1
	s_delay_alu instid0(VALU_DEP_2) | instskip(NEXT) | instid1(VALU_DEP_1)
	s_mul_i32 s21, s18, s12
	s_mul_hi_u32 s23, s18, s17
	s_mul_i32 s22, s19, s17
	s_add_i32 s21, s23, s21
	s_mul_i32 s24, s18, s17
	s_add_i32 s21, s21, s22
	s_mul_hi_u32 s23, s17, s24
	s_mul_hi_u32 s25, s12, s24
	s_mul_i32 s22, s12, s24
	s_mul_hi_u32 s24, s17, s21
	s_mul_i32 s17, s17, s21
	s_mul_hi_u32 s26, s12, s21
	s_add_u32 s17, s23, s17
	s_addc_u32 s23, 0, s24
	s_add_u32 s17, s17, s22
	s_mul_i32 s21, s12, s21
	s_addc_u32 s17, s23, s25
	s_addc_u32 s22, s26, 0
	s_add_u32 s17, s17, s21
	s_addc_u32 s21, 0, s22
	v_add_co_u32 v1, s17, v1, s17
	s_delay_alu instid0(VALU_DEP_1) | instskip(SKIP_1) | instid1(VALU_DEP_1)
	s_cmp_lg_u32 s17, 0
	s_addc_u32 s12, s12, s21
	v_readfirstlane_b32 s17, v1
	s_mul_i32 s21, s18, s12
	s_delay_alu instid0(VALU_DEP_1)
	s_mul_hi_u32 s22, s18, s17
	s_mul_i32 s19, s19, s17
	s_add_i32 s21, s22, s21
	s_mul_i32 s18, s18, s17
	s_add_i32 s21, s21, s19
	s_mul_hi_u32 s22, s12, s18
	s_mul_i32 s23, s12, s18
	s_mul_hi_u32 s18, s17, s18
	s_mul_hi_u32 s24, s17, s21
	s_mul_i32 s17, s17, s21
	s_mul_hi_u32 s19, s12, s21
	s_add_u32 s17, s18, s17
	s_addc_u32 s18, 0, s24
	s_add_u32 s17, s17, s23
	s_mul_i32 s21, s12, s21
	s_addc_u32 s17, s18, s22
	s_addc_u32 s18, s19, 0
	s_add_u32 s17, s17, s21
	s_addc_u32 s18, 0, s18
	v_add_co_u32 v1, s17, v1, s17
	s_delay_alu instid0(VALU_DEP_1) | instskip(SKIP_2) | instid1(SALU_CYCLE_1)
	s_cmp_lg_u32 s17, 0
	s_addc_u32 s12, s12, s18
	s_ashr_i32 s18, s3, 31
	s_add_u32 s22, s11, s18
	s_addc_u32 s23, s3, s18
	v_readfirstlane_b32 s3, v1
	s_mov_b32 s19, s18
	s_delay_alu instid0(SALU_CYCLE_1) | instskip(NEXT) | instid1(SALU_CYCLE_1)
	s_xor_b64 s[22:23], s[22:23], s[18:19]
	s_mul_i32 s21, s22, s12
	s_delay_alu instid0(VALU_DEP_1)
	s_mul_hi_u32 s24, s22, s3
	s_mul_hi_u32 s17, s22, s12
	;; [unrolled: 1-line block ×3, first 2 shown]
	s_mul_i32 s3, s23, s3
	s_add_u32 s21, s24, s21
	s_addc_u32 s17, 0, s17
	s_mul_hi_u32 s25, s23, s12
	s_add_u32 s3, s21, s3
	s_mul_i32 s12, s23, s12
	s_addc_u32 s3, s17, s26
	s_addc_u32 s17, s25, 0
	s_add_u32 s3, s3, s12
	s_addc_u32 s12, 0, s17
	s_mul_i32 s21, s20, s3
	s_add_u32 s17, s3, 1
	v_sub_co_u32 v1, s21, s22, s21
	s_mul_hi_u32 s22, s20, s3
	s_addc_u32 s24, s12, 0
	s_mul_i32 s25, s20, s12
	s_delay_alu instid0(VALU_DEP_1)
	v_sub_co_u32 v2, s26, v1, s20
	s_add_u32 s27, s3, 2
	s_addc_u32 s28, s12, 0
	s_add_i32 s22, s22, s25
	s_cmp_lg_u32 s21, 0
	v_readfirstlane_b32 s21, v2
	s_subb_u32 s22, s23, s22
	s_cmp_lg_u32 s26, 0
	s_subb_u32 s23, s22, 0
	s_delay_alu instid0(VALU_DEP_1) | instskip(SKIP_4) | instid1(SALU_CYCLE_1)
	s_cmp_ge_u32 s21, s20
	s_cselect_b32 s21, -1, 0
	s_cmp_eq_u32 s23, 0
	v_readfirstlane_b32 s23, v1
	s_cselect_b32 s21, s21, -1
	s_cmp_lg_u32 s21, 0
	s_cselect_b32 s17, s27, s17
	s_cselect_b32 s21, s28, s24
	s_cmp_ge_u32 s23, s20
	s_cselect_b32 s23, -1, 0
	s_cmp_eq_u32 s22, 0
	s_cselect_b32 s22, s23, -1
	s_delay_alu instid0(SALU_CYCLE_1) | instskip(SKIP_2) | instid1(SALU_CYCLE_1)
	s_cmp_lg_u32 s22, 0
	s_cselect_b32 s23, s21, s12
	s_cselect_b32 s22, s17, s3
	s_xor_b64 s[22:23], s[22:23], s[18:19]
	s_delay_alu instid0(SALU_CYCLE_1)
	s_sub_u32 s18, s22, s18
	s_and_not1_b32 vcc_lo, exec_lo, s2
	s_cbranch_vccnz .LBB8_6
.LBB8_5:
	v_cvt_f32_u32_e32 v1, s20
	s_sub_i32 s3, 0, s20
	s_delay_alu instid0(VALU_DEP_1) | instskip(SKIP_2) | instid1(VALU_DEP_1)
	v_rcp_iflag_f32_e32 v1, v1
	s_waitcnt_depctr 0xfff
	v_mul_f32_e32 v1, 0x4f7ffffe, v1
	v_cvt_u32_f32_e32 v1, v1
	s_delay_alu instid0(VALU_DEP_1) | instskip(NEXT) | instid1(VALU_DEP_1)
	v_readfirstlane_b32 s2, v1
	s_mul_i32 s3, s3, s2
	s_delay_alu instid0(SALU_CYCLE_1) | instskip(NEXT) | instid1(SALU_CYCLE_1)
	s_mul_hi_u32 s3, s2, s3
	s_add_i32 s2, s2, s3
	s_delay_alu instid0(SALU_CYCLE_1) | instskip(NEXT) | instid1(SALU_CYCLE_1)
	s_mul_hi_u32 s2, s11, s2
	s_mul_i32 s3, s2, s20
	s_delay_alu instid0(SALU_CYCLE_1)
	s_sub_i32 s3, s11, s3
	s_add_i32 s11, s2, 1
	s_sub_i32 s12, s3, s20
	s_cmp_ge_u32 s3, s20
	s_cselect_b32 s2, s11, s2
	s_cselect_b32 s3, s12, s3
	s_add_i32 s11, s2, 1
	s_cmp_ge_u32 s3, s20
	s_cselect_b32 s18, s11, s2
.LBB8_6:
	s_delay_alu instid0(SALU_CYCLE_1) | instskip(SKIP_3) | instid1(SALU_CYCLE_1)
	s_cmp_eq_u32 s16, s18
	s_mul_hi_u32 s2, s16, s8
	s_cselect_b32 s3, -1, 0
	s_add_i32 s2, s2, s16
	s_lshr_b32 s11, s2, s9
	s_delay_alu instid0(SALU_CYCLE_1) | instskip(NEXT) | instid1(SALU_CYCLE_1)
	s_mul_i32 s2, s11, s10
	s_cmp_eq_u32 s2, s16
	s_mul_hi_u32 s2, s18, s8
	s_cselect_b32 s12, -1, 0
	s_add_i32 s2, s2, s18
	s_delay_alu instid0(SALU_CYCLE_1) | instskip(NEXT) | instid1(SALU_CYCLE_1)
	s_lshr_b32 s2, s2, s9
	s_cmp_eq_u32 s11, s2
	s_mul_i32 s2, s2, s10
	s_cselect_b32 s17, -1, 0
	s_cmp_lg_u32 s2, s18
	s_cselect_b32 s2, -1, 0
	s_or_b32 s3, s3, s12
	s_and_b32 s2, s17, s2
	s_delay_alu instid0(SALU_CYCLE_1) | instskip(NEXT) | instid1(SALU_CYCLE_1)
	s_or_b32 s2, s3, s2
	s_and_b32 vcc_lo, exec_lo, s2
	s_cbranch_vccnz .LBB8_24
; %bb.7:
	s_load_b256 s[24:31], s[0:1], 0x20
	s_waitcnt lgkmcnt(0)
	s_mul_hi_u32 s2, s16, s24
	s_delay_alu instid0(SALU_CYCLE_1) | instskip(NEXT) | instid1(SALU_CYCLE_1)
	s_add_i32 s2, s2, s16
	s_lshr_b32 s17, s2, s25
	s_load_b32 s2, s[0:1], 0x40
	s_mul_i32 s3, s17, s26
	s_delay_alu instid0(SALU_CYCLE_1) | instskip(NEXT) | instid1(SALU_CYCLE_1)
	s_sub_i32 s3, s16, s3
	s_mul_hi_u32 s12, s3, s27
	s_delay_alu instid0(SALU_CYCLE_1) | instskip(NEXT) | instid1(SALU_CYCLE_1)
	s_add_i32 s12, s3, s12
	s_lshr_b32 s21, s12, s28
	s_delay_alu instid0(SALU_CYCLE_1) | instskip(NEXT) | instid1(SALU_CYCLE_1)
	s_mul_i32 s12, s21, s29
	s_sub_i32 s3, s3, s12
	s_delay_alu instid0(SALU_CYCLE_1) | instskip(NEXT) | instid1(SALU_CYCLE_1)
	s_mul_hi_u32 s12, s3, s30
	s_add_i32 s12, s3, s12
	s_delay_alu instid0(SALU_CYCLE_1)
	s_lshr_b32 s12, s12, s31
	s_waitcnt lgkmcnt(0)
	s_mul_i32 s2, s12, s2
	s_lshl_b32 s23, s12, 3
	s_sub_i32 s2, s3, s2
	s_mov_b32 s12, 0
	s_mul_hi_u32 s3, s2, s8
	s_delay_alu instid0(SALU_CYCLE_1) | instskip(NEXT) | instid1(SALU_CYCLE_1)
	s_add_i32 s2, s2, s3
	s_lshr_b32 s22, s2, s9
	s_delay_alu instid0(SALU_CYCLE_1) | instskip(NEXT) | instid1(SALU_CYCLE_1)
	s_lshl_b32 s2, s22, 2
	s_add_i32 s2, s2, s14
	s_delay_alu instid0(SALU_CYCLE_1) | instskip(SKIP_2) | instid1(SALU_CYCLE_1)
	s_cmp_lt_i32 s2, s4
	s_cselect_b32 s2, -1, 0
	s_add_i32 s3, s23, s15
	s_cmp_lt_i32 s3, s6
	s_cselect_b32 s3, -1, 0
	s_delay_alu instid0(SALU_CYCLE_1) | instskip(NEXT) | instid1(SALU_CYCLE_1)
	s_and_b32 s2, s2, s3
	s_and_not1_b32 vcc_lo, exec_lo, s2
	s_cbranch_vccnz .LBB8_24
; %bb.8:
	s_load_b128 s[0:3], s[0:1], 0x0
	s_lshl_b32 s18, s20, 7
	s_mov_b32 s19, s12
	s_lshl_b32 s24, s14, 3
	s_lshl_b64 s[18:19], s[18:19], 2
	s_mul_i32 s4, s17, s4
	s_add_i32 s17, s24, s15
	s_mul_i32 s21, s21, s6
	v_cvt_f32_ubyte0_e32 v4, 0
	v_cvt_f32_u32_e32 v5, s20
	s_waitcnt lgkmcnt(0)
	s_add_u32 s18, s2, s18
	s_addc_u32 s19, s3, s19
	s_add_i32 s4, s4, s14
	s_delay_alu instid0(SALU_CYCLE_1) | instskip(SKIP_4) | instid1(SALU_CYCLE_1)
	s_mul_i32 s4, s4, s5
	s_mul_i32 s5, s5, s22
	s_add_i32 s4, s4, s15
	s_lshl_b32 s5, s5, 9
	s_add_i32 s4, s4, s21
	s_add_i32 s4, s4, s23
	s_delay_alu instid0(SALU_CYCLE_1) | instskip(NEXT) | instid1(SALU_CYCLE_1)
	s_lshl_b32 s4, s4, 7
	s_add_i32 s5, s5, s4
	s_delay_alu instid0(SALU_CYCLE_1) | instskip(SKIP_1) | instid1(VALU_DEP_2)
	v_or_b32_e32 v1, s5, v0
	v_lshl_or_b32 v0, s17, 7, v0
	v_ashrrev_i32_e32 v2, 31, v1
	s_delay_alu instid0(VALU_DEP_1) | instskip(NEXT) | instid1(VALU_DEP_1)
	v_lshlrev_b64 v[1:2], 2, v[1:2]
	v_add_co_u32 v1, vcc_lo, s0, v1
	s_delay_alu instid0(VALU_DEP_2) | instskip(SKIP_1) | instid1(SALU_CYCLE_1)
	v_add_co_ci_u32_e32 v2, vcc_lo, s1, v2, vcc_lo
	s_lshl_b32 s0, s13, 5
	s_add_i32 s0, s17, s0
	global_load_b32 v3, v[1:2], off
	s_ashr_i32 s1, s0, 31
	s_delay_alu instid0(SALU_CYCLE_1) | instskip(NEXT) | instid1(SALU_CYCLE_1)
	s_lshl_b64 s[0:1], s[0:1], 3
	s_add_u32 s0, s2, s0
	s_addc_u32 s1, s3, s1
	s_add_i32 s14, s13, -1
	s_load_b64 s[0:1], s[0:1], 0x0
	v_fmac_f32_e32 v5, 0x4f800000, v4
	s_sub_i32 s6, 0, s20
	s_waitcnt lgkmcnt(0)
	v_mov_b32_e32 v8, s0
	s_delay_alu instid0(VALU_DEP_2) | instskip(SKIP_2) | instid1(VALU_DEP_2)
	v_rcp_f32_e32 v4, v5
	v_cvt_f32_u32_e32 v5, s20
	v_mov_b32_e32 v7, s1
	v_rcp_iflag_f32_e32 v5, v5
	s_waitcnt_depctr 0xfff
	v_mul_f32_e32 v4, 0x5f7ffffc, v4
	s_delay_alu instid0(VALU_DEP_1) | instskip(SKIP_1) | instid1(VALU_DEP_2)
	v_mul_f32_e32 v6, 0x2f800000, v4
	v_mul_f32_e32 v9, 0x4f7ffffe, v5
	v_trunc_f32_e32 v6, v6
	s_delay_alu instid0(VALU_DEP_1) | instskip(SKIP_1) | instid1(VALU_DEP_4)
	v_fmac_f32_e32 v4, 0xcf800000, v6
	v_cvt_u32_f32_e32 v5, v6
	v_cvt_u32_f32_e32 v6, v9
	s_delay_alu instid0(VALU_DEP_3)
	v_cvt_u32_f32_e32 v4, v4
.LBB8_9:                                ; =>This Inner Loop Header: Depth=1
	s_mul_hi_i32 s13, s14, s7
	s_mul_i32 s4, s14, s7
	s_cmp_lg_u64 s[12:13], 0
	s_mov_b32 s5, -1
                                        ; implicit-def: $sgpr0_sgpr1
	s_cbranch_scc0 .LBB8_11
; %bb.10:                               ;   in Loop: Header=BB8_9 Depth=1
	v_readfirstlane_b32 s0, v4
	v_readfirstlane_b32 s1, v5
	s_sub_u32 s5, 0, s20
	s_subb_u32 s15, 0, 0
	s_delay_alu instid0(VALU_DEP_2) | instskip(NEXT) | instid1(VALU_DEP_1)
	s_mul_hi_u32 s21, s5, s0
	s_mul_i32 s22, s5, s1
	s_mul_i32 s23, s15, s0
	s_add_i32 s21, s21, s22
	s_mul_i32 s22, s5, s0
	s_add_i32 s21, s21, s23
	s_mul_hi_u32 s23, s0, s22
	s_mul_i32 s24, s0, s21
	s_mul_hi_u32 s0, s0, s21
	s_add_u32 s23, s23, s24
	s_mul_i32 s25, s1, s22
	s_addc_u32 s0, 0, s0
	s_mul_hi_u32 s22, s1, s22
	s_mul_hi_u32 s24, s1, s21
	s_add_u32 s23, s23, s25
	s_addc_u32 s0, s0, s22
	s_mul_i32 s21, s1, s21
	s_addc_u32 s22, s24, 0
	s_add_u32 s0, s0, s21
	s_addc_u32 s21, 0, s22
	v_add_co_u32 v9, s0, v4, s0
	s_delay_alu instid0(VALU_DEP_1) | instskip(SKIP_1) | instid1(VALU_DEP_1)
	s_cmp_lg_u32 s0, 0
	s_addc_u32 s1, s1, s21
	v_readfirstlane_b32 s0, v9
	s_mul_i32 s21, s5, s1
	s_delay_alu instid0(VALU_DEP_1)
	s_mul_hi_u32 s22, s5, s0
	s_mul_i32 s15, s15, s0
	s_add_i32 s21, s22, s21
	s_mul_i32 s5, s5, s0
	s_add_i32 s21, s21, s15
	s_mul_hi_u32 s15, s1, s5
	s_mul_i32 s23, s1, s5
	s_mul_i32 s24, s0, s21
	s_mul_hi_u32 s5, s0, s5
	s_mul_hi_u32 s0, s0, s21
	s_add_u32 s5, s5, s24
	s_addc_u32 s0, 0, s0
	s_mul_hi_u32 s22, s1, s21
	s_add_u32 s5, s5, s23
	s_addc_u32 s0, s0, s15
	s_mul_i32 s5, s1, s21
	s_addc_u32 s15, s22, 0
	s_add_u32 s0, s0, s5
	s_addc_u32 s5, 0, s15
	v_add_co_u32 v9, s0, v9, s0
	s_delay_alu instid0(VALU_DEP_1) | instskip(SKIP_2) | instid1(SALU_CYCLE_1)
	s_cmp_lg_u32 s0, 0
	s_addc_u32 s5, s1, s5
	s_ashr_i32 s0, s13, 31
	s_add_u32 s22, s4, s0
	s_addc_u32 s23, s13, s0
	v_readfirstlane_b32 s13, v9
	s_mov_b32 s1, s0
	s_delay_alu instid0(SALU_CYCLE_1) | instskip(NEXT) | instid1(SALU_CYCLE_1)
	s_xor_b64 s[22:23], s[22:23], s[0:1]
	s_mul_i32 s15, s22, s5
	s_delay_alu instid0(VALU_DEP_1)
	s_mul_hi_u32 s21, s22, s13
	s_mul_hi_u32 s24, s22, s5
	s_add_u32 s15, s21, s15
	s_mul_i32 s25, s23, s13
	s_addc_u32 s21, 0, s24
	s_mul_hi_u32 s13, s23, s13
	s_mul_hi_u32 s24, s23, s5
	s_add_u32 s15, s15, s25
	s_addc_u32 s13, s21, s13
	s_mul_i32 s5, s23, s5
	s_addc_u32 s15, s24, 0
	s_add_u32 s5, s13, s5
	s_addc_u32 s13, 0, s15
	s_mul_i32 s21, s20, s5
	s_add_u32 s15, s5, 1
	v_sub_co_u32 v9, s21, s22, s21
	s_addc_u32 s22, s13, 0
	s_mul_i32 s25, s20, s13
	s_mul_hi_u32 s27, s20, s5
	s_delay_alu instid0(VALU_DEP_1)
	v_sub_co_u32 v10, s26, v9, s20
	s_add_u32 s24, s5, 2
	s_addc_u32 s28, s13, 0
	s_add_i32 s27, s27, s25
	s_cmp_lg_u32 s21, 0
	v_readfirstlane_b32 s21, v10
	s_subb_u32 s23, s23, s27
	s_cmp_lg_u32 s26, 0
	s_subb_u32 s25, s23, 0
	s_delay_alu instid0(VALU_DEP_1) | instskip(SKIP_4) | instid1(SALU_CYCLE_1)
	s_cmp_ge_u32 s21, s20
	s_cselect_b32 s21, -1, 0
	s_cmp_eq_u32 s25, 0
	v_readfirstlane_b32 s25, v9
	s_cselect_b32 s21, s21, -1
	s_cmp_lg_u32 s21, 0
	s_cselect_b32 s15, s24, s15
	s_cselect_b32 s21, s28, s22
	s_cmp_ge_u32 s25, s20
	s_cselect_b32 s22, -1, 0
	s_cmp_eq_u32 s23, 0
	s_cselect_b32 s22, s22, -1
	s_delay_alu instid0(SALU_CYCLE_1) | instskip(SKIP_4) | instid1(SALU_CYCLE_1)
	s_cmp_lg_u32 s22, 0
	s_cselect_b32 s23, s21, s13
	s_cselect_b32 s22, s15, s5
	s_mov_b32 s5, 0
	s_xor_b64 s[22:23], s[22:23], s[0:1]
	s_sub_u32 s0, s22, s0
.LBB8_11:                               ;   in Loop: Header=BB8_9 Depth=1
	s_and_not1_b32 vcc_lo, exec_lo, s5
	s_cbranch_vccnz .LBB8_13
; %bb.12:                               ;   in Loop: Header=BB8_9 Depth=1
	v_readfirstlane_b32 s0, v6
	s_delay_alu instid0(VALU_DEP_1) | instskip(NEXT) | instid1(SALU_CYCLE_1)
	s_mul_i32 s1, s6, s0
	s_mul_hi_u32 s1, s0, s1
	s_delay_alu instid0(SALU_CYCLE_1) | instskip(NEXT) | instid1(SALU_CYCLE_1)
	s_add_i32 s0, s0, s1
	s_mul_hi_u32 s0, s4, s0
	s_delay_alu instid0(SALU_CYCLE_1) | instskip(NEXT) | instid1(SALU_CYCLE_1)
	s_mul_i32 s1, s0, s20
	s_sub_i32 s1, s4, s1
	s_add_i32 s4, s0, 1
	s_sub_i32 s5, s1, s20
	s_cmp_ge_u32 s1, s20
	s_cselect_b32 s0, s4, s0
	s_cselect_b32 s1, s5, s1
	s_add_i32 s4, s0, 1
	s_cmp_ge_u32 s1, s20
	s_cselect_b32 s0, s4, s0
.LBB8_13:                               ;   in Loop: Header=BB8_9 Depth=1
	s_delay_alu instid0(SALU_CYCLE_1)
	s_cmp_lg_u32 s16, s0
	s_cbranch_scc0 .LBB8_17
; %bb.14:                               ;   in Loop: Header=BB8_9 Depth=1
	s_add_i32 s1, s14, s20
	s_mov_b32 s5, s12
	s_lshl_b32 s1, s1, 5
	s_mov_b32 s15, s16
	s_add_i32 s4, s1, s17
	s_mul_hi_u32 s1, s0, s8
	s_lshl_b64 s[4:5], s[4:5], 3
	s_delay_alu instid0(SALU_CYCLE_1) | instskip(SKIP_2) | instid1(SALU_CYCLE_1)
	s_add_u32 s4, s2, s4
	s_addc_u32 s5, s3, s5
	s_add_i32 s1, s1, s0
	s_lshr_b32 s1, s1, s9
	s_delay_alu instid0(SALU_CYCLE_1) | instskip(NEXT) | instid1(SALU_CYCLE_1)
	s_mul_i32 s13, s1, s10
	s_cmp_eq_u32 s13, s0
	s_cselect_b32 s13, -1, 0
	s_cmp_lt_u32 s1, s11
	s_cselect_b32 s1, -1, 0
	s_delay_alu instid0(SALU_CYCLE_1)
	s_or_b32 s1, s1, s13
	s_mov_b32 s13, -1
	s_and_b32 vcc_lo, exec_lo, s1
	s_mov_b32 s1, s14
	s_cbranch_vccnz .LBB8_16
; %bb.15:                               ;   in Loop: Header=BB8_9 Depth=1
	s_add_i32 s1, s14, -1
	s_mov_b32 s13, 0
	s_mov_b32 s15, s0
.LBB8_16:                               ;   in Loop: Header=BB8_9 Depth=1
	v_lshl_add_u32 v9, s14, 12, v0
	s_load_b64 s[4:5], s[4:5], 0x0
	s_delay_alu instid0(VALU_DEP_1) | instskip(NEXT) | instid1(VALU_DEP_1)
	v_ashrrev_i32_e32 v10, 31, v9
	v_lshlrev_b64 v[9:10], 2, v[9:10]
	s_delay_alu instid0(VALU_DEP_1) | instskip(NEXT) | instid1(VALU_DEP_2)
	v_add_co_u32 v9, vcc_lo, s18, v9
	v_add_co_ci_u32_e32 v10, vcc_lo, s19, v10, vcc_lo
	s_waitcnt lgkmcnt(0)
	v_max_f32_e64 v11, s4, s4
	global_load_b32 v10, v[9:10], off
	v_max_f32_e32 v9, v8, v8
	s_delay_alu instid0(VALU_DEP_1) | instskip(NEXT) | instid1(VALU_DEP_1)
	v_max_f32_e32 v9, v9, v11
	v_sub_f32_e32 v12, v8, v9
	s_delay_alu instid0(VALU_DEP_1) | instskip(NEXT) | instid1(VALU_DEP_1)
	v_dual_mul_f32 v14, 0x3fb8aa3b, v12 :: v_dual_sub_f32 v11, s4, v9
	v_rndne_f32_e32 v18, v14
	s_delay_alu instid0(VALU_DEP_2) | instskip(SKIP_2) | instid1(VALU_DEP_4)
	v_mul_f32_e32 v13, 0x3fb8aa3b, v11
	v_fma_f32 v17, 0x3fb8aa3b, v12, -v14
	v_cmp_ngt_f32_e32 vcc_lo, 0xc2ce8ed0, v11
	v_sub_f32_e32 v14, v14, v18
	s_delay_alu instid0(VALU_DEP_4) | instskip(SKIP_2) | instid1(VALU_DEP_3)
	v_fma_f32 v15, 0x3fb8aa3b, v11, -v13
	v_rndne_f32_e32 v16, v13
	v_fmac_f32_e32 v17, 0x32a5705f, v12
	v_fmac_f32_e32 v15, 0x32a5705f, v11
	s_delay_alu instid0(VALU_DEP_2) | instskip(NEXT) | instid1(VALU_DEP_1)
	v_dual_sub_f32 v13, v13, v16 :: v_dual_add_f32 v14, v14, v17
	v_add_f32_e32 v13, v13, v15
	s_delay_alu instid0(VALU_DEP_2) | instskip(SKIP_2) | instid1(VALU_DEP_3)
	v_exp_f32_e32 v14, v14
	v_cvt_i32_f32_e32 v15, v16
	v_cvt_i32_f32_e32 v16, v18
	v_exp_f32_e32 v13, v13
	s_waitcnt_depctr 0xfff
	v_ldexp_f32 v14, v14, v16
	v_ldexp_f32 v13, v13, v15
	s_delay_alu instid0(VALU_DEP_1) | instskip(SKIP_1) | instid1(VALU_DEP_4)
	v_cndmask_b32_e32 v13, 0, v13, vcc_lo
	v_cmp_ngt_f32_e32 vcc_lo, 0xc2ce8ed0, v12
	v_cndmask_b32_e32 v14, 0, v14, vcc_lo
	v_cmp_nlt_f32_e32 vcc_lo, 0x42b17218, v11
	s_delay_alu instid0(VALU_DEP_4) | instskip(SKIP_1) | instid1(VALU_DEP_4)
	v_cndmask_b32_e32 v13, 0x7f800000, v13, vcc_lo
	v_cmp_nlt_f32_e32 vcc_lo, 0x42b17218, v12
	v_cndmask_b32_e32 v14, 0x7f800000, v14, vcc_lo
	v_cmp_le_f32_e32 vcc_lo, 0xc1a00000, v11
	s_delay_alu instid0(VALU_DEP_4) | instskip(SKIP_1) | instid1(VALU_DEP_4)
	v_cndmask_b32_e32 v11, 0, v13, vcc_lo
	v_cmp_le_f32_e32 vcc_lo, 0xc1a00000, v12
	v_cndmask_b32_e32 v12, 0, v14, vcc_lo
	s_waitcnt vmcnt(0)
	s_delay_alu instid0(VALU_DEP_3) | instskip(NEXT) | instid1(VALU_DEP_1)
	v_mul_f32_e32 v10, v10, v11
	v_dual_mul_f32 v11, s5, v11 :: v_dual_fmac_f32 v10, v3, v12
	s_delay_alu instid0(VALU_DEP_1)
	v_fmac_f32_e32 v11, v7, v12
	s_cbranch_execz .LBB8_18
	s_branch .LBB8_19
.LBB8_17:                               ;   in Loop: Header=BB8_9 Depth=1
                                        ; implicit-def: $sgpr13
                                        ; implicit-def: $vgpr10
                                        ; implicit-def: $vgpr9
                                        ; implicit-def: $vgpr11
                                        ; implicit-def: $sgpr1
                                        ; implicit-def: $sgpr15
.LBB8_18:                               ;   in Loop: Header=BB8_9 Depth=1
	v_mov_b32_e32 v11, v7
	s_waitcnt vmcnt(0)
	v_dual_mov_b32 v9, v8 :: v_dual_mov_b32 v10, v3
	s_add_i32 s1, s14, -1
	s_mov_b32 s13, 0
	s_mov_b32 s15, s16
.LBB8_19:                               ;   in Loop: Header=BB8_9 Depth=1
	s_and_not1_b32 vcc_lo, exec_lo, s13
	s_cbranch_vccz .LBB8_23
; %bb.20:                               ;   in Loop: Header=BB8_9 Depth=1
	v_dual_mov_b32 v7, v11 :: v_dual_mov_b32 v8, v9
	s_waitcnt vmcnt(0)
	v_mov_b32_e32 v3, v10
	s_mov_b32 s16, s15
	s_mov_b32 s14, s1
	s_branch .LBB8_9
.LBB8_21:
                                        ; implicit-def: $sgpr16_sgpr17
	s_load_b128 s[8:11], s[0:1], 0x44
	s_branch .LBB8_2
.LBB8_22:
                                        ; implicit-def: $sgpr18_sgpr19
	s_branch .LBB8_5
.LBB8_23:
	v_div_scale_f32 v0, null, v11, v11, v10
	s_waitcnt vmcnt(0)
	s_delay_alu instid0(VALU_DEP_1) | instskip(SKIP_2) | instid1(VALU_DEP_1)
	v_rcp_f32_e32 v3, v0
	s_waitcnt_depctr 0xfff
	v_fma_f32 v4, -v0, v3, 1.0
	v_fmac_f32_e32 v3, v4, v3
	v_div_scale_f32 v4, vcc_lo, v10, v11, v10
	s_delay_alu instid0(VALU_DEP_1) | instskip(NEXT) | instid1(VALU_DEP_1)
	v_mul_f32_e32 v5, v4, v3
	v_fma_f32 v6, -v0, v5, v4
	s_delay_alu instid0(VALU_DEP_1) | instskip(NEXT) | instid1(VALU_DEP_1)
	v_fmac_f32_e32 v5, v6, v3
	v_fma_f32 v0, -v0, v5, v4
	s_delay_alu instid0(VALU_DEP_1) | instskip(NEXT) | instid1(VALU_DEP_1)
	v_div_fmas_f32 v0, v0, v3, v5
	v_div_fixup_f32 v0, v0, v11, v10
	global_store_b32 v[1:2], v0, off
.LBB8_24:
	s_nop 0
	s_sendmsg sendmsg(MSG_DEALLOC_VGPRS)
	s_endpgm
	.section	.rodata,"a",@progbits
	.p2align	6, 0x0
	.amdhsa_kernel _ZL33flash_attn_stream_k_fixup_generalILi128ELi4ELi8EEvPfPK15HIP_vector_typeIfLj2EEiiiiS1_IjLj3EES5_S5_S5_
		.amdhsa_group_segment_fixed_size 0
		.amdhsa_private_segment_fixed_size 0
		.amdhsa_kernarg_size 336
		.amdhsa_user_sgpr_count 13
		.amdhsa_user_sgpr_dispatch_ptr 0
		.amdhsa_user_sgpr_queue_ptr 0
		.amdhsa_user_sgpr_kernarg_segment_ptr 1
		.amdhsa_user_sgpr_dispatch_id 0
		.amdhsa_user_sgpr_private_segment_size 0
		.amdhsa_wavefront_size32 1
		.amdhsa_uses_dynamic_stack 0
		.amdhsa_enable_private_segment 0
		.amdhsa_system_sgpr_workgroup_id_x 1
		.amdhsa_system_sgpr_workgroup_id_y 1
		.amdhsa_system_sgpr_workgroup_id_z 1
		.amdhsa_system_sgpr_workgroup_info 0
		.amdhsa_system_vgpr_workitem_id 0
		.amdhsa_next_free_vgpr 19
		.amdhsa_next_free_sgpr 32
		.amdhsa_reserve_vcc 1
		.amdhsa_float_round_mode_32 0
		.amdhsa_float_round_mode_16_64 0
		.amdhsa_float_denorm_mode_32 3
		.amdhsa_float_denorm_mode_16_64 3
		.amdhsa_dx10_clamp 1
		.amdhsa_ieee_mode 1
		.amdhsa_fp16_overflow 0
		.amdhsa_workgroup_processor_mode 1
		.amdhsa_memory_ordered 1
		.amdhsa_forward_progress 0
		.amdhsa_shared_vgpr_count 0
		.amdhsa_exception_fp_ieee_invalid_op 0
		.amdhsa_exception_fp_denorm_src 0
		.amdhsa_exception_fp_ieee_div_zero 0
		.amdhsa_exception_fp_ieee_overflow 0
		.amdhsa_exception_fp_ieee_underflow 0
		.amdhsa_exception_fp_ieee_inexact 0
		.amdhsa_exception_int_div_zero 0
	.end_amdhsa_kernel
	.section	.text._ZL33flash_attn_stream_k_fixup_generalILi128ELi4ELi8EEvPfPK15HIP_vector_typeIfLj2EEiiiiS1_IjLj3EES5_S5_S5_,"axG",@progbits,_ZL33flash_attn_stream_k_fixup_generalILi128ELi4ELi8EEvPfPK15HIP_vector_typeIfLj2EEiiiiS1_IjLj3EES5_S5_S5_,comdat
.Lfunc_end8:
	.size	_ZL33flash_attn_stream_k_fixup_generalILi128ELi4ELi8EEvPfPK15HIP_vector_typeIfLj2EEiiiiS1_IjLj3EES5_S5_S5_, .Lfunc_end8-_ZL33flash_attn_stream_k_fixup_generalILi128ELi4ELi8EEvPfPK15HIP_vector_typeIfLj2EEiiiiS1_IjLj3EES5_S5_S5_
                                        ; -- End function
	.section	.AMDGPU.csdata,"",@progbits
; Kernel info:
; codeLenInByte = 3224
; NumSgprs: 34
; NumVgprs: 19
; ScratchSize: 0
; MemoryBound: 0
; FloatMode: 240
; IeeeMode: 1
; LDSByteSize: 0 bytes/workgroup (compile time only)
; SGPRBlocks: 4
; VGPRBlocks: 2
; NumSGPRsForWavesPerEU: 34
; NumVGPRsForWavesPerEU: 19
; Occupancy: 16
; WaveLimiterHint : 0
; COMPUTE_PGM_RSRC2:SCRATCH_EN: 0
; COMPUTE_PGM_RSRC2:USER_SGPR: 13
; COMPUTE_PGM_RSRC2:TRAP_HANDLER: 0
; COMPUTE_PGM_RSRC2:TGID_X_EN: 1
; COMPUTE_PGM_RSRC2:TGID_Y_EN: 1
; COMPUTE_PGM_RSRC2:TGID_Z_EN: 1
; COMPUTE_PGM_RSRC2:TIDIG_COMP_CNT: 0
	.section	.text._ZL15flash_attn_tileILi128ELi128ELi2ELi8ELb0EEvPKcS1_S1_S1_S1_PKiPfP15HIP_vector_typeIfLj2EEffffjfiS5_IjLj3EEiiiiiiiiiiiliiliiiiil,"axG",@progbits,_ZL15flash_attn_tileILi128ELi128ELi2ELi8ELb0EEvPKcS1_S1_S1_S1_PKiPfP15HIP_vector_typeIfLj2EEffffjfiS5_IjLj3EEiiiiiiiiiiiliiliiiiil,comdat
	.globl	_ZL15flash_attn_tileILi128ELi128ELi2ELi8ELb0EEvPKcS1_S1_S1_S1_PKiPfP15HIP_vector_typeIfLj2EEffffjfiS5_IjLj3EEiiiiiiiiiiiliiliiiiil ; -- Begin function _ZL15flash_attn_tileILi128ELi128ELi2ELi8ELb0EEvPKcS1_S1_S1_S1_PKiPfP15HIP_vector_typeIfLj2EEffffjfiS5_IjLj3EEiiiiiiiiiiiliiliiiiil
	.p2align	8
	.type	_ZL15flash_attn_tileILi128ELi128ELi2ELi8ELb0EEvPKcS1_S1_S1_S1_PKiPfP15HIP_vector_typeIfLj2EEffffjfiS5_IjLj3EEiiiiiiiiiiiliiliiiiil,@function
_ZL15flash_attn_tileILi128ELi128ELi2ELi8ELb0EEvPKcS1_S1_S1_S1_PKiPfP15HIP_vector_typeIfLj2EEffffjfiS5_IjLj3EEiiiiiiiiiiiliiliiiiil: ; @_ZL15flash_attn_tileILi128ELi128ELi2ELi8ELb0EEvPKcS1_S1_S1_S1_PKiPfP15HIP_vector_typeIfLj2EEffffjfiS5_IjLj3EEiiiiiiiiiiiliiliiiiil
; %bb.0:
	s_clause 0x1
	s_load_b128 s[36:39], s[0:1], 0x5c
	s_load_b64 s[34:35], s[0:1], 0x80
	s_mov_b64 s[40:41], 0
	s_waitcnt lgkmcnt(0)
	s_ashr_i32 s2, s39, 31
	s_delay_alu instid0(SALU_CYCLE_1) | instskip(NEXT) | instid1(SALU_CYCLE_1)
	s_lshr_b32 s2, s2, 29
	s_add_i32 s2, s39, s2
	s_delay_alu instid0(SALU_CYCLE_1) | instskip(NEXT) | instid1(SALU_CYCLE_1)
	s_ashr_i32 s2, s2, 3
	v_cvt_f32_u32_e32 v1, s2
	s_sub_i32 s4, 0, s2
	s_delay_alu instid0(VALU_DEP_1) | instskip(SKIP_2) | instid1(VALU_DEP_1)
	v_rcp_iflag_f32_e32 v1, v1
	s_waitcnt_depctr 0xfff
	v_mul_f32_e32 v1, 0x4f7ffffe, v1
	v_cvt_u32_f32_e32 v1, v1
	s_delay_alu instid0(VALU_DEP_1) | instskip(NEXT) | instid1(VALU_DEP_1)
	v_readfirstlane_b32 s3, v1
	s_mul_i32 s4, s4, s3
	s_delay_alu instid0(SALU_CYCLE_1) | instskip(NEXT) | instid1(SALU_CYCLE_1)
	s_mul_hi_u32 s4, s3, s4
	s_add_i32 s3, s3, s4
	s_delay_alu instid0(SALU_CYCLE_1) | instskip(NEXT) | instid1(SALU_CYCLE_1)
	s_mul_hi_u32 s3, s15, s3
	s_mul_i32 s4, s3, s2
	s_add_i32 s5, s3, 1
	s_sub_i32 s4, s15, s4
	s_delay_alu instid0(SALU_CYCLE_1)
	s_sub_i32 s6, s4, s2
	s_cmp_ge_u32 s4, s2
	s_cselect_b32 s3, s5, s3
	s_cselect_b32 s4, s6, s4
	s_add_i32 s5, s3, 1
	s_cmp_ge_u32 s4, s2
	s_cselect_b32 s11, s5, s3
	s_abs_i32 s2, s35
	s_abs_i32 s7, s39
	v_cvt_f32_u32_e32 v1, s2
	s_sub_i32 s4, 0, s2
	s_lshl_b32 s5, s15, 3
	s_mul_i32 s6, s11, s39
	s_delay_alu instid0(VALU_DEP_1) | instskip(SKIP_3) | instid1(VALU_DEP_1)
	v_rcp_iflag_f32_e32 v1, v1
	s_sub_i32 s15, s5, s6
	s_waitcnt_depctr 0xfff
	v_mul_f32_e32 v1, 0x4f7ffffe, v1
	v_cvt_u32_f32_e32 v1, v1
	s_delay_alu instid0(VALU_DEP_1) | instskip(NEXT) | instid1(VALU_DEP_1)
	v_readfirstlane_b32 s3, v1
	s_mul_i32 s4, s4, s3
	s_delay_alu instid0(SALU_CYCLE_1) | instskip(NEXT) | instid1(SALU_CYCLE_1)
	s_mul_hi_u32 s4, s3, s4
	s_add_i32 s3, s3, s4
	s_xor_b32 s4, s39, s35
	s_mul_hi_u32 s3, s7, s3
	s_ashr_i32 s4, s4, 31
	s_mul_i32 s5, s3, s2
	s_add_i32 s6, s3, 1
	s_sub_i32 s5, s7, s5
	s_delay_alu instid0(SALU_CYCLE_1)
	s_sub_i32 s7, s5, s2
	s_cmp_ge_u32 s5, s2
	s_cselect_b32 s3, s6, s3
	s_cselect_b32 s5, s7, s5
	s_add_i32 s6, s3, 1
	s_cmp_ge_u32 s5, s2
	s_cselect_b32 s2, s6, s3
	s_delay_alu instid0(SALU_CYCLE_1) | instskip(NEXT) | instid1(SALU_CYCLE_1)
	s_xor_b32 s2, s2, s4
	s_sub_i32 s9, s2, s4
	s_clause 0x1
	s_load_b512 s[16:31], s[0:1], 0x0
	s_load_b64 s[2:3], s[0:1], 0xb8
	s_abs_i32 s8, s9
	s_delay_alu instid0(SALU_CYCLE_1) | instskip(NEXT) | instid1(VALU_DEP_1)
	v_cvt_f32_u32_e32 v1, s8
	v_rcp_iflag_f32_e32 v1, v1
	s_waitcnt_depctr 0xfff
	v_mul_f32_e32 v1, 0x4f7ffffe, v1
	s_waitcnt lgkmcnt(0)
	s_cmp_eq_u64 s[22:23], 0
	s_delay_alu instid0(VALU_DEP_1) | instskip(NEXT) | instid1(VALU_DEP_1)
	v_cvt_u32_f32_e32 v1, v1
	v_readfirstlane_b32 s10, v1
	s_cbranch_scc1 .LBB9_2
; %bb.1:
	s_abs_i32 s2, s2
	s_abs_i32 s6, s11
	v_cvt_f32_u32_e32 v1, s2
	s_sub_i32 s5, 0, s2
	s_delay_alu instid0(VALU_DEP_1) | instskip(SKIP_2) | instid1(VALU_DEP_1)
	v_rcp_iflag_f32_e32 v1, v1
	s_waitcnt_depctr 0xfff
	v_mul_f32_e32 v1, 0x4f7ffffe, v1
	v_cvt_u32_f32_e32 v1, v1
	s_delay_alu instid0(VALU_DEP_1) | instskip(NEXT) | instid1(VALU_DEP_1)
	v_readfirstlane_b32 s4, v1
	s_mul_i32 s5, s5, s4
	s_delay_alu instid0(SALU_CYCLE_1) | instskip(NEXT) | instid1(SALU_CYCLE_1)
	s_mul_hi_u32 s5, s4, s5
	s_add_i32 s7, s4, s5
	s_load_b64 s[4:5], s[0:1], 0xc8
	s_mul_hi_u32 s7, s6, s7
	s_delay_alu instid0(SALU_CYCLE_1) | instskip(NEXT) | instid1(SALU_CYCLE_1)
	s_mul_i32 s7, s7, s2
	s_sub_i32 s6, s6, s7
	s_ashr_i32 s7, s11, 31
	s_sub_i32 s12, s6, s2
	s_cmp_ge_u32 s6, s2
	s_cselect_b32 s6, s12, s6
	s_delay_alu instid0(SALU_CYCLE_1) | instskip(SKIP_2) | instid1(SALU_CYCLE_1)
	s_sub_i32 s12, s6, s2
	s_cmp_ge_u32 s6, s2
	s_cselect_b32 s2, s12, s6
	s_xor_b32 s2, s2, s7
	s_delay_alu instid0(SALU_CYCLE_1)
	s_sub_i32 s2, s2, s7
	s_waitcnt lgkmcnt(0)
	s_mul_i32 s5, s2, s5
	s_mul_hi_u32 s6, s2, s4
	s_ashr_i32 s7, s2, 31
	s_add_i32 s5, s6, s5
	s_mul_i32 s7, s7, s4
	s_mul_i32 s2, s2, s4
	s_add_i32 s5, s5, s7
	s_add_u32 s40, s22, s2
	s_addc_u32 s41, s23, s5
.LBB9_2:
	v_bfe_u32 v2, v0, 10, 10
	s_load_b128 s[4:7], s[0:1], 0x70
	v_and_b32_e32 v33, 0x3ff, v0
	s_delay_alu instid0(VALU_DEP_2) | instskip(SKIP_1) | instid1(VALU_DEP_3)
	v_lshrrev_b32_e32 v1, 2, v2
	v_lshlrev_b32_e32 v3, 1, v2
	v_lshlrev_b32_e32 v0, 4, v33
	s_delay_alu instid0(VALU_DEP_3) | instskip(NEXT) | instid1(VALU_DEP_3)
	v_lshl_add_u32 v32, s13, 1, v1
	v_and_b32_e32 v71, 6, v3
	v_or_b32_e32 v13, 1, v3
	s_delay_alu instid0(VALU_DEP_3) | instskip(NEXT) | instid1(VALU_DEP_2)
	v_mul_hi_u32 v1, s36, v32
	v_lshlrev_b32_e32 v17, 6, v13
	s_waitcnt lgkmcnt(0)
	s_mul_i32 s2, s11, s6
	s_mul_i32 s6, s15, s5
	s_delay_alu instid0(VALU_DEP_2)
	v_add_nc_u32_e32 v1, v32, v1
	s_ashr_i32 s7, s2, 31
	s_add_u32 s2, s16, s2
	s_addc_u32 s7, s17, s7
	s_ashr_i32 s12, s6, 31
	v_lshrrev_b32_e32 v1, s37, v1
	s_add_u32 s2, s2, s6
	s_addc_u32 s6, s7, s12
	s_ashr_i32 s7, s4, 31
	s_delay_alu instid0(VALU_DEP_1) | instskip(SKIP_2) | instid1(SALU_CYCLE_1)
	v_mul_lo_u32 v1, v1, s38
	v_alignbit_b32 v6, s7, s4, 2
	s_ashr_i32 s4, s5, 31
	v_alignbit_b32 v10, s4, s5, 2
	s_lshr_b32 s5, s7, 2
	s_lshr_b32 s4, s4, 2
	s_cmp_eq_u64 s[26:27], 0
	s_delay_alu instid0(VALU_DEP_3) | instskip(NEXT) | instid1(VALU_DEP_1)
	v_sub_nc_u32_e32 v1, v32, v1
	v_mad_u64_u32 v[4:5], null, v6, v1, 0
	v_mad_u64_u32 v[6:7], null, v10, v71, 0
	v_and_b32_e32 v14, 7, v13
	s_delay_alu instid0(VALU_DEP_1) | instskip(NEXT) | instid1(VALU_DEP_3)
	v_mad_u64_u32 v[8:9], null, v10, v14, 0
	v_mad_u64_u32 v[10:11], null, s5, v1, v[5:6]
	s_delay_alu instid0(VALU_DEP_4) | instskip(NEXT) | instid1(VALU_DEP_3)
	v_mov_b32_e32 v5, v7
	v_mov_b32_e32 v7, v9
	s_delay_alu instid0(VALU_DEP_2) | instskip(NEXT) | instid1(VALU_DEP_4)
	v_mad_u64_u32 v[11:12], null, s4, v71, v[5:6]
	v_dual_mov_b32 v5, v10 :: v_dual_lshlrev_b32 v12, 7, v2
	s_delay_alu instid0(VALU_DEP_3) | instskip(NEXT) | instid1(VALU_DEP_2)
	v_mad_u64_u32 v[9:10], null, s4, v14, v[7:8]
	v_lshlrev_b64 v[4:5], 2, v[4:5]
	s_delay_alu instid0(VALU_DEP_4) | instskip(NEXT) | instid1(VALU_DEP_2)
	v_mov_b32_e32 v7, v11
	v_add_co_u32 v10, vcc_lo, s2, v4
	s_delay_alu instid0(VALU_DEP_3) | instskip(NEXT) | instid1(VALU_DEP_3)
	v_add_co_ci_u32_e32 v11, vcc_lo, s6, v5, vcc_lo
	v_lshlrev_b64 v[4:5], 2, v[6:7]
	s_delay_alu instid0(VALU_DEP_3) | instskip(NEXT) | instid1(VALU_DEP_3)
	v_add_co_u32 v0, vcc_lo, v10, v0
	v_add_co_ci_u32_e32 v10, vcc_lo, 0, v11, vcc_lo
	v_lshlrev_b64 v[6:7], 2, v[8:9]
	s_delay_alu instid0(VALU_DEP_3) | instskip(NEXT) | instid1(VALU_DEP_3)
	v_add_co_u32 v4, vcc_lo, v0, v4
	v_add_co_ci_u32_e32 v5, vcc_lo, v10, v5, vcc_lo
	s_load_b32 s2, s[0:1], 0x40
	s_delay_alu instid0(VALU_DEP_3) | instskip(NEXT) | instid1(VALU_DEP_4)
	v_add_co_u32 v8, vcc_lo, v0, v6
	v_add_co_ci_u32_e32 v9, vcc_lo, v10, v7, vcc_lo
	s_clause 0x1
	global_load_b128 v[4:7], v[4:5], off
	global_load_b128 v[8:11], v[8:9], off
	v_lshlrev_b32_e32 v0, 1, v33
	s_delay_alu instid0(VALU_DEP_1)
	v_add_lshl_u32 v16, v12, v0, 2
	v_add_lshl_u32 v0, v17, v0, 2
	s_waitcnt vmcnt(1) lgkmcnt(0)
	v_fma_mixlo_f16 v13, v6, s2, 0
	v_fma_mixlo_f16 v12, v4, s2, 0
	s_waitcnt vmcnt(0)
	v_fma_mixlo_f16 v15, v10, s2, 0
	v_fma_mixlo_f16 v14, v8, s2, 0
	v_fma_mixhi_f16 v13, v7, s2, 0
	v_fma_mixhi_f16 v12, v5, s2, 0
	s_delay_alu instid0(VALU_DEP_4) | instskip(NEXT) | instid1(VALU_DEP_4)
	v_fma_mixhi_f16 v15, v11, s2, 0
	v_fma_mixhi_f16 v14, v9, s2, 0
	ds_store_b64 v16, v[12:13] offset:38912
	ds_store_b64 v0, v[14:15] offset:38912
	s_waitcnt lgkmcnt(0)
	s_barrier
	buffer_gl0_inv
	s_cbranch_scc1 .LBB9_4
; %bb.3:
	s_load_b32 s2, s[0:1], 0xd0
	s_mov_b32 s5, 0
	s_waitcnt lgkmcnt(0)
	s_mul_i32 s2, s2, s11
	s_delay_alu instid0(SALU_CYCLE_1) | instskip(NEXT) | instid1(SALU_CYCLE_1)
	s_add_i32 s4, s2, s13
	s_lshl_b64 s[4:5], s[4:5], 2
	s_delay_alu instid0(SALU_CYCLE_1)
	s_add_u32 s4, s26, s4
	s_addc_u32 s5, s27, s5
	s_load_b32 s34, s[4:5], 0x0
.LBB9_4:
	v_mbcnt_lo_u32_b32 v73, -1, 0
	s_lshl_b32 s16, s14, 7
	s_waitcnt lgkmcnt(0)
	s_cmp_lt_i32 s16, s34
	s_cbranch_scc1 .LBB9_6
; %bb.5:
	v_mbcnt_lo_u32_b32 v0, -1, 0
	v_mov_b32_e32 v74, 32
	s_mov_b32 s2, 0
	s_mov_b32 s4, 0xfeffffff
	s_delay_alu instid0(VALU_DEP_2)
	v_xor_b32_e32 v79, 16, v0
	v_xor_b32_e32 v78, 8, v0
	;; [unrolled: 1-line block ×5, first 2 shown]
	s_branch .LBB9_7
.LBB9_6:
	s_mov_b32 s2, -1
                                        ; implicit-def: $sgpr4
                                        ; implicit-def: $vgpr0
                                        ; implicit-def: $vgpr74
                                        ; implicit-def: $vgpr79
                                        ; implicit-def: $vgpr78
                                        ; implicit-def: $vgpr77
                                        ; implicit-def: $vgpr76
                                        ; implicit-def: $vgpr75
.LBB9_7:
	s_delay_alu instid0(SALU_CYCLE_1) | instskip(SKIP_2) | instid1(VALU_DEP_3)
	v_cndmask_b32_e64 v4, 0, 1, s2
	v_dual_mov_b32 v36, s4 :: v_dual_mov_b32 v121, s2
	v_dual_mov_b32 v118, s2 :: v_dual_mov_b32 v35, s4
	v_cmp_ne_u32_e32 vcc_lo, 1, v4
	v_dual_mov_b32 v117, s2 :: v_dual_lshlrev_b32 v72, 2, v33
	v_dual_mov_b32 v122, s2 :: v_dual_mov_b32 v119, s2
	v_mov_b32_e32 v120, s2
	s_cbranch_vccnz .LBB9_11
; %bb.8:
	s_clause 0x1
	s_load_b128 s[4:7], s[0:1], 0x98
	s_load_b64 s[12:13], s[0:1], 0x8c
	s_sub_i32 s2, 0, s8
	s_abs_i32 s23, s15
	s_mul_i32 s2, s2, s10
	s_ashr_i32 s33, s15, 31
	s_mul_hi_u32 s2, s10, s2
	s_ashr_i32 s9, s9, 31
	s_add_i32 s10, s10, s2
	s_ashr_i32 s2, s3, 1
	s_mul_hi_u32 s3, s23, s10
	s_ashr_i32 s10, s11, 31
	s_load_b64 s[26:27], s[0:1], 0xa8
	s_mul_i32 s35, s3, s8
	v_lshrrev_b32_e32 v0, 4, v33
	v_mov_b32_e32 v119, 0
	v_dual_mov_b32 v74, 32 :: v_dual_and_b32 v31, 60, v72
	v_dual_mov_b32 v121, 0 :: v_dual_lshlrev_b32 v2, 9, v2
	s_waitcnt lgkmcnt(0)
	s_ashr_i32 s17, s6, 2
	s_mul_i32 s5, s11, s5
	s_mul_hi_u32 s6, s11, s4
	s_ashr_i32 s22, s12, 2
	s_mul_i32 s12, s10, s4
	s_add_i32 s5, s6, s5
	s_mul_i32 s4, s11, s4
	s_add_i32 s5, s5, s12
	s_add_u32 s4, s18, s4
	s_addc_u32 s5, s19, s5
	s_xor_b32 s6, s33, s9
	s_sub_i32 s9, s23, s35
	s_add_i32 s12, s3, 1
	s_sub_i32 s18, s9, s8
	s_cmp_ge_u32 s9, s8
	v_add_nc_u32_e32 v14, v0, v3
	s_cselect_b32 s3, s12, s3
	s_cselect_b32 s9, s18, s9
	s_add_i32 s12, s3, 1
	s_cmp_ge_u32 s9, s8
	s_mul_i32 s8, s11, s27
	s_cselect_b32 s3, s12, s3
	s_mul_hi_u32 s9, s11, s26
	s_xor_b32 s3, s3, s6
	s_mul_i32 s10, s10, s26
	s_sub_i32 s3, s3, s6
	v_mul_lo_u32 v3, s22, v14
	s_mul_i32 s6, s3, s13
	v_mul_lo_u32 v0, s17, v14
	s_ashr_i32 s13, s6, 31
	s_add_u32 s18, s4, s6
	s_addc_u32 s19, s5, s13
	s_add_i32 s4, s9, s8
	s_mul_i32 s12, s11, s26
	s_mul_i32 s3, s3, s7
	s_add_i32 s4, s4, s10
	s_add_u32 s5, s20, s12
	s_addc_u32 s4, s21, s4
	s_ashr_i32 s6, s3, 31
	s_add_u32 s20, s5, s3
	s_addc_u32 s21, s4, s6
	s_lshl_b32 s3, s22, 4
	s_lshl_b32 s4, s17, 4
	v_dual_mov_b32 v120, 0 :: v_dual_add_nc_u32 v5, s3, v3
	v_dual_mov_b32 v122, 0 :: v_dual_add_nc_u32 v13, s4, v0
	s_delay_alu instid0(VALU_DEP_2) | instskip(SKIP_1) | instid1(VALU_DEP_3)
	v_dual_mov_b32 v36, 0xfeffffff :: v_dual_add_nc_u32 v7, s3, v5
	v_lshlrev_b32_e32 v18, 2, v31
	v_add_nc_u32_e32 v17, s4, v13
	v_mad_u64_u32 v[34:35], null, v1, s2, v[33:34]
	v_mov_b32_e32 v35, 0xfeffffff
	v_add_nc_u32_e32 v9, s3, v7
	s_delay_alu instid0(VALU_DEP_4)
	v_add_nc_u32_e32 v21, s4, v17
	v_mad_u32_u24 v80, 0x110, v14, v18
	v_ashrrev_i32_e32 v4, 31, v3
	v_ashrrev_i32_e32 v6, 31, v5
	v_add_nc_u32_e32 v11, s3, v9
	v_add_nc_u32_e32 v25, s4, v21
	v_ashrrev_i32_e32 v8, 31, v7
	v_ashrrev_i32_e32 v10, 31, v9
	v_lshl_or_b32 v90, v14, 8, v18
	v_add_nc_u32_e32 v15, s3, v11
	v_add_nc_u32_e32 v27, s4, v25
	v_ashrrev_i32_e32 v12, 31, v11
	v_ashrrev_i32_e32 v1, 31, v0
	v_ashrrev_i32_e32 v14, 31, v13
	v_add_nc_u32_e32 v19, s3, v15
	v_add_nc_u32_e32 v29, s4, v27
	v_ashrrev_i32_e32 v16, 31, v15
	v_ashrrev_i32_e32 v18, 31, v17
	v_ashrrev_i32_e32 v22, 31, v21
	;; [unrolled: 5-line block ×3, first 2 shown]
	v_ashrrev_i32_e32 v24, 31, v23
	v_ashrrev_i32_e32 v30, 31, v29
	v_ashrrev_i32_e32 v68, 31, v67
	v_add_nc_u32_e32 v91, 0x8800, v2
	v_lshlrev_b32_e32 v99, 3, v33
	v_lshlrev_b64 v[37:38], 2, v[3:4]
	v_lshlrev_b64 v[39:40], 2, v[5:6]
	;; [unrolled: 1-line block ×16, first 2 shown]
	v_mul_u32_u24_e32 v81, 0x110, v33
	v_dual_mov_b32 v117, 0 :: v_dual_add_nc_u32 v82, 0x9800, v2
	v_dual_mov_b32 v118, 0 :: v_dual_add_nc_u32 v83, 0x1100, v80
	v_add_nc_u32_e32 v84, 0x2200, v80
	v_add_nc_u32_e32 v85, 0x3300, v80
	;; [unrolled: 1-line block ×13, first 2 shown]
	v_lshlrev_b32_e32 v100, 2, v31
	v_xor_b32_e32 v79, 16, v73
	v_xor_b32_e32 v78, 8, v73
	;; [unrolled: 1-line block ×5, first 2 shown]
	v_add_nc_u32_e32 v101, v91, v72
	v_add_nc_u32_e32 v102, 0x800, v99
	;; [unrolled: 1-line block ×16, first 2 shown]
	s_add_u32 s12, s0, 0xd0
	s_addc_u32 s13, s1, 0
.LBB9_9:                                ; =>This Inner Loop Header: Depth=1
	s_mul_hi_i32 s3, s16, s22
	s_mul_i32 s2, s16, s22
	v_dual_mov_b32 v123, 0 :: v_dual_mov_b32 v124, 0
	s_lshl_b64 s[2:3], s[2:3], 2
	v_dual_mov_b32 v125, 0 :: v_dual_mov_b32 v126, 0
	s_add_u32 s8, s18, s2
	s_addc_u32 s9, s19, s3
	v_add_co_u32 v0, vcc_lo, s8, v39
	v_add_co_u32 v1, s2, s8, v41
	v_add_co_u32 v2, s3, s8, v43
	;; [unrolled: 1-line block ×7, first 2 shown]
	s_delay_alu instid0(VALU_DEP_1)
	v_add_co_ci_u32_e64 v10, s8, s9, v38, s8
	v_add_co_ci_u32_e32 v11, vcc_lo, s9, v40, vcc_lo
	v_add_co_ci_u32_e64 v13, vcc_lo, s9, v42, s2
	v_add_co_ci_u32_e64 v14, vcc_lo, s9, v44, s3
	v_add_co_ci_u32_e64 v15, vcc_lo, s9, v46, s4
	v_add_co_ci_u32_e64 v18, vcc_lo, s9, v48, s5
	v_add_co_ci_u32_e64 v19, vcc_lo, s9, v50, s6
	v_add_co_ci_u32_e64 v22, vcc_lo, s9, v52, s7
	v_add_co_u32 v4, vcc_lo, v0, v100
	v_add_co_u32 v0, s8, v9, v100
	v_add_co_u32 v8, s2, v1, v100
	v_add_co_ci_u32_e64 v1, s8, 0, v10, s8
	v_add_co_u32 v12, s3, v2, v100
	v_add_co_u32 v20, s5, v5, v100
	v_add_co_ci_u32_e32 v5, vcc_lo, 0, v11, vcc_lo
	v_add_co_u32 v16, s4, v3, v100
	v_add_co_u32 v24, s6, v6, v100
	v_add_co_u32 v28, s7, v7, v100
	v_add_co_ci_u32_e64 v9, vcc_lo, 0, v13, s2
	v_add_co_ci_u32_e64 v13, vcc_lo, 0, v14, s3
	;; [unrolled: 1-line block ×6, first 2 shown]
	s_clause 0x7
	global_load_b128 v[0:3], v[0:1], off
	global_load_b128 v[4:7], v[4:5], off
	;; [unrolled: 1-line block ×8, first 2 shown]
	v_dual_mov_b32 v130, 0 :: v_dual_add_nc_u32 v69, s16, v34
	v_dual_mov_b32 v129, 0 :: v_dual_mov_b32 v128, 0
	v_mov_b32_e32 v127, 0
	s_delay_alu instid0(VALU_DEP_3)
	v_ashrrev_i32_e32 v70, 31, v69
	s_mul_hi_i32 s3, s16, s17
	s_mul_i32 s2, s16, s17
	s_waitcnt vmcnt(7)
	ds_store_b128 v80, v[0:3]
	s_waitcnt vmcnt(6)
	ds_store_b128 v83, v[4:7]
	;; [unrolled: 2-line block ×8, first 2 shown]
	s_waitcnt lgkmcnt(0)
	s_barrier
	buffer_gl0_inv
	ds_load_b128 v[0:3], v81
	ds_load_b128 v[4:7], v82
	ds_load_b128 v[8:11], v82 offset:256
	ds_load_b128 v[12:15], v81 offset:8704
	;; [unrolled: 1-line block ×4, first 2 shown]
	s_waitcnt lgkmcnt(4)
	;;#ASMSTART
	v_dot2_f32_f16 v123, v0, v4, v123
	;;#ASMEND
	;;#ASMSTART
	v_dot2_f32_f16 v123, v1, v5, v123
	;;#ASMEND
	;;#ASMSTART
	v_dot2_f32_f16 v123, v2, v6, v123
	;;#ASMEND
	;;#ASMSTART
	v_dot2_f32_f16 v123, v3, v7, v123
	;;#ASMEND
	s_waitcnt lgkmcnt(3)
	;;#ASMSTART
	v_dot2_f32_f16 v124, v0, v8, v124
	;;#ASMEND
	;;#ASMSTART
	v_dot2_f32_f16 v124, v1, v9, v124
	;;#ASMEND
	;;#ASMSTART
	v_dot2_f32_f16 v124, v2, v10, v124
	;;#ASMEND
	;;#ASMSTART
	v_dot2_f32_f16 v124, v3, v11, v124
	;;#ASMEND
	;; [unrolled: 13-line block ×3, first 2 shown]
	;;#ASMSTART
	v_dot2_f32_f16 v126, v12, v8, v126
	;;#ASMEND
	;;#ASMSTART
	v_dot2_f32_f16 v126, v13, v9, v126
	;;#ASMEND
	;;#ASMSTART
	v_dot2_f32_f16 v126, v14, v10, v126
	;;#ASMEND
	;;#ASMSTART
	v_dot2_f32_f16 v126, v15, v11, v126
	;;#ASMEND
	s_waitcnt lgkmcnt(1)
	;;#ASMSTART
	v_dot2_f32_f16 v130, v16, v4, v130
	;;#ASMEND
	;;#ASMSTART
	v_dot2_f32_f16 v130, v17, v5, v130
	;;#ASMEND
	;; [unrolled: 3-line block ×8, first 2 shown]
	s_waitcnt lgkmcnt(0)
	;;#ASMSTART
	v_dot2_f32_f16 v127, v20, v4, v127
	;;#ASMEND
	;;#ASMSTART
	v_dot2_f32_f16 v127, v21, v5, v127
	;;#ASMEND
	;; [unrolled: 3-line block ×8, first 2 shown]
	ds_load_b128 v[0:3], v81 offset:16
	ds_load_b128 v[4:7], v82 offset:16
	;; [unrolled: 1-line block ×6, first 2 shown]
	s_waitcnt lgkmcnt(4)
	;;#ASMSTART
	v_dot2_f32_f16 v123, v0, v4, v123
	;;#ASMEND
	;;#ASMSTART
	v_dot2_f32_f16 v123, v1, v5, v123
	;;#ASMEND
	;;#ASMSTART
	v_dot2_f32_f16 v123, v2, v6, v123
	;;#ASMEND
	;;#ASMSTART
	v_dot2_f32_f16 v123, v3, v7, v123
	;;#ASMEND
	s_waitcnt lgkmcnt(3)
	;;#ASMSTART
	v_dot2_f32_f16 v124, v0, v8, v124
	;;#ASMEND
	;;#ASMSTART
	v_dot2_f32_f16 v124, v1, v9, v124
	;;#ASMEND
	;;#ASMSTART
	v_dot2_f32_f16 v124, v2, v10, v124
	;;#ASMEND
	;;#ASMSTART
	v_dot2_f32_f16 v124, v3, v11, v124
	;;#ASMEND
	;; [unrolled: 13-line block ×3, first 2 shown]
	;;#ASMSTART
	v_dot2_f32_f16 v126, v12, v8, v126
	;;#ASMEND
	;;#ASMSTART
	v_dot2_f32_f16 v126, v13, v9, v126
	;;#ASMEND
	;; [unrolled: 3-line block ×4, first 2 shown]
	s_waitcnt lgkmcnt(1)
	;;#ASMSTART
	v_dot2_f32_f16 v130, v16, v4, v130
	;;#ASMEND
	;;#ASMSTART
	v_dot2_f32_f16 v130, v17, v5, v130
	;;#ASMEND
	;; [unrolled: 3-line block ×8, first 2 shown]
	s_waitcnt lgkmcnt(0)
	;;#ASMSTART
	v_dot2_f32_f16 v127, v20, v4, v127
	;;#ASMEND
	;;#ASMSTART
	v_dot2_f32_f16 v127, v21, v5, v127
	;;#ASMEND
	;; [unrolled: 3-line block ×8, first 2 shown]
	ds_load_b128 v[0:3], v81 offset:32
	ds_load_b128 v[4:7], v82 offset:32
	;; [unrolled: 1-line block ×6, first 2 shown]
	s_waitcnt lgkmcnt(4)
	;;#ASMSTART
	v_dot2_f32_f16 v123, v0, v4, v123
	;;#ASMEND
	;;#ASMSTART
	v_dot2_f32_f16 v123, v1, v5, v123
	;;#ASMEND
	;;#ASMSTART
	v_dot2_f32_f16 v123, v2, v6, v123
	;;#ASMEND
	;;#ASMSTART
	v_dot2_f32_f16 v123, v3, v7, v123
	;;#ASMEND
	s_waitcnt lgkmcnt(3)
	;;#ASMSTART
	v_dot2_f32_f16 v124, v0, v8, v124
	;;#ASMEND
	;;#ASMSTART
	v_dot2_f32_f16 v124, v1, v9, v124
	;;#ASMEND
	;;#ASMSTART
	v_dot2_f32_f16 v124, v2, v10, v124
	;;#ASMEND
	;;#ASMSTART
	v_dot2_f32_f16 v124, v3, v11, v124
	;;#ASMEND
	;; [unrolled: 13-line block ×3, first 2 shown]
	;;#ASMSTART
	v_dot2_f32_f16 v126, v12, v8, v126
	;;#ASMEND
	;;#ASMSTART
	v_dot2_f32_f16 v126, v13, v9, v126
	;;#ASMEND
	;; [unrolled: 3-line block ×4, first 2 shown]
	s_waitcnt lgkmcnt(1)
	;;#ASMSTART
	v_dot2_f32_f16 v130, v16, v4, v130
	;;#ASMEND
	;;#ASMSTART
	v_dot2_f32_f16 v130, v17, v5, v130
	;;#ASMEND
	;;#ASMSTART
	v_dot2_f32_f16 v130, v18, v6, v130
	;;#ASMEND
	;;#ASMSTART
	v_dot2_f32_f16 v130, v19, v7, v130
	;;#ASMEND
	;;#ASMSTART
	v_dot2_f32_f16 v129, v16, v8, v129
	;;#ASMEND
	;;#ASMSTART
	v_dot2_f32_f16 v129, v17, v9, v129
	;;#ASMEND
	;;#ASMSTART
	v_dot2_f32_f16 v129, v18, v10, v129
	;;#ASMEND
	;;#ASMSTART
	v_dot2_f32_f16 v129, v19, v11, v129
	;;#ASMEND
	s_waitcnt lgkmcnt(0)
	;;#ASMSTART
	v_dot2_f32_f16 v127, v20, v4, v127
	;;#ASMEND
	;;#ASMSTART
	v_dot2_f32_f16 v127, v21, v5, v127
	;;#ASMEND
	;; [unrolled: 3-line block ×8, first 2 shown]
	ds_load_b128 v[0:3], v81 offset:48
	ds_load_b128 v[4:7], v82 offset:48
	ds_load_b128 v[8:11], v82 offset:304
	ds_load_b128 v[12:15], v81 offset:8752
	ds_load_b128 v[16:19], v81 offset:17456
	ds_load_b128 v[20:23], v81 offset:26160
	s_waitcnt lgkmcnt(4)
	;;#ASMSTART
	v_dot2_f32_f16 v123, v0, v4, v123
	;;#ASMEND
	;;#ASMSTART
	v_dot2_f32_f16 v123, v1, v5, v123
	;;#ASMEND
	;;#ASMSTART
	v_dot2_f32_f16 v123, v2, v6, v123
	;;#ASMEND
	;;#ASMSTART
	v_dot2_f32_f16 v123, v3, v7, v123
	;;#ASMEND
	s_waitcnt lgkmcnt(3)
	;;#ASMSTART
	v_dot2_f32_f16 v124, v0, v8, v124
	;;#ASMEND
	;;#ASMSTART
	v_dot2_f32_f16 v124, v1, v9, v124
	;;#ASMEND
	;;#ASMSTART
	v_dot2_f32_f16 v124, v2, v10, v124
	;;#ASMEND
	;;#ASMSTART
	v_dot2_f32_f16 v124, v3, v11, v124
	;;#ASMEND
	s_waitcnt lgkmcnt(2)
	;;#ASMSTART
	v_dot2_f32_f16 v125, v12, v4, v125
	;;#ASMEND
	;;#ASMSTART
	v_dot2_f32_f16 v125, v13, v5, v125
	;;#ASMEND
	;;#ASMSTART
	v_dot2_f32_f16 v125, v14, v6, v125
	;;#ASMEND
	;;#ASMSTART
	v_dot2_f32_f16 v125, v15, v7, v125
	;;#ASMEND
	;;#ASMSTART
	v_dot2_f32_f16 v126, v12, v8, v126
	;;#ASMEND
	;;#ASMSTART
	v_dot2_f32_f16 v126, v13, v9, v126
	;;#ASMEND
	;; [unrolled: 3-line block ×4, first 2 shown]
	s_waitcnt lgkmcnt(1)
	;;#ASMSTART
	v_dot2_f32_f16 v130, v16, v4, v130
	;;#ASMEND
	;;#ASMSTART
	v_dot2_f32_f16 v130, v17, v5, v130
	;;#ASMEND
	;; [unrolled: 3-line block ×8, first 2 shown]
	s_waitcnt lgkmcnt(0)
	;;#ASMSTART
	v_dot2_f32_f16 v127, v20, v4, v127
	;;#ASMEND
	;;#ASMSTART
	v_dot2_f32_f16 v127, v21, v5, v127
	;;#ASMEND
	;;#ASMSTART
	v_dot2_f32_f16 v127, v22, v6, v127
	;;#ASMEND
	;;#ASMSTART
	v_dot2_f32_f16 v127, v23, v7, v127
	;;#ASMEND
	;;#ASMSTART
	v_dot2_f32_f16 v128, v20, v8, v128
	;;#ASMEND
	;;#ASMSTART
	v_dot2_f32_f16 v128, v21, v9, v128
	;;#ASMEND
	;;#ASMSTART
	v_dot2_f32_f16 v128, v22, v10, v128
	;;#ASMEND
	;;#ASMSTART
	v_dot2_f32_f16 v128, v23, v11, v128
	;;#ASMEND
	ds_load_b128 v[0:3], v81 offset:64
	ds_load_b128 v[4:7], v82 offset:64
	;; [unrolled: 1-line block ×6, first 2 shown]
	s_waitcnt lgkmcnt(4)
	;;#ASMSTART
	v_dot2_f32_f16 v123, v0, v4, v123
	;;#ASMEND
	;;#ASMSTART
	v_dot2_f32_f16 v123, v1, v5, v123
	;;#ASMEND
	;;#ASMSTART
	v_dot2_f32_f16 v123, v2, v6, v123
	;;#ASMEND
	;;#ASMSTART
	v_dot2_f32_f16 v123, v3, v7, v123
	;;#ASMEND
	s_waitcnt lgkmcnt(3)
	;;#ASMSTART
	v_dot2_f32_f16 v124, v0, v8, v124
	;;#ASMEND
	;;#ASMSTART
	v_dot2_f32_f16 v124, v1, v9, v124
	;;#ASMEND
	;;#ASMSTART
	v_dot2_f32_f16 v124, v2, v10, v124
	;;#ASMEND
	;;#ASMSTART
	v_dot2_f32_f16 v124, v3, v11, v124
	;;#ASMEND
	;; [unrolled: 13-line block ×3, first 2 shown]
	;;#ASMSTART
	v_dot2_f32_f16 v126, v12, v8, v126
	;;#ASMEND
	;;#ASMSTART
	v_dot2_f32_f16 v126, v13, v9, v126
	;;#ASMEND
	;; [unrolled: 3-line block ×4, first 2 shown]
	s_waitcnt lgkmcnt(1)
	;;#ASMSTART
	v_dot2_f32_f16 v130, v16, v4, v130
	;;#ASMEND
	;;#ASMSTART
	v_dot2_f32_f16 v130, v17, v5, v130
	;;#ASMEND
	;; [unrolled: 3-line block ×8, first 2 shown]
	s_waitcnt lgkmcnt(0)
	;;#ASMSTART
	v_dot2_f32_f16 v127, v20, v4, v127
	;;#ASMEND
	;;#ASMSTART
	v_dot2_f32_f16 v127, v21, v5, v127
	;;#ASMEND
	;; [unrolled: 3-line block ×8, first 2 shown]
	ds_load_b128 v[0:3], v81 offset:80
	ds_load_b128 v[4:7], v82 offset:80
	;; [unrolled: 1-line block ×6, first 2 shown]
	s_waitcnt lgkmcnt(4)
	;;#ASMSTART
	v_dot2_f32_f16 v123, v0, v4, v123
	;;#ASMEND
	;;#ASMSTART
	v_dot2_f32_f16 v123, v1, v5, v123
	;;#ASMEND
	;;#ASMSTART
	v_dot2_f32_f16 v123, v2, v6, v123
	;;#ASMEND
	;;#ASMSTART
	v_dot2_f32_f16 v123, v3, v7, v123
	;;#ASMEND
	s_waitcnt lgkmcnt(3)
	;;#ASMSTART
	v_dot2_f32_f16 v124, v0, v8, v124
	;;#ASMEND
	;;#ASMSTART
	v_dot2_f32_f16 v124, v1, v9, v124
	;;#ASMEND
	;;#ASMSTART
	v_dot2_f32_f16 v124, v2, v10, v124
	;;#ASMEND
	;;#ASMSTART
	v_dot2_f32_f16 v124, v3, v11, v124
	;;#ASMEND
	s_waitcnt lgkmcnt(2)
	;;#ASMSTART
	v_dot2_f32_f16 v125, v12, v4, v125
	;;#ASMEND
	;;#ASMSTART
	v_dot2_f32_f16 v125, v13, v5, v125
	;;#ASMEND
	;;#ASMSTART
	v_dot2_f32_f16 v125, v14, v6, v125
	;;#ASMEND
	;;#ASMSTART
	v_dot2_f32_f16 v125, v15, v7, v125
	;;#ASMEND
	;;#ASMSTART
	v_dot2_f32_f16 v126, v12, v8, v126
	;;#ASMEND
	;;#ASMSTART
	v_dot2_f32_f16 v126, v13, v9, v126
	;;#ASMEND
	;; [unrolled: 3-line block ×4, first 2 shown]
	s_waitcnt lgkmcnt(1)
	;;#ASMSTART
	v_dot2_f32_f16 v130, v16, v4, v130
	;;#ASMEND
	;;#ASMSTART
	v_dot2_f32_f16 v130, v17, v5, v130
	;;#ASMEND
	;; [unrolled: 3-line block ×8, first 2 shown]
	s_waitcnt lgkmcnt(0)
	;;#ASMSTART
	v_dot2_f32_f16 v127, v20, v4, v127
	;;#ASMEND
	;;#ASMSTART
	v_dot2_f32_f16 v127, v21, v5, v127
	;;#ASMEND
	;; [unrolled: 3-line block ×8, first 2 shown]
	ds_load_b128 v[0:3], v81 offset:96
	ds_load_b128 v[4:7], v82 offset:96
	;; [unrolled: 1-line block ×6, first 2 shown]
	s_waitcnt lgkmcnt(4)
	;;#ASMSTART
	v_dot2_f32_f16 v123, v0, v4, v123
	;;#ASMEND
	;;#ASMSTART
	v_dot2_f32_f16 v123, v1, v5, v123
	;;#ASMEND
	;;#ASMSTART
	v_dot2_f32_f16 v123, v2, v6, v123
	;;#ASMEND
	;;#ASMSTART
	v_dot2_f32_f16 v123, v3, v7, v123
	;;#ASMEND
	s_waitcnt lgkmcnt(3)
	;;#ASMSTART
	v_dot2_f32_f16 v124, v0, v8, v124
	;;#ASMEND
	;;#ASMSTART
	v_dot2_f32_f16 v124, v1, v9, v124
	;;#ASMEND
	;;#ASMSTART
	v_dot2_f32_f16 v124, v2, v10, v124
	;;#ASMEND
	;;#ASMSTART
	v_dot2_f32_f16 v124, v3, v11, v124
	;;#ASMEND
	;; [unrolled: 13-line block ×3, first 2 shown]
	;;#ASMSTART
	v_dot2_f32_f16 v126, v12, v8, v126
	;;#ASMEND
	;;#ASMSTART
	v_dot2_f32_f16 v126, v13, v9, v126
	;;#ASMEND
	;; [unrolled: 3-line block ×4, first 2 shown]
	s_waitcnt lgkmcnt(1)
	;;#ASMSTART
	v_dot2_f32_f16 v130, v16, v4, v130
	;;#ASMEND
	;;#ASMSTART
	v_dot2_f32_f16 v130, v17, v5, v130
	;;#ASMEND
	;; [unrolled: 3-line block ×8, first 2 shown]
	s_waitcnt lgkmcnt(0)
	;;#ASMSTART
	v_dot2_f32_f16 v127, v20, v4, v127
	;;#ASMEND
	;;#ASMSTART
	v_dot2_f32_f16 v127, v21, v5, v127
	;;#ASMEND
	;; [unrolled: 3-line block ×8, first 2 shown]
	ds_load_b128 v[0:3], v81 offset:112
	ds_load_b128 v[4:7], v82 offset:112
	;; [unrolled: 1-line block ×6, first 2 shown]
	s_waitcnt lgkmcnt(4)
	;;#ASMSTART
	v_dot2_f32_f16 v123, v0, v4, v123
	;;#ASMEND
	;;#ASMSTART
	v_dot2_f32_f16 v123, v1, v5, v123
	;;#ASMEND
	;;#ASMSTART
	v_dot2_f32_f16 v123, v2, v6, v123
	;;#ASMEND
	;;#ASMSTART
	v_dot2_f32_f16 v123, v3, v7, v123
	;;#ASMEND
	s_waitcnt lgkmcnt(3)
	;;#ASMSTART
	v_dot2_f32_f16 v124, v0, v8, v124
	;;#ASMEND
	;;#ASMSTART
	v_dot2_f32_f16 v124, v1, v9, v124
	;;#ASMEND
	;;#ASMSTART
	v_dot2_f32_f16 v124, v2, v10, v124
	;;#ASMEND
	;;#ASMSTART
	v_dot2_f32_f16 v124, v3, v11, v124
	;;#ASMEND
	;; [unrolled: 13-line block ×3, first 2 shown]
	;;#ASMSTART
	v_dot2_f32_f16 v126, v12, v8, v126
	;;#ASMEND
	;;#ASMSTART
	v_dot2_f32_f16 v126, v13, v9, v126
	;;#ASMEND
	;; [unrolled: 3-line block ×4, first 2 shown]
	s_waitcnt lgkmcnt(1)
	;;#ASMSTART
	v_dot2_f32_f16 v130, v16, v4, v130
	;;#ASMEND
	;;#ASMSTART
	v_dot2_f32_f16 v130, v17, v5, v130
	;;#ASMEND
	;;#ASMSTART
	v_dot2_f32_f16 v130, v18, v6, v130
	;;#ASMEND
	;;#ASMSTART
	v_dot2_f32_f16 v130, v19, v7, v130
	;;#ASMEND
	;;#ASMSTART
	v_dot2_f32_f16 v129, v16, v8, v129
	;;#ASMEND
	;;#ASMSTART
	v_dot2_f32_f16 v129, v17, v9, v129
	;;#ASMEND
	;;#ASMSTART
	v_dot2_f32_f16 v129, v18, v10, v129
	;;#ASMEND
	;;#ASMSTART
	v_dot2_f32_f16 v129, v19, v11, v129
	;;#ASMEND
	s_waitcnt lgkmcnt(0)
	;;#ASMSTART
	v_dot2_f32_f16 v127, v20, v4, v127
	;;#ASMEND
	;;#ASMSTART
	v_dot2_f32_f16 v127, v21, v5, v127
	;;#ASMEND
	;; [unrolled: 3-line block ×8, first 2 shown]
	ds_load_b128 v[0:3], v81 offset:128
	ds_load_b128 v[4:7], v82 offset:128
	;; [unrolled: 1-line block ×6, first 2 shown]
	s_waitcnt lgkmcnt(4)
	;;#ASMSTART
	v_dot2_f32_f16 v123, v0, v4, v123
	;;#ASMEND
	;;#ASMSTART
	v_dot2_f32_f16 v123, v1, v5, v123
	;;#ASMEND
	;;#ASMSTART
	v_dot2_f32_f16 v123, v2, v6, v123
	;;#ASMEND
	;;#ASMSTART
	v_dot2_f32_f16 v123, v3, v7, v123
	;;#ASMEND
	s_waitcnt lgkmcnt(3)
	;;#ASMSTART
	v_dot2_f32_f16 v124, v0, v8, v124
	;;#ASMEND
	;;#ASMSTART
	v_dot2_f32_f16 v124, v1, v9, v124
	;;#ASMEND
	;;#ASMSTART
	v_dot2_f32_f16 v124, v2, v10, v124
	;;#ASMEND
	;;#ASMSTART
	v_dot2_f32_f16 v124, v3, v11, v124
	;;#ASMEND
	;; [unrolled: 13-line block ×3, first 2 shown]
	;;#ASMSTART
	v_dot2_f32_f16 v126, v12, v8, v126
	;;#ASMEND
	;;#ASMSTART
	v_dot2_f32_f16 v126, v13, v9, v126
	;;#ASMEND
	;; [unrolled: 3-line block ×4, first 2 shown]
	s_waitcnt lgkmcnt(1)
	;;#ASMSTART
	v_dot2_f32_f16 v130, v16, v4, v130
	;;#ASMEND
	;;#ASMSTART
	v_dot2_f32_f16 v130, v17, v5, v130
	;;#ASMEND
	;; [unrolled: 3-line block ×8, first 2 shown]
	s_waitcnt lgkmcnt(0)
	;;#ASMSTART
	v_dot2_f32_f16 v127, v20, v4, v127
	;;#ASMEND
	;;#ASMSTART
	v_dot2_f32_f16 v127, v21, v5, v127
	;;#ASMEND
	;; [unrolled: 3-line block ×8, first 2 shown]
	ds_load_b128 v[0:3], v81 offset:144
	ds_load_b128 v[4:7], v82 offset:144
	;; [unrolled: 1-line block ×6, first 2 shown]
	s_waitcnt lgkmcnt(4)
	;;#ASMSTART
	v_dot2_f32_f16 v123, v0, v4, v123
	;;#ASMEND
	;;#ASMSTART
	v_dot2_f32_f16 v123, v1, v5, v123
	;;#ASMEND
	;;#ASMSTART
	v_dot2_f32_f16 v123, v2, v6, v123
	;;#ASMEND
	;;#ASMSTART
	v_dot2_f32_f16 v123, v3, v7, v123
	;;#ASMEND
	s_waitcnt lgkmcnt(3)
	;;#ASMSTART
	v_dot2_f32_f16 v124, v0, v8, v124
	;;#ASMEND
	;;#ASMSTART
	v_dot2_f32_f16 v124, v1, v9, v124
	;;#ASMEND
	;;#ASMSTART
	v_dot2_f32_f16 v124, v2, v10, v124
	;;#ASMEND
	;;#ASMSTART
	v_dot2_f32_f16 v124, v3, v11, v124
	;;#ASMEND
	;; [unrolled: 13-line block ×3, first 2 shown]
	;;#ASMSTART
	v_dot2_f32_f16 v126, v12, v8, v126
	;;#ASMEND
	;;#ASMSTART
	v_dot2_f32_f16 v126, v13, v9, v126
	;;#ASMEND
	;; [unrolled: 3-line block ×4, first 2 shown]
	s_waitcnt lgkmcnt(1)
	;;#ASMSTART
	v_dot2_f32_f16 v130, v16, v4, v130
	;;#ASMEND
	;;#ASMSTART
	v_dot2_f32_f16 v130, v17, v5, v130
	;;#ASMEND
	;; [unrolled: 3-line block ×8, first 2 shown]
	s_waitcnt lgkmcnt(0)
	;;#ASMSTART
	v_dot2_f32_f16 v127, v20, v4, v127
	;;#ASMEND
	;;#ASMSTART
	v_dot2_f32_f16 v127, v21, v5, v127
	;;#ASMEND
	;; [unrolled: 3-line block ×8, first 2 shown]
	ds_load_b128 v[0:3], v81 offset:160
	ds_load_b128 v[4:7], v82 offset:160
	ds_load_b128 v[8:11], v82 offset:416
	ds_load_b128 v[12:15], v81 offset:8864
	ds_load_b128 v[16:19], v81 offset:17568
	ds_load_b128 v[20:23], v81 offset:26272
	s_waitcnt lgkmcnt(4)
	;;#ASMSTART
	v_dot2_f32_f16 v123, v0, v4, v123
	;;#ASMEND
	;;#ASMSTART
	v_dot2_f32_f16 v123, v1, v5, v123
	;;#ASMEND
	;;#ASMSTART
	v_dot2_f32_f16 v123, v2, v6, v123
	;;#ASMEND
	;;#ASMSTART
	v_dot2_f32_f16 v123, v3, v7, v123
	;;#ASMEND
	s_waitcnt lgkmcnt(3)
	;;#ASMSTART
	v_dot2_f32_f16 v124, v0, v8, v124
	;;#ASMEND
	;;#ASMSTART
	v_dot2_f32_f16 v124, v1, v9, v124
	;;#ASMEND
	;;#ASMSTART
	v_dot2_f32_f16 v124, v2, v10, v124
	;;#ASMEND
	;;#ASMSTART
	v_dot2_f32_f16 v124, v3, v11, v124
	;;#ASMEND
	;; [unrolled: 13-line block ×3, first 2 shown]
	;;#ASMSTART
	v_dot2_f32_f16 v126, v12, v8, v126
	;;#ASMEND
	;;#ASMSTART
	v_dot2_f32_f16 v126, v13, v9, v126
	;;#ASMEND
	;; [unrolled: 3-line block ×4, first 2 shown]
	s_waitcnt lgkmcnt(1)
	;;#ASMSTART
	v_dot2_f32_f16 v130, v16, v4, v130
	;;#ASMEND
	;;#ASMSTART
	v_dot2_f32_f16 v130, v17, v5, v130
	;;#ASMEND
	;; [unrolled: 3-line block ×8, first 2 shown]
	s_waitcnt lgkmcnt(0)
	;;#ASMSTART
	v_dot2_f32_f16 v127, v20, v4, v127
	;;#ASMEND
	;;#ASMSTART
	v_dot2_f32_f16 v127, v21, v5, v127
	;;#ASMEND
	;; [unrolled: 3-line block ×8, first 2 shown]
	ds_load_b128 v[0:3], v81 offset:176
	ds_load_b128 v[4:7], v82 offset:176
	;; [unrolled: 1-line block ×6, first 2 shown]
	s_waitcnt lgkmcnt(4)
	;;#ASMSTART
	v_dot2_f32_f16 v123, v0, v4, v123
	;;#ASMEND
	;;#ASMSTART
	v_dot2_f32_f16 v123, v1, v5, v123
	;;#ASMEND
	;;#ASMSTART
	v_dot2_f32_f16 v123, v2, v6, v123
	;;#ASMEND
	;;#ASMSTART
	v_dot2_f32_f16 v123, v3, v7, v123
	;;#ASMEND
	s_waitcnt lgkmcnt(3)
	;;#ASMSTART
	v_dot2_f32_f16 v124, v0, v8, v124
	;;#ASMEND
	;;#ASMSTART
	v_dot2_f32_f16 v124, v1, v9, v124
	;;#ASMEND
	;;#ASMSTART
	v_dot2_f32_f16 v124, v2, v10, v124
	;;#ASMEND
	;;#ASMSTART
	v_dot2_f32_f16 v124, v3, v11, v124
	;;#ASMEND
	;; [unrolled: 13-line block ×3, first 2 shown]
	;;#ASMSTART
	v_dot2_f32_f16 v126, v12, v8, v126
	;;#ASMEND
	;;#ASMSTART
	v_dot2_f32_f16 v126, v13, v9, v126
	;;#ASMEND
	;; [unrolled: 3-line block ×4, first 2 shown]
	s_waitcnt lgkmcnt(1)
	;;#ASMSTART
	v_dot2_f32_f16 v130, v16, v4, v130
	;;#ASMEND
	;;#ASMSTART
	v_dot2_f32_f16 v130, v17, v5, v130
	;;#ASMEND
	;;#ASMSTART
	v_dot2_f32_f16 v130, v18, v6, v130
	;;#ASMEND
	;;#ASMSTART
	v_dot2_f32_f16 v130, v19, v7, v130
	;;#ASMEND
	;;#ASMSTART
	v_dot2_f32_f16 v129, v16, v8, v129
	;;#ASMEND
	;;#ASMSTART
	v_dot2_f32_f16 v129, v17, v9, v129
	;;#ASMEND
	;;#ASMSTART
	v_dot2_f32_f16 v129, v18, v10, v129
	;;#ASMEND
	;;#ASMSTART
	v_dot2_f32_f16 v129, v19, v11, v129
	;;#ASMEND
	s_waitcnt lgkmcnt(0)
	;;#ASMSTART
	v_dot2_f32_f16 v127, v20, v4, v127
	;;#ASMEND
	;;#ASMSTART
	v_dot2_f32_f16 v127, v21, v5, v127
	;;#ASMEND
	;;#ASMSTART
	v_dot2_f32_f16 v127, v22, v6, v127
	;;#ASMEND
	;;#ASMSTART
	v_dot2_f32_f16 v127, v23, v7, v127
	;;#ASMEND
	;;#ASMSTART
	v_dot2_f32_f16 v128, v20, v8, v128
	;;#ASMEND
	;;#ASMSTART
	v_dot2_f32_f16 v128, v21, v9, v128
	;;#ASMEND
	;;#ASMSTART
	v_dot2_f32_f16 v128, v22, v10, v128
	;;#ASMEND
	;;#ASMSTART
	v_dot2_f32_f16 v128, v23, v11, v128
	;;#ASMEND
	ds_load_b128 v[0:3], v81 offset:192
	ds_load_b128 v[4:7], v82 offset:192
	ds_load_b128 v[8:11], v82 offset:448
	ds_load_b128 v[12:15], v81 offset:8896
	ds_load_b128 v[16:19], v81 offset:17600
	ds_load_b128 v[20:23], v81 offset:26304
	s_waitcnt lgkmcnt(4)
	;;#ASMSTART
	v_dot2_f32_f16 v123, v0, v4, v123
	;;#ASMEND
	;;#ASMSTART
	v_dot2_f32_f16 v123, v1, v5, v123
	;;#ASMEND
	;;#ASMSTART
	v_dot2_f32_f16 v123, v2, v6, v123
	;;#ASMEND
	;;#ASMSTART
	v_dot2_f32_f16 v123, v3, v7, v123
	;;#ASMEND
	s_waitcnt lgkmcnt(3)
	;;#ASMSTART
	v_dot2_f32_f16 v124, v0, v8, v124
	;;#ASMEND
	;;#ASMSTART
	v_dot2_f32_f16 v124, v1, v9, v124
	;;#ASMEND
	;;#ASMSTART
	v_dot2_f32_f16 v124, v2, v10, v124
	;;#ASMEND
	;;#ASMSTART
	v_dot2_f32_f16 v124, v3, v11, v124
	;;#ASMEND
	;; [unrolled: 13-line block ×3, first 2 shown]
	;;#ASMSTART
	v_dot2_f32_f16 v126, v12, v8, v126
	;;#ASMEND
	;;#ASMSTART
	v_dot2_f32_f16 v126, v13, v9, v126
	;;#ASMEND
	;; [unrolled: 3-line block ×4, first 2 shown]
	s_waitcnt lgkmcnt(1)
	;;#ASMSTART
	v_dot2_f32_f16 v130, v16, v4, v130
	;;#ASMEND
	;;#ASMSTART
	v_dot2_f32_f16 v130, v17, v5, v130
	;;#ASMEND
	;;#ASMSTART
	v_dot2_f32_f16 v130, v18, v6, v130
	;;#ASMEND
	;;#ASMSTART
	v_dot2_f32_f16 v130, v19, v7, v130
	;;#ASMEND
	;;#ASMSTART
	v_dot2_f32_f16 v129, v16, v8, v129
	;;#ASMEND
	;;#ASMSTART
	v_dot2_f32_f16 v129, v17, v9, v129
	;;#ASMEND
	;;#ASMSTART
	v_dot2_f32_f16 v129, v18, v10, v129
	;;#ASMEND
	;;#ASMSTART
	v_dot2_f32_f16 v129, v19, v11, v129
	;;#ASMEND
	s_waitcnt lgkmcnt(0)
	;;#ASMSTART
	v_dot2_f32_f16 v127, v20, v4, v127
	;;#ASMEND
	;;#ASMSTART
	v_dot2_f32_f16 v127, v21, v5, v127
	;;#ASMEND
	;; [unrolled: 3-line block ×8, first 2 shown]
	ds_load_b128 v[0:3], v81 offset:208
	ds_load_b128 v[4:7], v82 offset:208
	;; [unrolled: 1-line block ×6, first 2 shown]
	s_waitcnt lgkmcnt(4)
	;;#ASMSTART
	v_dot2_f32_f16 v123, v0, v4, v123
	;;#ASMEND
	;;#ASMSTART
	v_dot2_f32_f16 v123, v1, v5, v123
	;;#ASMEND
	;;#ASMSTART
	v_dot2_f32_f16 v123, v2, v6, v123
	;;#ASMEND
	;;#ASMSTART
	v_dot2_f32_f16 v123, v3, v7, v123
	;;#ASMEND
	s_waitcnt lgkmcnt(3)
	;;#ASMSTART
	v_dot2_f32_f16 v124, v0, v8, v124
	;;#ASMEND
	;;#ASMSTART
	v_dot2_f32_f16 v124, v1, v9, v124
	;;#ASMEND
	;;#ASMSTART
	v_dot2_f32_f16 v124, v2, v10, v124
	;;#ASMEND
	;;#ASMSTART
	v_dot2_f32_f16 v124, v3, v11, v124
	;;#ASMEND
	;; [unrolled: 13-line block ×3, first 2 shown]
	;;#ASMSTART
	v_dot2_f32_f16 v126, v12, v8, v126
	;;#ASMEND
	;;#ASMSTART
	v_dot2_f32_f16 v126, v13, v9, v126
	;;#ASMEND
	;;#ASMSTART
	v_dot2_f32_f16 v126, v14, v10, v126
	;;#ASMEND
	;;#ASMSTART
	v_dot2_f32_f16 v126, v15, v11, v126
	;;#ASMEND
	s_waitcnt lgkmcnt(1)
	;;#ASMSTART
	v_dot2_f32_f16 v130, v16, v4, v130
	;;#ASMEND
	;;#ASMSTART
	v_dot2_f32_f16 v130, v17, v5, v130
	;;#ASMEND
	;; [unrolled: 3-line block ×8, first 2 shown]
	s_waitcnt lgkmcnt(0)
	;;#ASMSTART
	v_dot2_f32_f16 v127, v20, v4, v127
	;;#ASMEND
	;;#ASMSTART
	v_dot2_f32_f16 v127, v21, v5, v127
	;;#ASMEND
	;; [unrolled: 3-line block ×8, first 2 shown]
	ds_load_b128 v[0:3], v81 offset:224
	ds_load_b128 v[4:7], v82 offset:224
	;; [unrolled: 1-line block ×6, first 2 shown]
	s_waitcnt lgkmcnt(4)
	;;#ASMSTART
	v_dot2_f32_f16 v123, v0, v4, v123
	;;#ASMEND
	;;#ASMSTART
	v_dot2_f32_f16 v123, v1, v5, v123
	;;#ASMEND
	;;#ASMSTART
	v_dot2_f32_f16 v123, v2, v6, v123
	;;#ASMEND
	;;#ASMSTART
	v_dot2_f32_f16 v123, v3, v7, v123
	;;#ASMEND
	s_waitcnt lgkmcnt(3)
	;;#ASMSTART
	v_dot2_f32_f16 v124, v0, v8, v124
	;;#ASMEND
	;;#ASMSTART
	v_dot2_f32_f16 v124, v1, v9, v124
	;;#ASMEND
	;;#ASMSTART
	v_dot2_f32_f16 v124, v2, v10, v124
	;;#ASMEND
	;;#ASMSTART
	v_dot2_f32_f16 v124, v3, v11, v124
	;;#ASMEND
	;; [unrolled: 13-line block ×3, first 2 shown]
	;;#ASMSTART
	v_dot2_f32_f16 v126, v12, v8, v126
	;;#ASMEND
	;;#ASMSTART
	v_dot2_f32_f16 v126, v13, v9, v126
	;;#ASMEND
	;; [unrolled: 3-line block ×4, first 2 shown]
	s_waitcnt lgkmcnt(1)
	;;#ASMSTART
	v_dot2_f32_f16 v130, v16, v4, v130
	;;#ASMEND
	;;#ASMSTART
	v_dot2_f32_f16 v130, v17, v5, v130
	;;#ASMEND
	;;#ASMSTART
	v_dot2_f32_f16 v130, v18, v6, v130
	;;#ASMEND
	;;#ASMSTART
	v_dot2_f32_f16 v130, v19, v7, v130
	;;#ASMEND
	;;#ASMSTART
	v_dot2_f32_f16 v129, v16, v8, v129
	;;#ASMEND
	;;#ASMSTART
	v_dot2_f32_f16 v129, v17, v9, v129
	;;#ASMEND
	;;#ASMSTART
	v_dot2_f32_f16 v129, v18, v10, v129
	;;#ASMEND
	;;#ASMSTART
	v_dot2_f32_f16 v129, v19, v11, v129
	;;#ASMEND
	s_waitcnt lgkmcnt(0)
	;;#ASMSTART
	v_dot2_f32_f16 v127, v20, v4, v127
	;;#ASMEND
	;;#ASMSTART
	v_dot2_f32_f16 v127, v21, v5, v127
	;;#ASMEND
	;; [unrolled: 3-line block ×8, first 2 shown]
	ds_load_b128 v[0:3], v81 offset:240
	ds_load_b128 v[4:7], v82 offset:240
	ds_load_b128 v[8:11], v82 offset:496
	ds_load_b128 v[12:15], v81 offset:8944
	ds_load_b128 v[16:19], v81 offset:17648
	ds_load_b128 v[20:23], v81 offset:26352
	s_waitcnt lgkmcnt(4)
	;;#ASMSTART
	v_dot2_f32_f16 v123, v0, v4, v123
	;;#ASMEND
	;;#ASMSTART
	v_dot2_f32_f16 v123, v1, v5, v123
	;;#ASMEND
	;;#ASMSTART
	v_dot2_f32_f16 v123, v2, v6, v123
	;;#ASMEND
	;;#ASMSTART
	v_dot2_f32_f16 v123, v3, v7, v123
	;;#ASMEND
	s_waitcnt lgkmcnt(3)
	;;#ASMSTART
	v_dot2_f32_f16 v124, v0, v8, v124
	;;#ASMEND
	;;#ASMSTART
	v_dot2_f32_f16 v124, v1, v9, v124
	;;#ASMEND
	;;#ASMSTART
	v_dot2_f32_f16 v124, v2, v10, v124
	;;#ASMEND
	;;#ASMSTART
	v_dot2_f32_f16 v124, v3, v11, v124
	;;#ASMEND
	;; [unrolled: 13-line block ×3, first 2 shown]
	;;#ASMSTART
	v_dot2_f32_f16 v126, v12, v8, v126
	;;#ASMEND
	;;#ASMSTART
	v_dot2_f32_f16 v126, v13, v9, v126
	;;#ASMEND
	v_lshlrev_b64 v[69:70], 1, v[69:70]
	;;#ASMSTART
	v_dot2_f32_f16 v126, v14, v10, v126
	;;#ASMEND
	;;#ASMSTART
	v_dot2_f32_f16 v126, v15, v11, v126
	;;#ASMEND
	s_waitcnt lgkmcnt(1)
	;;#ASMSTART
	v_dot2_f32_f16 v130, v16, v4, v130
	;;#ASMEND
	;;#ASMSTART
	v_dot2_f32_f16 v130, v17, v5, v130
	;;#ASMEND
	;; [unrolled: 3-line block ×6, first 2 shown]
	v_add_co_u32 v69, vcc_lo, s40, v69
	;;#ASMSTART
	v_dot2_f32_f16 v129, v18, v10, v129
	;;#ASMEND
	;;#ASMSTART
	v_dot2_f32_f16 v129, v19, v11, v129
	;;#ASMEND
	s_waitcnt lgkmcnt(0)
	;;#ASMSTART
	v_dot2_f32_f16 v127, v20, v4, v127
	;;#ASMEND
	v_add_co_ci_u32_e32 v70, vcc_lo, s41, v70, vcc_lo
	;;#ASMSTART
	v_dot2_f32_f16 v127, v21, v5, v127
	;;#ASMEND
	;;#ASMSTART
	v_dot2_f32_f16 v127, v22, v6, v127
	;;#ASMEND
	;; [unrolled: 3-line block ×7, first 2 shown]
	s_clause 0x3
	flat_load_u16 v143, v[69:70] offset:64
	flat_load_u16 v144, v[69:70] offset:128
	flat_load_u16 v145, v[69:70]
	flat_load_u16 v69, v[69:70] offset:192
	v_mov_b32_e32 v70, v36
	v_cmp_gt_i32_e32 vcc_lo, 32, v79
	s_lshl_b64 s[2:3], s[2:3], 2
	s_waitcnt vmcnt(0) lgkmcnt(0)
	s_add_u32 s8, s20, s2
	s_addc_u32 s9, s21, s3
	v_cndmask_b32_e32 v0, v73, v79, vcc_lo
	v_cmp_gt_i32_e32 vcc_lo, 32, v78
	v_mov_b32_e32 v146, v35
	v_add_co_u32 v5, s4, s8, v61
	v_add_co_u32 v7, s5, s8, v63
	v_cndmask_b32_e32 v1, v73, v78, vcc_lo
	v_cmp_gt_i32_e32 vcc_lo, 32, v77
	v_add_co_u32 v9, s6, s8, v65
	v_add_co_u32 v10, s7, s8, v67
	v_cndmask_b32_e32 v2, v73, v77, vcc_lo
	v_cmp_gt_i32_e32 vcc_lo, 32, v76
	v_lshlrev_b32_e32 v148, 2, v1
	v_add_co_u32 v1, s2, s8, v57
	s_delay_alu instid0(VALU_DEP_4)
	v_lshlrev_b32_e32 v149, 2, v2
	v_lshlrev_b32_e32 v147, 2, v0
	v_cndmask_b32_e32 v3, v73, v76, vcc_lo
	v_cmp_gt_i32_e32 vcc_lo, 32, v75
	s_barrier
	buffer_gl0_inv
	v_lshlrev_b32_e32 v150, 2, v3
	v_cndmask_b32_e32 v4, v73, v75, vcc_lo
	v_add_co_u32 v0, vcc_lo, s8, v55
	v_add_co_u32 v3, s3, s8, v59
	v_add_co_u32 v11, s8, s8, v53
	s_delay_alu instid0(VALU_DEP_1)
	v_add_co_ci_u32_e64 v12, s8, s9, v54, s8
	v_add_co_ci_u32_e32 v13, vcc_lo, s9, v56, vcc_lo
	v_add_co_ci_u32_e64 v14, vcc_lo, s9, v58, s2
	v_add_co_ci_u32_e64 v15, vcc_lo, s9, v60, s3
	;; [unrolled: 1-line block ×6, first 2 shown]
	v_add_co_u32 v35, s7, v10, v100
	v_add_co_u32 v10, s8, v11, v100
	v_add_co_u32 v0, vcc_lo, v0, v100
	v_add_co_u32 v2, s2, v1, v100
	v_add_co_ci_u32_e64 v11, s8, 0, v12, s8
	v_lshlrev_b32_e32 v151, 2, v4
	v_add_co_u32 v4, s3, v3, v100
	v_add_co_ci_u32_e32 v1, vcc_lo, 0, v13, vcc_lo
	v_add_co_u32 v6, s4, v5, v100
	v_add_co_ci_u32_e64 v3, vcc_lo, 0, v14, s2
	v_add_co_u32 v8, s5, v7, v100
	v_add_co_u32 v30, s6, v9, v100
	v_add_co_ci_u32_e64 v5, vcc_lo, 0, v15, s3
	v_add_co_ci_u32_e64 v7, vcc_lo, 0, v16, s4
	;; [unrolled: 1-line block ×5, first 2 shown]
	s_clause 0x7
	global_load_b128 v[10:13], v[10:11], off
	global_load_b128 v[14:17], v[0:1], off
	;; [unrolled: 1-line block ×8, first 2 shown]
	v_cvt_f32_f16_e64 v0, v143
	v_cvt_f32_f16_e64 v1, v144
	;; [unrolled: 1-line block ×3, first 2 shown]
	v_cvt_f32_f16_e32 v3, v69
	s_delay_alu instid0(VALU_DEP_4) | instskip(SKIP_1) | instid1(VALU_DEP_4)
	v_add_f32_e32 v4, v125, v0
	v_add_f32_e32 v0, v126, v0
	;; [unrolled: 1-line block ×3, first 2 shown]
	s_delay_alu instid0(VALU_DEP_4) | instskip(SKIP_1) | instid1(VALU_DEP_4)
	v_add_f32_e32 v7, v128, v3
	v_add_f32_e32 v3, v127, v3
	v_dual_add_f32 v2, v123, v2 :: v_dual_add_f32 v9, 0x40051340, v0
	v_add_f32_e32 v5, v130, v1
	v_dual_add_f32 v1, v129, v1 :: v_dual_add_f32 v8, 0x40051340, v4
	v_add_f32_e32 v31, 0x40051340, v6
	s_delay_alu instid0(VALU_DEP_3) | instskip(NEXT) | instid1(VALU_DEP_3)
	v_dual_add_f32 v30, 0x40051340, v2 :: v_dual_add_f32 v35, 0x40051340, v5
	v_dual_add_f32 v36, 0x40051340, v1 :: v_dual_add_f32 v69, 0x40051340, v3
	s_delay_alu instid0(VALU_DEP_3) | instskip(NEXT) | instid1(VALU_DEP_3)
	v_max3_f32 v9, v70, v31, v9
	v_max3_f32 v8, v146, v30, v8
	s_delay_alu instid0(VALU_DEP_1) | instskip(SKIP_3) | instid1(VALU_DEP_1)
	v_max3_f32 v8, v8, v35, v69
	ds_bpermute_b32 v30, v147, v8
	s_waitcnt lgkmcnt(0)
	v_dual_add_f32 v123, 0x40051340, v7 :: v_dual_max_f32 v30, v30, v30
	v_max3_f32 v9, v9, v36, v123
	s_delay_alu instid0(VALU_DEP_2) | instskip(SKIP_4) | instid1(VALU_DEP_1)
	v_max_f32_e32 v8, v8, v30
	ds_bpermute_b32 v31, v147, v9
	ds_bpermute_b32 v30, v148, v8
	s_waitcnt lgkmcnt(0)
	v_dual_max_f32 v31, v31, v31 :: v_dual_max_f32 v30, v30, v30
	v_dual_max_f32 v9, v9, v31 :: v_dual_max_f32 v8, v8, v30
	ds_bpermute_b32 v31, v148, v9
	ds_bpermute_b32 v30, v149, v8
	s_waitcnt lgkmcnt(0)
	v_dual_max_f32 v31, v31, v31 :: v_dual_max_f32 v30, v30, v30
	s_delay_alu instid0(VALU_DEP_1) | instskip(SKIP_4) | instid1(VALU_DEP_1)
	v_dual_max_f32 v9, v9, v31 :: v_dual_max_f32 v8, v8, v30
	ds_bpermute_b32 v31, v149, v9
	ds_bpermute_b32 v30, v150, v8
	s_waitcnt lgkmcnt(0)
	v_dual_max_f32 v31, v31, v31 :: v_dual_max_f32 v30, v30, v30
	v_dual_max_f32 v9, v9, v31 :: v_dual_max_f32 v8, v8, v30
	ds_bpermute_b32 v31, v150, v9
	ds_bpermute_b32 v30, v151, v8
	s_waitcnt lgkmcnt(0)
	v_dual_max_f32 v31, v31, v31 :: v_dual_max_f32 v30, v30, v30
	s_delay_alu instid0(VALU_DEP_1) | instskip(SKIP_3) | instid1(VALU_DEP_1)
	v_max_f32_e32 v9, v9, v31
	ds_bpermute_b32 v31, v151, v9
	s_waitcnt lgkmcnt(0)
	v_max_f32_e32 v31, v31, v31
	v_dual_max_f32 v35, v8, v30 :: v_dual_max_f32 v36, v9, v31
	s_delay_alu instid0(VALU_DEP_1) | instskip(SKIP_2) | instid1(VALU_DEP_4)
	v_sub_f32_e32 v5, v5, v35
	v_sub_f32_e32 v4, v4, v35
	;; [unrolled: 1-line block ×3, first 2 shown]
	v_dual_sub_f32 v30, v146, v35 :: v_dual_sub_f32 v1, v1, v36
	v_sub_f32_e32 v6, v6, v36
	v_sub_f32_e32 v31, v70, v36
	;; [unrolled: 1-line block ×3, first 2 shown]
	v_dual_mul_f32 v70, 0x3fb8aa3b, v5 :: v_dual_sub_f32 v3, v3, v35
	s_delay_alu instid0(VALU_DEP_4) | instskip(SKIP_3) | instid1(VALU_DEP_4)
	v_dual_mul_f32 v8, 0x3fb8aa3b, v4 :: v_dual_mul_f32 v9, 0x3fb8aa3b, v6
	v_sub_f32_e32 v7, v7, v36
	v_dual_mul_f32 v69, 0x3fb8aa3b, v2 :: v_dual_mul_f32 v126, 0x3fb8aa3b, v1
	v_dual_mul_f32 v125, 0x3fb8aa3b, v0 :: v_dual_mul_f32 v128, 0x3fb8aa3b, v31
	v_fma_f32 v143, 0x3fb8aa3b, v6, -v9
	v_fma_f32 v147, 0x3fb8aa3b, v5, -v70
	v_rndne_f32_e32 v148, v70
	v_dual_mul_f32 v123, 0x3fb8aa3b, v3 :: v_dual_mul_f32 v124, 0x3fb8aa3b, v30
	v_fma_f32 v129, 0x3fb8aa3b, v4, -v8
	v_rndne_f32_e32 v130, v8
	v_rndne_f32_e32 v144, v9
	v_fma_f32 v145, 0x3fb8aa3b, v2, -v69
	v_rndne_f32_e32 v146, v69
	v_rndne_f32_e32 v160, v128
	v_dual_fmac_f32 v143, 0x32a5705f, v6 :: v_dual_sub_f32 v70, v70, v148
	v_fmac_f32_e32 v147, 0x32a5705f, v5
	v_dual_mul_f32 v127, 0x3fb8aa3b, v7 :: v_dual_sub_f32 v8, v8, v130
	v_rndne_f32_e32 v152, v124
	v_rndne_f32_e32 v156, v126
	v_fma_f32 v159, 0x3fb8aa3b, v31, -v128
	v_fmac_f32_e32 v145, 0x32a5705f, v2
	v_dual_sub_f32 v69, v69, v146 :: v_dual_sub_f32 v128, v128, v160
	v_dual_fmac_f32 v129, 0x32a5705f, v4 :: v_dual_add_f32 v70, v70, v147
	v_sub_f32_e32 v9, v9, v144
	v_fma_f32 v151, 0x3fb8aa3b, v30, -v124
	v_fma_f32 v155, 0x3fb8aa3b, v1, -v126
	s_delay_alu instid0(VALU_DEP_4)
	v_add_f32_e32 v8, v8, v129
	v_sub_f32_e32 v124, v124, v152
	v_dual_sub_f32 v126, v126, v156 :: v_dual_add_f32 v9, v9, v143
	v_add_f32_e32 v69, v69, v145
	v_cvt_i32_f32_e32 v144, v144
	v_cvt_i32_f32_e32 v146, v146
	v_exp_f32_e32 v70, v70
	v_exp_f32_e32 v9, v9
	;; [unrolled: 1-line block ×3, first 2 shown]
	v_cvt_i32_f32_e32 v148, v148
	v_cmp_ngt_f32_e32 vcc_lo, 0xc2ce8ed0, v6
	v_cmp_ngt_f32_e64 s2, 0xc2ce8ed0, v2
	v_rndne_f32_e32 v154, v125
	v_cmp_ngt_f32_e64 s3, 0xc2ce8ed0, v5
	v_fma_f32 v149, 0x3fb8aa3b, v3, -v123
	v_rndne_f32_e32 v150, v123
	v_ldexp_f32 v70, v70, v148
	v_ldexp_f32 v9, v9, v144
	v_ldexp_f32 v69, v69, v146
	v_fma_f32 v153, 0x3fb8aa3b, v0, -v125
	v_fma_f32 v157, 0x3fb8aa3b, v7, -v127
	v_rndne_f32_e32 v158, v127
	v_cndmask_b32_e32 v9, 0, v9, vcc_lo
	v_cmp_nlt_f32_e32 vcc_lo, 0x42b17218, v6
	v_cndmask_b32_e64 v69, 0, v69, s2
	v_cmp_nlt_f32_e64 s2, 0x42b17218, v2
	v_sub_f32_e32 v125, v125, v154
	v_cndmask_b32_e64 v2, 0, v70, s3
	v_cndmask_b32_e32 v6, 0x7f800000, v9, vcc_lo
	v_cmp_nlt_f32_e64 s3, 0x42b17218, v5
	v_cndmask_b32_e64 v9, 0x7f800000, v69, s2
	v_fmac_f32_e32 v155, 0x32a5705f, v1
	v_fmac_f32_e32 v149, 0x32a5705f, v3
	;; [unrolled: 1-line block ×4, first 2 shown]
	s_delay_alu instid0(VALU_DEP_4) | instskip(NEXT) | instid1(VALU_DEP_3)
	v_dual_fmac_f32 v153, 0x32a5705f, v0 :: v_dual_add_f32 v126, v126, v155
	v_dual_sub_f32 v123, v123, v150 :: v_dual_add_f32 v124, v124, v151
	v_cndmask_b32_e64 v5, 0x7f800000, v2, s3
	v_fmac_f32_e32 v157, 0x32a5705f, v7
	v_cmp_nlt_f32_e32 vcc_lo, 0x42b17218, v31
	v_sub_f32_e32 v127, v127, v158
	v_dual_add_f32 v123, v123, v149 :: v_dual_add_f32 v128, v128, v159
	v_add_f32_e32 v125, v125, v153
	v_exp_f32_e32 v8, v8
	s_delay_alu instid0(VALU_DEP_3) | instskip(NEXT) | instid1(VALU_DEP_3)
	v_add_f32_e32 v127, v127, v157
	v_exp_f32_e32 v123, v123
	v_exp_f32_e32 v124, v124
	;; [unrolled: 1-line block ×5, first 2 shown]
	v_cvt_i32_f32_e32 v130, v130
	v_cvt_i32_f32_e32 v150, v150
	;; [unrolled: 1-line block ×6, first 2 shown]
	v_ldexp_f32 v8, v8, v130
	v_ldexp_f32 v123, v123, v150
	v_cmp_ngt_f32_e64 s4, 0xc2ce8ed0, v3
	v_ldexp_f32 v124, v124, v152
	v_cmp_ngt_f32_e64 s5, 0xc2ce8ed0, v30
	;; [unrolled: 2-line block ×4, first 2 shown]
	v_cmp_ngt_f32_e64 s10, 0xc2ce8ed0, v4
	v_ldexp_f32 v126, v126, v156
	v_cmp_ngt_f32_e64 s7, 0xc2ce8ed0, v1
	v_cndmask_b32_e64 v70, 0, v123, s4
	v_cndmask_b32_e64 v123, 0, v124, s5
	;; [unrolled: 1-line block ×4, first 2 shown]
	v_cmp_nlt_f32_e64 s5, 0x42b17218, v0
	v_cmp_nlt_f32_e64 s6, 0x42b17218, v1
	v_cndmask_b32_e64 v1, 0, v127, s8
	v_cmp_nlt_f32_e64 s8, 0x42b17218, v4
	v_cmp_nlt_f32_e64 s4, 0x42b17218, v3
	v_cndmask_b32_e64 v0, 0, v126, s7
	v_cmp_nlt_f32_e64 s7, 0x42b17218, v7
	v_cndmask_b32_e64 v7, 0x7f800000, v124, s5
	v_cndmask_b32_e64 v8, 0x7f800000, v8, s8
	;; [unrolled: 1-line block ×5, first 2 shown]
	v_exp_f32_e32 v128, v128
	v_cvt_f16_f32_e32 v0, v8
	v_cvt_f16_f32_e32 v70, v6
	;; [unrolled: 1-line block ×8, first 2 shown]
	v_cvt_i32_f32_e32 v160, v160
	v_pack_b32_f16 v70, v124, v70
	v_pack_b32_f16 v0, v0, v125
	;; [unrolled: 1-line block ×4, first 2 shown]
	v_ldexp_f32 v128, v128, v160
	v_cmp_ngt_f32_e64 s9, 0xc2ce8ed0, v31
	ds_store_2addr_b32 v101, v70, v0 offset1:32
	ds_store_2addr_b32 v101, v1, v69 offset0:64 offset1:96
	s_waitcnt vmcnt(7)
	ds_store_b128 v90, v[10:13]
	s_waitcnt vmcnt(6)
	ds_store_b128 v92, v[14:17]
	;; [unrolled: 2-line block ×8, first 2 shown]
	s_waitcnt lgkmcnt(0)
	s_barrier
	buffer_gl0_inv
	ds_load_2addr_b64 v[10:13], v99 offset1:32
	ds_load_b128 v[14:17], v91
	v_cndmask_b32_e64 v0, 0, v128, s9
	v_cmp_nlt_f32_e64 s2, 0x42b17218, v30
	ds_load_2addr_b64 v[18:21], v99 offset0:64 offset1:96
	ds_load_b128 v[22:25], v91 offset:16
	ds_load_2addr_b64 v[26:29], v99 offset0:128 offset1:160
	v_cndmask_b32_e32 v0, 0x7f800000, v0, vcc_lo
	v_cndmask_b32_e64 v1, 0x7f800000, v123, s2
	s_delay_alu instid0(VALU_DEP_2) | instskip(NEXT) | instid1(VALU_DEP_2)
	v_cvt_f16_f32_e32 v31, v0
	v_cvt_f16_f32_e32 v30, v1
	s_delay_alu instid0(VALU_DEP_2)
	v_pk_mul_f16 v69, v31, v119 op_sel_hi:[0,1]
	s_waitcnt lgkmcnt(3)
	v_pk_mul_f16 v70, v10, v14 op_sel_hi:[1,0]
	v_pk_mul_f16 v10, v10, v14 op_sel:[0,1]
	v_pk_mul_f16 v119, v11, v14 op_sel_hi:[1,0]
	v_pk_fma_f16 v11, v11, v14, v69 op_sel:[0,1,0]
	s_delay_alu instid0(VALU_DEP_4) | instskip(NEXT) | instid1(VALU_DEP_4)
	v_pk_fma_f16 v14, v30, v121, v70 op_sel_hi:[0,1,1]
	v_pk_fma_f16 v10, v31, v120, v10 op_sel_hi:[0,1,1]
	s_delay_alu instid0(VALU_DEP_4) | instskip(NEXT) | instid1(VALU_DEP_4)
	v_pk_fma_f16 v30, v30, v122, v119 op_sel_hi:[0,1,1]
	v_pk_fma_f16 v31, v13, v15, v11 op_sel:[0,1,0]
	ds_load_2addr_b64 v[119:122], v102 offset1:32
	v_pk_fma_f16 v14, v12, v15, v14 op_sel_hi:[1,0,1]
	v_pk_fma_f16 v69, v12, v15, v10 op_sel:[0,1,0]
	v_pk_fma_f16 v15, v13, v15, v30 op_sel_hi:[1,0,1]
	ds_load_2addr_b64 v[10:13], v99 offset0:192 offset1:224
	s_waitcnt lgkmcnt(4)
	v_pk_fma_f16 v30, v19, v16, v31 op_sel:[0,1,0]
	v_pk_fma_f16 v14, v18, v16, v14 op_sel_hi:[1,0,1]
	v_pk_fma_f16 v18, v18, v16, v69 op_sel:[0,1,0]
	v_pk_fma_f16 v15, v19, v16, v15 op_sel_hi:[1,0,1]
	v_mov_b32_e32 v70, v118
	v_pk_fma_f16 v19, v21, v17, v30 op_sel:[0,1,0]
	v_pk_fma_f16 v30, v20, v17, v14 op_sel_hi:[1,0,1]
	v_pk_fma_f16 v18, v20, v17, v18 op_sel:[0,1,0]
	v_pk_fma_f16 v20, v21, v17, v15 op_sel_hi:[1,0,1]
	ds_load_b128 v[14:17], v91 offset:32
	s_waitcnt lgkmcnt(3)
	v_pk_fma_f16 v19, v27, v22, v19 op_sel:[0,1,0]
	v_pk_fma_f16 v21, v26, v22, v30 op_sel_hi:[1,0,1]
	v_pk_fma_f16 v18, v26, v22, v18 op_sel:[0,1,0]
	v_pk_fma_f16 v20, v27, v22, v20 op_sel_hi:[1,0,1]
	s_delay_alu instid0(VALU_DEP_4) | instskip(NEXT) | instid1(VALU_DEP_4)
	v_pk_fma_f16 v22, v29, v23, v19 op_sel:[0,1,0]
	v_pk_fma_f16 v26, v28, v23, v21 op_sel_hi:[1,0,1]
	s_delay_alu instid0(VALU_DEP_4) | instskip(NEXT) | instid1(VALU_DEP_4)
	v_pk_fma_f16 v27, v28, v23, v18 op_sel:[0,1,0]
	v_pk_fma_f16 v23, v29, v23, v20 op_sel_hi:[1,0,1]
	ds_load_2addr_b64 v[18:21], v102 offset0:64 offset1:96
	s_waitcnt lgkmcnt(2)
	v_pk_fma_f16 v22, v11, v24, v22 op_sel:[0,1,0]
	v_pk_fma_f16 v30, v10, v24, v26 op_sel_hi:[1,0,1]
	v_pk_fma_f16 v10, v10, v24, v27 op_sel:[0,1,0]
	v_pk_fma_f16 v11, v11, v24, v23 op_sel_hi:[1,0,1]
	ds_load_2addr_b64 v[26:29], v102 offset0:128 offset1:160
	v_pk_fma_f16 v22, v13, v25, v22 op_sel:[0,1,0]
	v_pk_fma_f16 v23, v12, v25, v30 op_sel_hi:[1,0,1]
	v_pk_fma_f16 v24, v12, v25, v10 op_sel:[0,1,0]
	v_pk_fma_f16 v25, v13, v25, v11 op_sel_hi:[1,0,1]
	ds_load_b128 v[10:13], v91 offset:48
	s_waitcnt lgkmcnt(3)
	v_pk_fma_f16 v22, v120, v14, v22 op_sel:[0,1,0]
	v_pk_fma_f16 v23, v119, v14, v23 op_sel_hi:[1,0,1]
	v_pk_fma_f16 v24, v119, v14, v24 op_sel:[0,1,0]
	v_pk_fma_f16 v14, v120, v14, v25 op_sel_hi:[1,0,1]
	s_delay_alu instid0(VALU_DEP_4) | instskip(NEXT) | instid1(VALU_DEP_4)
	v_pk_fma_f16 v30, v122, v15, v22 op_sel:[0,1,0]
	v_pk_fma_f16 v31, v121, v15, v23 op_sel_hi:[1,0,1]
	s_delay_alu instid0(VALU_DEP_4) | instskip(NEXT) | instid1(VALU_DEP_4)
	v_pk_fma_f16 v69, v121, v15, v24 op_sel:[0,1,0]
	v_pk_fma_f16 v14, v122, v15, v14 op_sel_hi:[1,0,1]
	ds_load_2addr_b64 v[22:25], v102 offset0:192 offset1:224
	s_waitcnt lgkmcnt(3)
	v_pk_fma_f16 v15, v19, v16, v30 op_sel:[0,1,0]
	v_pk_fma_f16 v30, v18, v16, v31 op_sel_hi:[1,0,1]
	v_pk_fma_f16 v18, v18, v16, v69 op_sel:[0,1,0]
	v_pk_fma_f16 v14, v19, v16, v14 op_sel_hi:[1,0,1]
	ds_load_2addr_b64 v[119:122], v103 offset1:32
	v_pk_fma_f16 v19, v21, v17, v15 op_sel:[0,1,0]
	v_pk_fma_f16 v30, v20, v17, v30 op_sel_hi:[1,0,1]
	v_pk_fma_f16 v18, v20, v17, v18 op_sel:[0,1,0]
	v_pk_fma_f16 v20, v21, v17, v14 op_sel_hi:[1,0,1]
	ds_load_b128 v[14:17], v91 offset:64
	s_waitcnt lgkmcnt(3)
	v_pk_fma_f16 v19, v27, v10, v19 op_sel:[0,1,0]
	v_pk_fma_f16 v21, v26, v10, v30 op_sel_hi:[1,0,1]
	v_pk_fma_f16 v18, v26, v10, v18 op_sel:[0,1,0]
	v_pk_fma_f16 v10, v27, v10, v20 op_sel_hi:[1,0,1]
	s_delay_alu instid0(VALU_DEP_4) | instskip(NEXT) | instid1(VALU_DEP_4)
	v_pk_fma_f16 v26, v29, v11, v19 op_sel:[0,1,0]
	v_pk_fma_f16 v27, v28, v11, v21 op_sel_hi:[1,0,1]
	s_delay_alu instid0(VALU_DEP_4) | instskip(NEXT) | instid1(VALU_DEP_4)
	v_pk_fma_f16 v28, v28, v11, v18 op_sel:[0,1,0]
	v_pk_fma_f16 v10, v29, v11, v10 op_sel_hi:[1,0,1]
	ds_load_2addr_b64 v[18:21], v103 offset0:64 offset1:96
	s_waitcnt lgkmcnt(3)
	v_pk_fma_f16 v11, v23, v12, v26 op_sel:[0,1,0]
	v_pk_fma_f16 v30, v22, v12, v27 op_sel_hi:[1,0,1]
	v_pk_fma_f16 v22, v22, v12, v28 op_sel:[0,1,0]
	v_pk_fma_f16 v10, v23, v12, v10 op_sel_hi:[1,0,1]
	ds_load_2addr_b64 v[26:29], v103 offset0:128 offset1:160
	v_pk_fma_f16 v23, v25, v13, v11 op_sel:[0,1,0]
	v_pk_fma_f16 v30, v24, v13, v30 op_sel_hi:[1,0,1]
	v_pk_fma_f16 v22, v24, v13, v22 op_sel:[0,1,0]
	v_pk_fma_f16 v24, v25, v13, v10 op_sel_hi:[1,0,1]
	ds_load_b128 v[10:13], v91 offset:80
	s_waitcnt lgkmcnt(3)
	v_pk_fma_f16 v23, v120, v14, v23 op_sel:[0,1,0]
	v_pk_fma_f16 v25, v119, v14, v30 op_sel_hi:[1,0,1]
	v_pk_fma_f16 v22, v119, v14, v22 op_sel:[0,1,0]
	v_pk_fma_f16 v14, v120, v14, v24 op_sel_hi:[1,0,1]
	s_delay_alu instid0(VALU_DEP_4) | instskip(NEXT) | instid1(VALU_DEP_4)
	v_pk_fma_f16 v30, v122, v15, v23 op_sel:[0,1,0]
	v_pk_fma_f16 v31, v121, v15, v25 op_sel_hi:[1,0,1]
	s_delay_alu instid0(VALU_DEP_4) | instskip(NEXT) | instid1(VALU_DEP_4)
	v_pk_fma_f16 v69, v121, v15, v22 op_sel:[0,1,0]
	v_pk_fma_f16 v14, v122, v15, v14 op_sel_hi:[1,0,1]
	ds_load_2addr_b64 v[22:25], v103 offset0:192 offset1:224
	s_waitcnt lgkmcnt(3)
	v_pk_fma_f16 v15, v19, v16, v30 op_sel:[0,1,0]
	v_pk_fma_f16 v30, v18, v16, v31 op_sel_hi:[1,0,1]
	v_pk_fma_f16 v18, v18, v16, v69 op_sel:[0,1,0]
	v_pk_fma_f16 v14, v19, v16, v14 op_sel_hi:[1,0,1]
	ds_load_2addr_b64 v[119:122], v104 offset1:32
	;; [unrolled: 46-line block ×9, first 2 shown]
	v_pk_fma_f16 v19, v21, v17, v15 op_sel:[0,1,0]
	v_pk_fma_f16 v30, v20, v17, v30 op_sel_hi:[1,0,1]
	v_pk_fma_f16 v18, v20, v17, v18 op_sel:[0,1,0]
	v_pk_fma_f16 v20, v21, v17, v14 op_sel_hi:[1,0,1]
	ds_load_b128 v[14:17], v91 offset:320
	s_waitcnt lgkmcnt(3)
	v_pk_fma_f16 v19, v27, v10, v19 op_sel:[0,1,0]
	v_pk_fma_f16 v21, v26, v10, v30 op_sel_hi:[1,0,1]
	v_pk_fma_f16 v18, v26, v10, v18 op_sel:[0,1,0]
	v_pk_fma_f16 v10, v27, v10, v20 op_sel_hi:[1,0,1]
	v_mov_b32_e32 v69, v117
	v_pk_fma_f16 v26, v29, v11, v19 op_sel:[0,1,0]
	v_pk_fma_f16 v27, v28, v11, v21 op_sel_hi:[1,0,1]
	v_pk_fma_f16 v28, v28, v11, v18 op_sel:[0,1,0]
	v_pk_fma_f16 v10, v29, v11, v10 op_sel_hi:[1,0,1]
	ds_load_2addr_b64 v[18:21], v111 offset0:64 offset1:96
	s_waitcnt lgkmcnt(3)
	v_pk_fma_f16 v11, v23, v12, v26 op_sel:[0,1,0]
	v_pk_fma_f16 v30, v22, v12, v27 op_sel_hi:[1,0,1]
	v_pk_fma_f16 v22, v22, v12, v28 op_sel:[0,1,0]
	v_pk_fma_f16 v10, v23, v12, v10 op_sel_hi:[1,0,1]
	ds_load_2addr_b64 v[26:29], v111 offset0:128 offset1:160
	v_pk_fma_f16 v23, v25, v13, v11 op_sel:[0,1,0]
	v_pk_fma_f16 v30, v24, v13, v30 op_sel_hi:[1,0,1]
	v_pk_fma_f16 v22, v24, v13, v22 op_sel:[0,1,0]
	v_pk_fma_f16 v24, v25, v13, v10 op_sel_hi:[1,0,1]
	ds_load_b128 v[10:13], v91 offset:336
	s_waitcnt lgkmcnt(3)
	v_pk_fma_f16 v23, v120, v14, v23 op_sel:[0,1,0]
	v_pk_fma_f16 v25, v119, v14, v30 op_sel_hi:[1,0,1]
	v_pk_fma_f16 v22, v119, v14, v22 op_sel:[0,1,0]
	v_pk_fma_f16 v14, v120, v14, v24 op_sel_hi:[1,0,1]
	s_delay_alu instid0(VALU_DEP_4) | instskip(NEXT) | instid1(VALU_DEP_4)
	v_pk_fma_f16 v30, v122, v15, v23 op_sel:[0,1,0]
	v_pk_fma_f16 v31, v121, v15, v25 op_sel_hi:[1,0,1]
	s_delay_alu instid0(VALU_DEP_4) | instskip(NEXT) | instid1(VALU_DEP_4)
	v_pk_fma_f16 v117, v121, v15, v22 op_sel:[0,1,0]
	v_pk_fma_f16 v14, v122, v15, v14 op_sel_hi:[1,0,1]
	ds_load_2addr_b64 v[22:25], v111 offset0:192 offset1:224
	s_waitcnt lgkmcnt(3)
	v_pk_fma_f16 v15, v19, v16, v30 op_sel:[0,1,0]
	v_pk_fma_f16 v30, v18, v16, v31 op_sel_hi:[1,0,1]
	v_pk_fma_f16 v18, v18, v16, v117 op_sel:[0,1,0]
	v_pk_fma_f16 v14, v19, v16, v14 op_sel_hi:[1,0,1]
	ds_load_2addr_b64 v[117:120], v112 offset1:32
	v_pk_fma_f16 v19, v21, v17, v15 op_sel:[0,1,0]
	v_pk_fma_f16 v30, v20, v17, v30 op_sel_hi:[1,0,1]
	v_pk_fma_f16 v18, v20, v17, v18 op_sel:[0,1,0]
	v_pk_fma_f16 v20, v21, v17, v14 op_sel_hi:[1,0,1]
	ds_load_b128 v[14:17], v91 offset:352
	s_waitcnt lgkmcnt(3)
	v_pk_fma_f16 v19, v27, v10, v19 op_sel:[0,1,0]
	v_pk_fma_f16 v21, v26, v10, v30 op_sel_hi:[1,0,1]
	v_pk_fma_f16 v18, v26, v10, v18 op_sel:[0,1,0]
	v_pk_fma_f16 v10, v27, v10, v20 op_sel_hi:[1,0,1]
	v_add_f32_e32 v30, v9, v8
	v_pk_fma_f16 v19, v29, v11, v19 op_sel:[0,1,0]
	v_pk_fma_f16 v20, v28, v11, v21 op_sel_hi:[1,0,1]
	v_pk_fma_f16 v18, v28, v11, v18 op_sel:[0,1,0]
	v_pk_fma_f16 v21, v29, v11, v10 op_sel_hi:[1,0,1]
	ds_load_2addr_b64 v[8:11], v112 offset0:64 offset1:96
	s_waitcnt lgkmcnt(3)
	v_pk_fma_f16 v26, v23, v12, v19 op_sel:[0,1,0]
	v_pk_fma_f16 v27, v22, v12, v20 op_sel_hi:[1,0,1]
	v_pk_fma_f16 v22, v22, v12, v18 op_sel:[0,1,0]
	v_pk_fma_f16 v12, v23, v12, v21 op_sel_hi:[1,0,1]
	ds_load_2addr_b64 v[18:21], v112 offset0:128 offset1:160
	v_pk_fma_f16 v26, v25, v13, v26 op_sel:[0,1,0]
	v_pk_fma_f16 v27, v24, v13, v27 op_sel_hi:[1,0,1]
	v_pk_fma_f16 v28, v24, v13, v22 op_sel:[0,1,0]
	v_pk_fma_f16 v12, v25, v13, v12 op_sel_hi:[1,0,1]
	ds_load_b128 v[22:25], v91 offset:368
	s_waitcnt lgkmcnt(3)
	v_pk_fma_f16 v13, v118, v14, v26 op_sel:[0,1,0]
	v_pk_fma_f16 v26, v117, v14, v27 op_sel_hi:[1,0,1]
	v_pk_fma_f16 v27, v117, v14, v28 op_sel:[0,1,0]
	v_pk_fma_f16 v12, v118, v14, v12 op_sel_hi:[1,0,1]
	v_add_f32_e32 v31, v6, v7
	v_pk_fma_f16 v6, v120, v15, v13 op_sel:[0,1,0]
	v_pk_fma_f16 v7, v119, v15, v26 op_sel_hi:[1,0,1]
	v_pk_fma_f16 v26, v119, v15, v27 op_sel:[0,1,0]
	v_pk_fma_f16 v27, v120, v15, v12 op_sel_hi:[1,0,1]
	ds_load_2addr_b64 v[12:15], v112 offset0:192 offset1:224
	s_waitcnt lgkmcnt(3)
	v_pk_fma_f16 v28, v9, v16, v6 op_sel:[0,1,0]
	v_pk_fma_f16 v29, v8, v16, v7 op_sel_hi:[1,0,1]
	v_pk_fma_f16 v26, v8, v16, v26 op_sel:[0,1,0]
	v_pk_fma_f16 v16, v9, v16, v27 op_sel_hi:[1,0,1]
	ds_load_2addr_b64 v[6:9], v113 offset1:32
	v_pk_fma_f16 v117, v11, v17, v28 op_sel:[0,1,0]
	v_pk_fma_f16 v118, v10, v17, v29 op_sel_hi:[1,0,1]
	v_pk_fma_f16 v10, v10, v17, v26 op_sel:[0,1,0]
	ds_load_b128 v[26:29], v91 offset:384
	v_pk_fma_f16 v11, v11, v17, v16 op_sel_hi:[1,0,1]
	s_waitcnt lgkmcnt(3)
	v_pk_fma_f16 v16, v19, v22, v117 op_sel:[0,1,0]
	v_pk_fma_f16 v17, v18, v22, v118 op_sel_hi:[1,0,1]
	v_pk_fma_f16 v10, v18, v22, v10 op_sel:[0,1,0]
	v_add_f32_e32 v30, v5, v30
	v_pk_fma_f16 v11, v19, v22, v11 op_sel_hi:[1,0,1]
	v_pk_fma_f16 v5, v21, v23, v16 op_sel:[0,1,0]
	v_pk_fma_f16 v22, v20, v23, v17 op_sel_hi:[1,0,1]
	v_pk_fma_f16 v10, v20, v23, v10 op_sel:[0,1,0]
	ds_load_2addr_b64 v[16:19], v113 offset0:64 offset1:96
	v_pk_fma_f16 v11, v21, v23, v11 op_sel_hi:[1,0,1]
	s_waitcnt lgkmcnt(3)
	v_pk_fma_f16 v5, v13, v24, v5 op_sel:[0,1,0]
	v_pk_fma_f16 v20, v12, v24, v22 op_sel_hi:[1,0,1]
	v_pk_fma_f16 v21, v12, v24, v10 op_sel:[0,1,0]
	v_add_f32_e32 v31, v4, v31
	v_pk_fma_f16 v22, v13, v24, v11 op_sel_hi:[1,0,1]
	v_pk_fma_f16 v5, v15, v25, v5 op_sel:[0,1,0]
	v_pk_fma_f16 v24, v14, v25, v20 op_sel_hi:[1,0,1]
	v_pk_fma_f16 v14, v14, v25, v21 op_sel:[0,1,0]
	ds_load_2addr_b64 v[10:13], v113 offset0:128 offset1:160
	v_pk_fma_f16 v15, v15, v25, v22 op_sel_hi:[1,0,1]
	ds_load_b128 v[20:23], v91 offset:400
	s_waitcnt lgkmcnt(3)
	v_pk_fma_f16 v5, v7, v26, v5 op_sel:[0,1,0]
	v_pk_fma_f16 v24, v6, v26, v24 op_sel_hi:[1,0,1]
	v_pk_fma_f16 v6, v6, v26, v14 op_sel:[0,1,0]
	v_pk_fma_f16 v7, v7, v26, v15 op_sel_hi:[1,0,1]
	v_add_f32_e32 v122, v2, v31
	v_pk_fma_f16 v14, v9, v27, v5 op_sel:[0,1,0]
	v_pk_fma_f16 v15, v8, v27, v24 op_sel_hi:[1,0,1]
	v_pk_fma_f16 v8, v8, v27, v6 op_sel:[0,1,0]
	v_pk_fma_f16 v9, v9, v27, v7 op_sel_hi:[1,0,1]
	ds_load_2addr_b64 v[4:7], v113 offset0:192 offset1:224
	s_waitcnt lgkmcnt(3)
	v_pk_fma_f16 v24, v17, v28, v14 op_sel:[0,1,0]
	v_pk_fma_f16 v25, v16, v28, v15 op_sel_hi:[1,0,1]
	v_pk_fma_f16 v8, v16, v28, v8 op_sel:[0,1,0]
	v_pk_fma_f16 v9, v17, v28, v9 op_sel_hi:[1,0,1]
	ds_load_2addr_b64 v[14:17], v114 offset1:32
	v_pk_fma_f16 v28, v19, v29, v24 op_sel:[0,1,0]
	v_pk_fma_f16 v117, v18, v29, v25 op_sel_hi:[1,0,1]
	ds_load_b128 v[24:27], v91 offset:416
	v_pk_fma_f16 v8, v18, v29, v8 op_sel:[0,1,0]
	v_pk_fma_f16 v9, v19, v29, v9 op_sel_hi:[1,0,1]
	s_waitcnt lgkmcnt(3)
	v_pk_fma_f16 v18, v11, v20, v28 op_sel:[0,1,0]
	v_pk_fma_f16 v19, v10, v20, v117 op_sel_hi:[1,0,1]
	v_add_f32_e32 v117, v3, v30
	v_pk_fma_f16 v8, v10, v20, v8 op_sel:[0,1,0]
	v_pk_fma_f16 v9, v11, v20, v9 op_sel_hi:[1,0,1]
	v_pk_fma_f16 v3, v13, v21, v18 op_sel:[0,1,0]
	v_pk_fma_f16 v18, v12, v21, v19 op_sel_hi:[1,0,1]
	ds_load_2addr_b64 v[118:121], v116 offset0:64 offset1:96
	v_pk_fma_f16 v12, v12, v21, v8 op_sel:[0,1,0]
	v_pk_fma_f16 v13, v13, v21, v9 op_sel_hi:[1,0,1]
	ds_load_2addr_b64 v[8:11], v114 offset0:64 offset1:96
	s_waitcnt lgkmcnt(4)
	v_pk_fma_f16 v3, v5, v22, v3 op_sel:[0,1,0]
	v_pk_fma_f16 v28, v4, v22, v18 op_sel_hi:[1,0,1]
	v_pk_fma_f16 v4, v4, v22, v12 op_sel:[0,1,0]
	v_pk_fma_f16 v5, v5, v22, v13 op_sel_hi:[1,0,1]
	ds_load_2addr_b64 v[18:21], v114 offset0:128 offset1:160
	v_pk_fma_f16 v12, v7, v23, v3 op_sel:[0,1,0]
	v_pk_fma_f16 v13, v6, v23, v28 op_sel_hi:[1,0,1]
	v_pk_fma_f16 v22, v6, v23, v4 op_sel:[0,1,0]
	v_pk_fma_f16 v7, v7, v23, v5 op_sel_hi:[1,0,1]
	ds_load_b128 v[3:6], v91 offset:432
	s_waitcnt lgkmcnt(4)
	v_pk_fma_f16 v12, v15, v24, v12 op_sel:[0,1,0]
	v_pk_fma_f16 v13, v14, v24, v13 op_sel_hi:[1,0,1]
	v_pk_fma_f16 v14, v14, v24, v22 op_sel:[0,1,0]
	v_pk_fma_f16 v7, v15, v24, v7 op_sel_hi:[1,0,1]
	v_fmac_f32_e32 v117, v69, v1
	v_pk_fma_f16 v2, v17, v25, v12 op_sel:[0,1,0]
	v_pk_fma_f16 v22, v16, v25, v13 op_sel_hi:[1,0,1]
	v_pk_fma_f16 v16, v16, v25, v14 op_sel:[0,1,0]
	v_pk_fma_f16 v7, v17, v25, v7 op_sel_hi:[1,0,1]
	ds_load_2addr_b64 v[12:15], v114 offset0:192 offset1:224
	s_waitcnt lgkmcnt(3)
	v_pk_fma_f16 v2, v9, v26, v2 op_sel:[0,1,0]
	v_pk_fma_f16 v17, v8, v26, v22 op_sel_hi:[1,0,1]
	v_pk_fma_f16 v8, v8, v26, v16 op_sel:[0,1,0]
	v_pk_fma_f16 v7, v9, v26, v7 op_sel_hi:[1,0,1]
	ds_load_2addr_b64 v[22:25], v115 offset1:32
	v_pk_fma_f16 v2, v11, v27, v2 op_sel:[0,1,0]
	v_pk_fma_f16 v16, v10, v27, v17 op_sel_hi:[1,0,1]
	v_pk_fma_f16 v17, v10, v27, v8 op_sel:[0,1,0]
	v_pk_fma_f16 v11, v11, v27, v7 op_sel_hi:[1,0,1]
	ds_load_b128 v[7:10], v91 offset:448
	s_waitcnt lgkmcnt(3)
	v_pk_fma_f16 v2, v19, v3, v2 op_sel:[0,1,0]
	v_pk_fma_f16 v26, v18, v3, v16 op_sel_hi:[1,0,1]
	v_pk_fma_f16 v27, v18, v3, v17 op_sel:[0,1,0]
	v_pk_fma_f16 v3, v19, v3, v11 op_sel_hi:[1,0,1]
	ds_load_2addr_b64 v[16:19], v115 offset0:64 offset1:96
	v_pk_fma_f16 v2, v21, v4, v2 op_sel:[0,1,0]
	v_pk_fma_f16 v11, v20, v4, v26 op_sel_hi:[1,0,1]
	v_pk_fma_f16 v20, v20, v4, v27 op_sel:[0,1,0]
	v_pk_fma_f16 v3, v21, v4, v3 op_sel_hi:[1,0,1]
	ds_load_2addr_b64 v[26:29], v115 offset0:128 offset1:160
	s_waitcnt lgkmcnt(4)
	v_pk_fma_f16 v21, v13, v5, v2 op_sel:[0,1,0]
	v_pk_fma_f16 v11, v12, v5, v11 op_sel_hi:[1,0,1]
	v_pk_fma_f16 v12, v12, v5, v20 op_sel:[0,1,0]
	v_pk_fma_f16 v13, v13, v5, v3 op_sel_hi:[1,0,1]
	ds_load_b128 v[2:5], v91 offset:464
	v_pk_fma_f16 v20, v15, v6, v21 op_sel:[0,1,0]
	v_pk_fma_f16 v21, v14, v6, v11 op_sel_hi:[1,0,1]
	v_pk_fma_f16 v30, v14, v6, v12 op_sel:[0,1,0]
	v_pk_fma_f16 v6, v15, v6, v13 op_sel_hi:[1,0,1]
	ds_load_2addr_b64 v[11:14], v115 offset0:192 offset1:224
	s_waitcnt lgkmcnt(4)
	v_pk_fma_f16 v15, v23, v7, v20 op_sel:[0,1,0]
	v_pk_fma_f16 v31, v22, v7, v21 op_sel_hi:[1,0,1]
	v_pk_fma_f16 v30, v22, v7, v30 op_sel:[0,1,0]
	v_pk_fma_f16 v6, v23, v7, v6 op_sel_hi:[1,0,1]
	ds_load_2addr_b64 v[20:23], v116 offset1:32
	v_pk_fma_f16 v7, v25, v8, v15 op_sel:[0,1,0]
	v_pk_fma_f16 v15, v24, v8, v31 op_sel_hi:[1,0,1]
	v_pk_fma_f16 v24, v24, v8, v30 op_sel:[0,1,0]
	v_pk_fma_f16 v6, v25, v8, v6 op_sel_hi:[1,0,1]
	s_waitcnt lgkmcnt(4)
	v_pk_fma_f16 v25, v17, v9, v7 op_sel:[0,1,0]
	v_pk_fma_f16 v15, v16, v9, v15 op_sel_hi:[1,0,1]
	v_pk_fma_f16 v16, v16, v9, v24 op_sel:[0,1,0]
	v_pk_fma_f16 v17, v17, v9, v6 op_sel_hi:[1,0,1]
	ds_load_2addr_b64 v[6:9], v116 offset0:128 offset1:160
	v_pk_fma_f16 v24, v19, v10, v25 op_sel:[0,1,0]
	v_pk_fma_f16 v25, v18, v10, v15 op_sel_hi:[1,0,1]
	v_pk_fma_f16 v30, v18, v10, v16 op_sel:[0,1,0]
	v_pk_fma_f16 v10, v19, v10, v17 op_sel_hi:[1,0,1]
	ds_load_b128 v[15:18], v91 offset:480
	s_waitcnt lgkmcnt(4)
	v_pk_fma_f16 v19, v27, v2, v24 op_sel:[0,1,0]
	v_pk_fma_f16 v31, v26, v2, v25 op_sel_hi:[1,0,1]
	v_pk_fma_f16 v30, v26, v2, v30 op_sel:[0,1,0]
	v_pk_fma_f16 v2, v27, v2, v10 op_sel_hi:[1,0,1]
	ds_load_b128 v[24:27], v91 offset:496
	v_pk_fma_f16 v10, v29, v3, v19 op_sel:[0,1,0]
	v_pk_fma_f16 v19, v28, v3, v31 op_sel_hi:[1,0,1]
	v_pk_fma_f16 v123, v28, v3, v30 op_sel:[0,1,0]
	v_pk_fma_f16 v2, v29, v3, v2 op_sel_hi:[1,0,1]
	ds_load_2addr_b64 v[28:31], v116 offset0:192 offset1:224
	s_waitcnt lgkmcnt(5)
	v_pk_fma_f16 v3, v12, v4, v10 op_sel:[0,1,0]
	v_pk_fma_f16 v10, v11, v4, v19 op_sel_hi:[1,0,1]
	v_pk_fma_f16 v11, v11, v4, v123 op_sel:[0,1,0]
	v_pk_fma_f16 v2, v12, v4, v2 op_sel_hi:[1,0,1]
	s_waitcnt lgkmcnt(0)
	v_pk_fma_f16 v3, v14, v5, v3 op_sel:[0,1,0]
	v_pk_fma_f16 v4, v13, v5, v10 op_sel_hi:[1,0,1]
	v_pk_fma_f16 v10, v13, v5, v11 op_sel:[0,1,0]
	v_pk_fma_f16 v2, v14, v5, v2 op_sel_hi:[1,0,1]
	s_barrier
	v_pk_fma_f16 v3, v21, v15, v3 op_sel:[0,1,0]
	v_pk_fma_f16 v4, v20, v15, v4 op_sel_hi:[1,0,1]
	v_pk_fma_f16 v5, v20, v15, v10 op_sel:[0,1,0]
	v_pk_fma_f16 v2, v21, v15, v2 op_sel_hi:[1,0,1]
	buffer_gl0_inv
	v_pk_fma_f16 v3, v23, v16, v3 op_sel:[0,1,0]
	v_pk_fma_f16 v4, v22, v16, v4 op_sel_hi:[1,0,1]
	v_pk_fma_f16 v5, v22, v16, v5 op_sel:[0,1,0]
	v_pk_fma_f16 v2, v23, v16, v2 op_sel_hi:[1,0,1]
	s_load_b32 s2, s[12:13], 0x4
	v_pk_fma_f16 v3, v119, v17, v3 op_sel:[0,1,0]
	v_pk_fma_f16 v4, v118, v17, v4 op_sel_hi:[1,0,1]
	v_pk_fma_f16 v5, v118, v17, v5 op_sel:[0,1,0]
	v_pk_fma_f16 v2, v119, v17, v2 op_sel_hi:[1,0,1]
	v_mov_b32_e32 v118, v122
	v_pk_fma_f16 v1, v121, v18, v3 op_sel:[0,1,0]
	v_pk_fma_f16 v3, v120, v18, v4 op_sel_hi:[1,0,1]
	v_pk_fma_f16 v4, v120, v18, v5 op_sel:[0,1,0]
	v_pk_fma_f16 v2, v121, v18, v2 op_sel_hi:[1,0,1]
	v_fmac_f32_e32 v118, v70, v0
	v_pk_fma_f16 v1, v7, v24, v1 op_sel:[0,1,0]
	v_pk_fma_f16 v3, v6, v24, v3 op_sel_hi:[1,0,1]
	v_pk_fma_f16 v4, v6, v24, v4 op_sel:[0,1,0]
	v_pk_fma_f16 v2, v7, v24, v2 op_sel_hi:[1,0,1]
	s_delay_alu instid0(VALU_DEP_4) | instskip(NEXT) | instid1(VALU_DEP_4)
	v_pk_fma_f16 v0, v9, v25, v1 op_sel:[0,1,0]
	v_pk_fma_f16 v1, v8, v25, v3 op_sel_hi:[1,0,1]
	s_delay_alu instid0(VALU_DEP_4) | instskip(NEXT) | instid1(VALU_DEP_4)
	v_pk_fma_f16 v3, v8, v25, v4 op_sel:[0,1,0]
	v_pk_fma_f16 v2, v9, v25, v2 op_sel_hi:[1,0,1]
	s_waitcnt lgkmcnt(0)
	s_lshl_b32 s2, s2, 7
	v_pk_fma_f16 v0, v29, v26, v0 op_sel:[0,1,0]
	v_pk_fma_f16 v1, v28, v26, v1 op_sel_hi:[1,0,1]
	v_pk_fma_f16 v3, v28, v26, v3 op_sel:[0,1,0]
	v_pk_fma_f16 v2, v29, v26, v2 op_sel_hi:[1,0,1]
	s_add_i32 s16, s2, s16
	v_pk_fma_f16 v119, v31, v27, v0 op_sel:[0,1,0]
	v_pk_fma_f16 v121, v30, v27, v1 op_sel_hi:[1,0,1]
	v_pk_fma_f16 v120, v30, v27, v3 op_sel:[0,1,0]
	v_pk_fma_f16 v122, v31, v27, v2 op_sel_hi:[1,0,1]
	s_cmp_ge_i32 s16, s34
	s_cbranch_scc0 .LBB9_9
; %bb.10:
	v_mov_b32_e32 v0, v73
.LBB9_11:
	v_cmp_lt_i32_e32 vcc_lo, v79, v74
	s_cmp_lg_u64 s[24:25], 0
	s_cselect_b32 s2, -1, 0
	s_cmp_eq_u32 s14, 0
	v_cndmask_b32_e32 v1, v0, v79, vcc_lo
	v_cmp_lt_i32_e32 vcc_lo, v78, v74
	s_cselect_b32 s3, -1, 0
	s_delay_alu instid0(SALU_CYCLE_1) | instskip(NEXT) | instid1(VALU_DEP_2)
	s_and_b32 s2, s3, s2
	v_lshlrev_b32_e32 v1, 2, v1
	v_cndmask_b32_e32 v3, v0, v78, vcc_lo
	v_cmp_lt_i32_e32 vcc_lo, v77, v74
	ds_bpermute_b32 v2, v1, v117
	s_waitcnt lgkmcnt(0)
	v_dual_add_f32 v2, v117, v2 :: v_dual_lshlrev_b32 v3, 2, v3
	ds_bpermute_b32 v4, v3, v2
	s_waitcnt lgkmcnt(0)
	v_add_f32_e32 v2, v2, v4
	ds_bpermute_b32 v1, v1, v118
	v_cndmask_b32_e32 v5, v0, v77, vcc_lo
	v_cmp_lt_i32_e32 vcc_lo, v76, v74
	s_delay_alu instid0(VALU_DEP_2)
	v_lshlrev_b32_e32 v5, 2, v5
	s_waitcnt lgkmcnt(0)
	v_add_f32_e32 v1, v118, v1
	ds_bpermute_b32 v3, v3, v1
	s_waitcnt lgkmcnt(0)
	v_add_f32_e32 v1, v1, v3
	ds_bpermute_b32 v3, v5, v2
	ds_bpermute_b32 v4, v5, v1
	v_cndmask_b32_e32 v5, v0, v76, vcc_lo
	v_cmp_lt_i32_e32 vcc_lo, v75, v74
	s_delay_alu instid0(VALU_DEP_2) | instskip(SKIP_1) | instid1(VALU_DEP_1)
	v_dual_cndmask_b32 v0, v0, v75 :: v_dual_lshlrev_b32 v5, 2, v5
	s_and_b32 vcc_lo, exec_lo, s2
	v_lshlrev_b32_e32 v0, 2, v0
	s_waitcnt lgkmcnt(0)
	v_dual_add_f32 v2, v2, v3 :: v_dual_add_f32 v1, v1, v4
	ds_bpermute_b32 v3, v5, v2
	ds_bpermute_b32 v4, v5, v1
	s_waitcnt lgkmcnt(0)
	v_dual_add_f32 v2, v2, v3 :: v_dual_add_f32 v1, v1, v4
	ds_bpermute_b32 v3, v0, v2
	ds_bpermute_b32 v4, v0, v1
	s_waitcnt lgkmcnt(0)
	v_dual_add_f32 v0, v2, v3 :: v_dual_add_f32 v1, v1, v4
	s_cbranch_vccz .LBB9_14
; %bb.12:
	v_add_nc_u32_e32 v2, s15, v71
	s_delay_alu instid0(VALU_DEP_1) | instskip(NEXT) | instid1(VALU_DEP_1)
	v_ashrrev_i32_e32 v3, 31, v2
	v_lshlrev_b64 v[2:3], 2, v[2:3]
	s_delay_alu instid0(VALU_DEP_1) | instskip(NEXT) | instid1(VALU_DEP_2)
	v_add_co_u32 v2, vcc_lo, s24, v2
	v_add_co_ci_u32_e32 v3, vcc_lo, s25, v3, vcc_lo
	global_load_b64 v[2:3], v[2:3], off
	v_max_f32_e32 v4, v35, v35
	s_waitcnt vmcnt(0)
	v_dual_max_f32 v6, v36, v36 :: v_dual_max_f32 v7, v3, v3
	v_max_f32_e32 v5, v2, v2
	s_delay_alu instid0(VALU_DEP_1) | instskip(NEXT) | instid1(VALU_DEP_1)
	v_dual_max_f32 v4, v4, v5 :: v_dual_max_f32 v5, v6, v7
	v_dual_sub_f32 v2, v2, v4 :: v_dual_sub_f32 v3, v3, v5
	v_dual_sub_f32 v6, v35, v4 :: v_dual_sub_f32 v7, v36, v5
	s_delay_alu instid0(VALU_DEP_2) | instskip(NEXT) | instid1(VALU_DEP_2)
	v_dual_mov_b32 v36, v5 :: v_dual_mul_f32 v9, 0x3fb8aa3b, v2
	v_dual_mul_f32 v11, 0x3fb8aa3b, v3 :: v_dual_mul_f32 v8, 0x3fb8aa3b, v6
	v_cmp_ngt_f32_e32 vcc_lo, 0xc2ce8ed0, v6
	v_mov_b32_e32 v35, v4
	s_delay_alu instid0(VALU_DEP_4) | instskip(NEXT) | instid1(VALU_DEP_4)
	v_rndne_f32_e32 v15, v9
	v_rndne_f32_e32 v19, v11
	v_fma_f32 v12, 0x3fb8aa3b, v6, -v8
	v_rndne_f32_e32 v13, v8
	v_fma_f32 v14, 0x3fb8aa3b, v2, -v9
	v_fma_f32 v18, 0x3fb8aa3b, v3, -v11
	s_delay_alu instid0(VALU_DEP_4) | instskip(NEXT) | instid1(VALU_DEP_4)
	v_dual_sub_f32 v9, v9, v15 :: v_dual_fmac_f32 v12, 0x32a5705f, v6
	v_dual_sub_f32 v8, v8, v13 :: v_dual_sub_f32 v11, v11, v19
	s_delay_alu instid0(VALU_DEP_3) | instskip(NEXT) | instid1(VALU_DEP_2)
	v_fmac_f32_e32 v18, 0x32a5705f, v3
	v_add_f32_e32 v8, v8, v12
	v_cvt_i32_f32_e32 v12, v13
	v_cvt_i32_f32_e32 v13, v15
	;; [unrolled: 1-line block ×3, first 2 shown]
	v_add_f32_e32 v11, v11, v18
	v_exp_f32_e32 v8, v8
	s_delay_alu instid0(VALU_DEP_1) | instskip(SKIP_3) | instid1(VALU_DEP_2)
	v_exp_f32_e32 v11, v11
	s_waitcnt_depctr 0xfff
	v_ldexp_f32 v8, v8, v12
	v_ldexp_f32 v11, v11, v15
	v_cndmask_b32_e32 v8, 0, v8, vcc_lo
	v_cmp_ngt_f32_e32 vcc_lo, 0xc2ce8ed0, v2
	v_fmac_f32_e32 v14, 0x32a5705f, v2
	s_delay_alu instid0(VALU_DEP_1) | instskip(NEXT) | instid1(VALU_DEP_1)
	v_dual_mul_f32 v10, 0x3fb8aa3b, v7 :: v_dual_add_f32 v9, v9, v14
	v_fma_f32 v16, 0x3fb8aa3b, v7, -v10
	v_rndne_f32_e32 v17, v10
	s_delay_alu instid0(VALU_DEP_3) | instskip(NEXT) | instid1(VALU_DEP_2)
	v_exp_f32_e32 v9, v9
	v_fmac_f32_e32 v16, 0x32a5705f, v7
	s_delay_alu instid0(VALU_DEP_2) | instskip(SKIP_1) | instid1(VALU_DEP_2)
	v_sub_f32_e32 v10, v10, v17
	v_cvt_i32_f32_e32 v14, v17
	v_add_f32_e32 v10, v10, v16
	s_waitcnt_depctr 0xfff
	v_ldexp_f32 v9, v9, v13
	v_exp_f32_e32 v10, v10
	s_delay_alu instid0(VALU_DEP_1) | instskip(SKIP_3) | instid1(VALU_DEP_1)
	v_cndmask_b32_e32 v9, 0, v9, vcc_lo
	v_cmp_ngt_f32_e32 vcc_lo, 0xc2ce8ed0, v7
	s_waitcnt_depctr 0xfff
	v_ldexp_f32 v10, v10, v14
	v_cndmask_b32_e32 v10, 0, v10, vcc_lo
	v_cmp_ngt_f32_e32 vcc_lo, 0xc2ce8ed0, v3
	v_cndmask_b32_e32 v11, 0, v11, vcc_lo
	v_cmp_nlt_f32_e32 vcc_lo, 0x42b17218, v6
	v_cndmask_b32_e32 v6, 0x7f800000, v8, vcc_lo
	v_cmp_nlt_f32_e32 vcc_lo, 0x42b17218, v2
	s_delay_alu instid0(VALU_DEP_2) | instskip(SKIP_2) | instid1(VALU_DEP_3)
	v_cvt_f16_f32_e32 v8, v6
	v_cndmask_b32_e32 v2, 0x7f800000, v9, vcc_lo
	v_cmp_nlt_f32_e32 vcc_lo, 0x42b17218, v7
	v_pk_mul_f16 v121, v8, v121 op_sel_hi:[0,1]
	s_delay_alu instid0(VALU_DEP_3) | instskip(SKIP_3) | instid1(VALU_DEP_4)
	v_fmac_f32_e32 v2, v0, v6
	v_cndmask_b32_e32 v7, 0x7f800000, v10, vcc_lo
	v_cmp_nlt_f32_e32 vcc_lo, 0x42b17218, v3
	v_pk_mul_f16 v122, v8, v122 op_sel_hi:[0,1]
	v_mov_b32_e32 v0, v2
	s_delay_alu instid0(VALU_DEP_4) | instskip(SKIP_1) | instid1(VALU_DEP_2)
	v_cvt_f16_f32_e32 v4, v7
	v_cndmask_b32_e32 v3, 0x7f800000, v11, vcc_lo
	v_pk_mul_f16 v120, v4, v120 op_sel_hi:[0,1]
	s_delay_alu instid0(VALU_DEP_2) | instskip(SKIP_1) | instid1(VALU_DEP_2)
	v_fmac_f32_e32 v3, v1, v7
	v_pk_mul_f16 v119, v4, v119 op_sel_hi:[0,1]
	v_mov_b32_e32 v1, v3
	s_mov_b32 s2, exec_lo
	v_cmpx_gt_i32_e64 s38, v32
	s_cbranch_execnz .LBB9_15
.LBB9_13:
	s_nop 0
	s_sendmsg sendmsg(MSG_DEALLOC_VGPRS)
	s_endpgm
.LBB9_14:
	s_delay_alu instid0(VALU_DEP_1)
	v_dual_mov_b32 v3, v1 :: v_dual_mov_b32 v2, v0
	s_mov_b32 s2, exec_lo
	v_cmpx_gt_i32_e64 s38, v32
	s_cbranch_execz .LBB9_13
.LBB9_15:
	s_load_b32 s1, s[0:1], 0xd4
	v_mov_b32_e32 v6, 1.0
	s_waitcnt lgkmcnt(0)
	s_cmp_lg_u32 s1, 1
	s_cselect_b32 s3, -1, 0
	s_cmp_eq_u32 s1, 1
	s_cselect_b32 s2, -1, 0
	s_and_b32 vcc_lo, exec_lo, s3
	s_cbranch_vccnz .LBB9_17
; %bb.16:
	v_div_scale_f32 v4, null, v0, v0, 1.0
	s_delay_alu instid0(VALU_DEP_1) | instskip(SKIP_2) | instid1(VALU_DEP_1)
	v_rcp_f32_e32 v5, v4
	s_waitcnt_depctr 0xfff
	v_fma_f32 v6, -v4, v5, 1.0
	v_fmac_f32_e32 v5, v6, v5
	v_div_scale_f32 v6, vcc_lo, 1.0, v0, 1.0
	s_delay_alu instid0(VALU_DEP_1) | instskip(NEXT) | instid1(VALU_DEP_1)
	v_mul_f32_e32 v7, v6, v5
	v_fma_f32 v8, -v4, v7, v6
	s_delay_alu instid0(VALU_DEP_1) | instskip(NEXT) | instid1(VALU_DEP_1)
	v_fmac_f32_e32 v7, v8, v5
	v_fma_f32 v4, -v4, v7, v6
	s_delay_alu instid0(VALU_DEP_1) | instskip(NEXT) | instid1(VALU_DEP_1)
	v_div_fmas_f32 v4, v4, v5, v7
	v_div_fixup_f32 v6, v4, v0, 1.0
.LBB9_17:
	v_mad_u64_u32 v[4:5], null, s11, s38, v[32:33]
	v_cvt_f32_f16_e32 v9, v121
	v_mov_b32_e32 v8, 0
	v_cvt_f32_f16_e32 v10, v122
	v_cmp_eq_u32_e32 vcc_lo, 0, v33
	v_mul_lo_u32 v0, v4, s39
	s_delay_alu instid0(VALU_DEP_1) | instskip(NEXT) | instid1(VALU_DEP_1)
	v_add3_u32 v0, s15, v71, v0
	v_mad_u64_u32 v[4:5], null, s1, v0, s[14:15]
	v_lshrrev_b32_e32 v5, 16, v122
	v_lshrrev_b32_e32 v0, 16, v121
	s_delay_alu instid0(VALU_DEP_2) | instskip(NEXT) | instid1(VALU_DEP_4)
	v_cvt_f32_f16_e32 v5, v5
	v_lshl_add_u32 v7, v4, 7, v72
	s_delay_alu instid0(VALU_DEP_3) | instskip(NEXT) | instid1(VALU_DEP_2)
	v_cvt_f32_f16_e32 v0, v0
	v_lshlrev_b64 v[11:12], 2, v[7:8]
	v_mul_f32_e32 v7, v6, v9
	v_mul_f32_e32 v9, v6, v10
	;; [unrolled: 1-line block ×4, first 2 shown]
	v_add_co_u32 v5, s0, s28, v11
	s_delay_alu instid0(VALU_DEP_1)
	v_add_co_ci_u32_e64 v6, s0, s29, v12, s0
	s_and_b32 s0, vcc_lo, s3
	global_store_b128 v[5:6], v[7:10], off
	s_and_saveexec_b32 s3, s0
	s_cbranch_execz .LBB9_19
; %bb.18:
	v_ashrrev_i32_e32 v5, 31, v4
	v_dual_mov_b32 v7, v35 :: v_dual_mov_b32 v8, v2
	s_delay_alu instid0(VALU_DEP_2) | instskip(NEXT) | instid1(VALU_DEP_1)
	v_lshlrev_b64 v[5:6], 3, v[4:5]
	v_add_co_u32 v5, vcc_lo, s30, v5
	s_delay_alu instid0(VALU_DEP_2)
	v_add_co_ci_u32_e32 v6, vcc_lo, s31, v6, vcc_lo
	global_store_b64 v[5:6], v[7:8], off
.LBB9_19:
	s_or_b32 exec_lo, exec_lo, s3
	v_mov_b32_e32 v2, 1.0
	s_and_not1_b32 vcc_lo, exec_lo, s2
	s_cbranch_vccnz .LBB9_21
; %bb.20:
	v_div_scale_f32 v0, null, v1, v1, 1.0
	s_delay_alu instid0(VALU_DEP_1) | instskip(SKIP_2) | instid1(VALU_DEP_1)
	v_rcp_f32_e32 v2, v0
	s_waitcnt_depctr 0xfff
	v_fma_f32 v5, -v0, v2, 1.0
	v_fmac_f32_e32 v2, v5, v2
	v_div_scale_f32 v5, vcc_lo, 1.0, v1, 1.0
	s_delay_alu instid0(VALU_DEP_1) | instskip(NEXT) | instid1(VALU_DEP_1)
	v_mul_f32_e32 v6, v5, v2
	v_fma_f32 v7, -v0, v6, v5
	s_delay_alu instid0(VALU_DEP_1) | instskip(NEXT) | instid1(VALU_DEP_1)
	v_fmac_f32_e32 v6, v7, v2
	v_fma_f32 v0, -v0, v6, v5
	s_delay_alu instid0(VALU_DEP_1) | instskip(NEXT) | instid1(VALU_DEP_1)
	v_div_fmas_f32 v0, v0, v2, v6
	v_div_fixup_f32 v2, v0, v1, 1.0
.LBB9_21:
	v_dual_mov_b32 v5, 0 :: v_dual_add_nc_u32 v0, s1, v4
	v_lshrrev_b32_e32 v1, 16, v120
	v_lshrrev_b32_e32 v6, 16, v119
	v_cvt_f32_f16_e32 v7, v120
	s_delay_alu instid0(VALU_DEP_4) | instskip(SKIP_3) | instid1(VALU_DEP_4)
	v_lshl_add_u32 v4, v0, 7, v72
	v_cvt_f32_f16_e32 v10, v119
	v_cvt_f32_f16_e32 v1, v1
	v_cvt_f32_f16_e32 v11, v6
	v_lshlrev_b64 v[8:9], 2, v[4:5]
	v_mul_f32_e32 v4, v2, v7
	s_delay_alu instid0(VALU_DEP_4)
	v_mul_f32_e32 v5, v2, v1
	v_mul_f32_e32 v6, v2, v10
	;; [unrolled: 1-line block ×3, first 2 shown]
	v_add_co_u32 v1, vcc_lo, s28, v8
	v_add_co_ci_u32_e32 v2, vcc_lo, s29, v9, vcc_lo
	global_store_b128 v[1:2], v[4:7], off
	s_and_b32 exec_lo, exec_lo, s0
	s_cbranch_execz .LBB9_13
; %bb.22:
	v_ashrrev_i32_e32 v1, 31, v0
	v_mov_b32_e32 v2, v36
	s_delay_alu instid0(VALU_DEP_2) | instskip(NEXT) | instid1(VALU_DEP_1)
	v_lshlrev_b64 v[0:1], 3, v[0:1]
	v_add_co_u32 v0, vcc_lo, s30, v0
	s_delay_alu instid0(VALU_DEP_2)
	v_add_co_ci_u32_e32 v1, vcc_lo, s31, v1, vcc_lo
	global_store_b64 v[0:1], v[2:3], off
	s_nop 0
	s_sendmsg sendmsg(MSG_DEALLOC_VGPRS)
	s_endpgm
	.section	.rodata,"a",@progbits
	.p2align	6, 0x0
	.amdhsa_kernel _ZL15flash_attn_tileILi128ELi128ELi2ELi8ELb0EEvPKcS1_S1_S1_S1_PKiPfP15HIP_vector_typeIfLj2EEffffjfiS5_IjLj3EEiiiiiiiiiiiliiliiiiil
		.amdhsa_group_segment_fixed_size 43008
		.amdhsa_private_segment_fixed_size 0
		.amdhsa_kernarg_size 464
		.amdhsa_user_sgpr_count 13
		.amdhsa_user_sgpr_dispatch_ptr 0
		.amdhsa_user_sgpr_queue_ptr 0
		.amdhsa_user_sgpr_kernarg_segment_ptr 1
		.amdhsa_user_sgpr_dispatch_id 0
		.amdhsa_user_sgpr_private_segment_size 0
		.amdhsa_wavefront_size32 1
		.amdhsa_uses_dynamic_stack 0
		.amdhsa_enable_private_segment 0
		.amdhsa_system_sgpr_workgroup_id_x 1
		.amdhsa_system_sgpr_workgroup_id_y 1
		.amdhsa_system_sgpr_workgroup_id_z 1
		.amdhsa_system_sgpr_workgroup_info 0
		.amdhsa_system_vgpr_workitem_id 1
		.amdhsa_next_free_vgpr 161
		.amdhsa_next_free_sgpr 42
		.amdhsa_reserve_vcc 1
		.amdhsa_float_round_mode_32 0
		.amdhsa_float_round_mode_16_64 0
		.amdhsa_float_denorm_mode_32 3
		.amdhsa_float_denorm_mode_16_64 3
		.amdhsa_dx10_clamp 1
		.amdhsa_ieee_mode 1
		.amdhsa_fp16_overflow 0
		.amdhsa_workgroup_processor_mode 1
		.amdhsa_memory_ordered 1
		.amdhsa_forward_progress 0
		.amdhsa_shared_vgpr_count 0
		.amdhsa_exception_fp_ieee_invalid_op 0
		.amdhsa_exception_fp_denorm_src 0
		.amdhsa_exception_fp_ieee_div_zero 0
		.amdhsa_exception_fp_ieee_overflow 0
		.amdhsa_exception_fp_ieee_underflow 0
		.amdhsa_exception_fp_ieee_inexact 0
		.amdhsa_exception_int_div_zero 0
	.end_amdhsa_kernel
	.section	.text._ZL15flash_attn_tileILi128ELi128ELi2ELi8ELb0EEvPKcS1_S1_S1_S1_PKiPfP15HIP_vector_typeIfLj2EEffffjfiS5_IjLj3EEiiiiiiiiiiiliiliiiiil,"axG",@progbits,_ZL15flash_attn_tileILi128ELi128ELi2ELi8ELb0EEvPKcS1_S1_S1_S1_PKiPfP15HIP_vector_typeIfLj2EEffffjfiS5_IjLj3EEiiiiiiiiiiiliiliiiiil,comdat
.Lfunc_end9:
	.size	_ZL15flash_attn_tileILi128ELi128ELi2ELi8ELb0EEvPKcS1_S1_S1_S1_PKiPfP15HIP_vector_typeIfLj2EEffffjfiS5_IjLj3EEiiiiiiiiiiiliiliiiiil, .Lfunc_end9-_ZL15flash_attn_tileILi128ELi128ELi2ELi8ELb0EEvPKcS1_S1_S1_S1_PKiPfP15HIP_vector_typeIfLj2EEffffjfiS5_IjLj3EEiiiiiiiiiiiliiliiiiil
                                        ; -- End function
	.section	.AMDGPU.csdata,"",@progbits
; Kernel info:
; codeLenInByte = 22904
; NumSgprs: 44
; NumVgprs: 161
; ScratchSize: 0
; MemoryBound: 0
; FloatMode: 240
; IeeeMode: 1
; LDSByteSize: 43008 bytes/workgroup (compile time only)
; SGPRBlocks: 5
; VGPRBlocks: 20
; NumSGPRsForWavesPerEU: 44
; NumVGPRsForWavesPerEU: 161
; Occupancy: 6
; WaveLimiterHint : 1
; COMPUTE_PGM_RSRC2:SCRATCH_EN: 0
; COMPUTE_PGM_RSRC2:USER_SGPR: 13
; COMPUTE_PGM_RSRC2:TRAP_HANDLER: 0
; COMPUTE_PGM_RSRC2:TGID_X_EN: 1
; COMPUTE_PGM_RSRC2:TGID_Y_EN: 1
; COMPUTE_PGM_RSRC2:TGID_Z_EN: 1
; COMPUTE_PGM_RSRC2:TIDIG_COMP_CNT: 1
	.section	.text._ZL25flash_attn_mask_to_KV_maxILi2EEvPK7__half2Piiii,"axG",@progbits,_ZL25flash_attn_mask_to_KV_maxILi2EEvPK7__half2Piiii,comdat
	.globl	_ZL25flash_attn_mask_to_KV_maxILi2EEvPK7__half2Piiii ; -- Begin function _ZL25flash_attn_mask_to_KV_maxILi2EEvPK7__half2Piiii
	.p2align	8
	.type	_ZL25flash_attn_mask_to_KV_maxILi2EEvPK7__half2Piiii,@function
_ZL25flash_attn_mask_to_KV_maxILi2EEvPK7__half2Piiii: ; @_ZL25flash_attn_mask_to_KV_maxILi2EEvPK7__half2Piiii
; %bb.0:
	s_load_b128 s[4:7], s[0:1], 0x0
	s_mov_b32 s2, exec_lo
	v_cmpx_gt_u32_e32 32, v0
	s_cbranch_execz .LBB10_2
; %bb.1:
	v_dual_mov_b32 v2, 1 :: v_dual_lshlrev_b32 v1, 2, v0
	ds_store_b32 v1, v2
.LBB10_2:
	s_or_b32 exec_lo, exec_lo, s2
	s_clause 0x1
	s_load_b128 s[8:11], s[0:1], 0x10
	s_load_b32 s1, s[0:1], 0x20
	v_dual_mov_b32 v2, 0 :: v_dual_and_b32 v1, 31, v0
	v_lshrrev_b32_e32 v3, 3, v0
	s_waitcnt lgkmcnt(0)
	s_barrier
	s_delay_alu instid0(VALU_DEP_2) | instskip(SKIP_4) | instid1(SALU_CYCLE_1)
	v_lshlrev_b32_e32 v4, 2, v1
	buffer_gl0_inv
	s_mul_i32 s0, s14, s9
	s_mul_i32 s2, s15, s10
	s_lshl_b32 s0, s0, 1
	s_add_i32 s2, s2, s0
	v_cmp_eq_u32_e64 s0, 0, v1
	s_ashr_i32 s3, s2, 31
	s_delay_alu instid0(SALU_CYCLE_1) | instskip(NEXT) | instid1(SALU_CYCLE_1)
	s_lshl_b64 s[10:11], s[2:3], 2
	s_add_u32 s3, s4, s10
	s_addc_u32 s4, s5, s11
	s_lshl_b32 s5, s8, 8
	s_branch .LBB10_4
.LBB10_3:                               ;   in Loop: Header=BB10_4 Depth=1
	s_or_b32 exec_lo, exec_lo, s10
	s_waitcnt lgkmcnt(0)
	s_barrier
	buffer_gl0_inv
	ds_load_b32 v1, v4
	s_waitcnt lgkmcnt(0)
	s_barrier
	buffer_gl0_inv
	;;#ASMSTART
	;;#ASMEND
	v_cmp_ne_u32_e32 vcc_lo, 0, v1
	s_cmp_lg_u32 vcc_lo, exec_lo
	s_cselect_b32 s8, -1, 0
	s_delay_alu instid0(SALU_CYCLE_1)
	s_and_b32 vcc_lo, exec_lo, s8
	s_cbranch_vccnz .LBB10_12
.LBB10_4:                               ; =>This Inner Loop Header: Depth=1
	s_mov_b32 s2, s5
	s_addk_i32 s5, 0xff00
	s_delay_alu instid0(SALU_CYCLE_1)
	s_cmp_lt_i32 s5, 0
	s_cbranch_scc1 .LBB10_11
; %bb.5:                                ;   in Loop: Header=BB10_4 Depth=1
	s_lshr_b32 s8, s5, 1
	s_mov_b32 s10, 0
	v_add_nc_u32_e32 v1, s8, v0
	s_delay_alu instid0(VALU_DEP_1) | instskip(NEXT) | instid1(VALU_DEP_1)
	v_lshlrev_b64 v[5:6], 2, v[1:2]
	v_add_co_u32 v5, vcc_lo, s3, v5
	s_delay_alu instid0(VALU_DEP_2) | instskip(SKIP_4) | instid1(VALU_DEP_2)
	v_add_co_ci_u32_e32 v6, vcc_lo, s4, v6, vcc_lo
	global_load_b32 v5, v[5:6], off
	s_waitcnt vmcnt(0)
	v_lshrrev_b32_e32 v6, 16, v5
	v_cmp_class_f16_e64 s8, v5, 0x204
	v_and_b32_e32 v6, 0x7fff, v6
	s_delay_alu instid0(VALU_DEP_1) | instskip(NEXT) | instid1(VALU_DEP_3)
	v_cmp_eq_f16_e32 vcc_lo, 0x7c00, v6
	s_and_b32 s11, s8, vcc_lo
	s_delay_alu instid0(SALU_CYCLE_1)
	s_and_saveexec_b32 s8, s11
	s_cbranch_execz .LBB10_9
; %bb.6:                                ;   in Loop: Header=BB10_4 Depth=1
	v_add_nc_u32_e32 v5, s9, v1
	s_delay_alu instid0(VALU_DEP_1) | instskip(NEXT) | instid1(VALU_DEP_1)
	v_ashrrev_i32_e32 v6, 31, v5
	v_lshlrev_b64 v[5:6], 2, v[5:6]
	s_delay_alu instid0(VALU_DEP_1) | instskip(NEXT) | instid1(VALU_DEP_2)
	v_add_co_u32 v5, vcc_lo, s3, v5
	v_add_co_ci_u32_e32 v6, vcc_lo, s4, v6, vcc_lo
	global_load_b32 v1, v[5:6], off
	s_waitcnt vmcnt(0)
	v_cmp_class_f16_e64 s12, v1, 0x204
	s_delay_alu instid0(VALU_DEP_1)
	s_and_saveexec_b32 s11, s12
; %bb.7:                                ;   in Loop: Header=BB10_4 Depth=1
	v_lshrrev_b32_e32 v1, 16, v1
	s_delay_alu instid0(VALU_DEP_1) | instskip(NEXT) | instid1(VALU_DEP_1)
	v_cmp_class_f16_e64 s10, v1, 0x204
	s_and_b32 s10, s10, exec_lo
; %bb.8:                                ;   in Loop: Header=BB10_4 Depth=1
	s_or_b32 exec_lo, exec_lo, s11
	s_delay_alu instid0(SALU_CYCLE_1)
	s_and_b32 s10, s10, exec_lo
.LBB10_9:                               ;   in Loop: Header=BB10_4 Depth=1
	s_or_b32 exec_lo, exec_lo, s8
	v_cndmask_b32_e64 v1, 0, 1, s10
	;;#ASMSTART
	;;#ASMEND
	s_delay_alu instid0(VALU_DEP_1)
	v_cmp_ne_u32_e32 vcc_lo, 0, v1
	s_mov_b32 s8, exec_lo
	s_and_saveexec_b32 s10, s0
	s_cbranch_execz .LBB10_3
; %bb.10:                               ;   in Loop: Header=BB10_4 Depth=1
	s_cmp_eq_u32 vcc_lo, s8
	s_cselect_b32 s8, -1, 0
	s_delay_alu instid0(SALU_CYCLE_1)
	v_cndmask_b32_e64 v1, 0, 1, s8
	ds_store_b32 v3, v1
	s_branch .LBB10_3
.LBB10_11:                              ;   in Loop: Header=BB10_4 Depth=1
                                        ; implicit-def: $sgpr5
	s_cbranch_execz .LBB10_4
.LBB10_12:
	s_mov_b32 s0, exec_lo
	v_cmpx_eq_u32_e32 0, v0
	s_cbranch_execz .LBB10_14
; %bb.13:
	s_mul_i32 s0, s1, s15
	v_dual_mov_b32 v0, 0 :: v_dual_mov_b32 v1, s2
	s_add_i32 s0, s0, s14
	s_delay_alu instid0(SALU_CYCLE_1) | instskip(NEXT) | instid1(SALU_CYCLE_1)
	s_ashr_i32 s1, s0, 31
	s_lshl_b64 s[0:1], s[0:1], 2
	s_delay_alu instid0(SALU_CYCLE_1)
	s_add_u32 s0, s6, s0
	s_addc_u32 s1, s7, s1
	global_store_b32 v0, v1, s[0:1]
.LBB10_14:
	s_nop 0
	s_sendmsg sendmsg(MSG_DEALLOC_VGPRS)
	s_endpgm
	.section	.rodata,"a",@progbits
	.p2align	6, 0x0
	.amdhsa_kernel _ZL25flash_attn_mask_to_KV_maxILi2EEvPK7__half2Piiii
		.amdhsa_group_segment_fixed_size 128
		.amdhsa_private_segment_fixed_size 0
		.amdhsa_kernarg_size 288
		.amdhsa_user_sgpr_count 14
		.amdhsa_user_sgpr_dispatch_ptr 0
		.amdhsa_user_sgpr_queue_ptr 0
		.amdhsa_user_sgpr_kernarg_segment_ptr 1
		.amdhsa_user_sgpr_dispatch_id 0
		.amdhsa_user_sgpr_private_segment_size 0
		.amdhsa_wavefront_size32 1
		.amdhsa_uses_dynamic_stack 0
		.amdhsa_enable_private_segment 0
		.amdhsa_system_sgpr_workgroup_id_x 1
		.amdhsa_system_sgpr_workgroup_id_y 1
		.amdhsa_system_sgpr_workgroup_id_z 0
		.amdhsa_system_sgpr_workgroup_info 0
		.amdhsa_system_vgpr_workitem_id 0
		.amdhsa_next_free_vgpr 7
		.amdhsa_next_free_sgpr 16
		.amdhsa_reserve_vcc 1
		.amdhsa_float_round_mode_32 0
		.amdhsa_float_round_mode_16_64 0
		.amdhsa_float_denorm_mode_32 3
		.amdhsa_float_denorm_mode_16_64 3
		.amdhsa_dx10_clamp 1
		.amdhsa_ieee_mode 1
		.amdhsa_fp16_overflow 0
		.amdhsa_workgroup_processor_mode 1
		.amdhsa_memory_ordered 1
		.amdhsa_forward_progress 0
		.amdhsa_shared_vgpr_count 0
		.amdhsa_exception_fp_ieee_invalid_op 0
		.amdhsa_exception_fp_denorm_src 0
		.amdhsa_exception_fp_ieee_div_zero 0
		.amdhsa_exception_fp_ieee_overflow 0
		.amdhsa_exception_fp_ieee_underflow 0
		.amdhsa_exception_fp_ieee_inexact 0
		.amdhsa_exception_int_div_zero 0
	.end_amdhsa_kernel
	.section	.text._ZL25flash_attn_mask_to_KV_maxILi2EEvPK7__half2Piiii,"axG",@progbits,_ZL25flash_attn_mask_to_KV_maxILi2EEvPK7__half2Piiii,comdat
.Lfunc_end10:
	.size	_ZL25flash_attn_mask_to_KV_maxILi2EEvPK7__half2Piiii, .Lfunc_end10-_ZL25flash_attn_mask_to_KV_maxILi2EEvPK7__half2Piiii
                                        ; -- End function
	.section	.AMDGPU.csdata,"",@progbits
; Kernel info:
; codeLenInByte = 584
; NumSgprs: 18
; NumVgprs: 7
; ScratchSize: 0
; MemoryBound: 0
; FloatMode: 240
; IeeeMode: 1
; LDSByteSize: 128 bytes/workgroup (compile time only)
; SGPRBlocks: 2
; VGPRBlocks: 0
; NumSGPRsForWavesPerEU: 18
; NumVGPRsForWavesPerEU: 7
; Occupancy: 16
; WaveLimiterHint : 0
; COMPUTE_PGM_RSRC2:SCRATCH_EN: 0
; COMPUTE_PGM_RSRC2:USER_SGPR: 14
; COMPUTE_PGM_RSRC2:TRAP_HANDLER: 0
; COMPUTE_PGM_RSRC2:TGID_X_EN: 1
; COMPUTE_PGM_RSRC2:TGID_Y_EN: 1
; COMPUTE_PGM_RSRC2:TGID_Z_EN: 0
; COMPUTE_PGM_RSRC2:TIDIG_COMP_CNT: 0
	.section	.text._ZL33flash_attn_stream_k_fixup_uniformILi128ELi2ELi8EEvPfPK15HIP_vector_typeIfLj2EEiiiiiiS1_IjLj3EES5_S5_,"axG",@progbits,_ZL33flash_attn_stream_k_fixup_uniformILi128ELi2ELi8EEvPfPK15HIP_vector_typeIfLj2EEiiiiiiS1_IjLj3EES5_S5_,comdat
	.globl	_ZL33flash_attn_stream_k_fixup_uniformILi128ELi2ELi8EEvPfPK15HIP_vector_typeIfLj2EEiiiiiiS1_IjLj3EES5_S5_ ; -- Begin function _ZL33flash_attn_stream_k_fixup_uniformILi128ELi2ELi8EEvPfPK15HIP_vector_typeIfLj2EEiiiiiiS1_IjLj3EES5_S5_
	.p2align	8
	.type	_ZL33flash_attn_stream_k_fixup_uniformILi128ELi2ELi8EEvPfPK15HIP_vector_typeIfLj2EEiiiiiiS1_IjLj3EES5_S5_,@function
_ZL33flash_attn_stream_k_fixup_uniformILi128ELi2ELi8EEvPfPK15HIP_vector_typeIfLj2EEiiiiiiS1_IjLj3EES5_S5_: ; @_ZL33flash_attn_stream_k_fixup_uniformILi128ELi2ELi8EEvPfPK15HIP_vector_typeIfLj2EEiiiiiiS1_IjLj3EES5_S5_
; %bb.0:
	s_clause 0x1
	s_load_b256 s[4:11], s[0:1], 0x1c
	s_load_b128 s[16:19], s[0:1], 0x3c
	s_waitcnt lgkmcnt(0)
	s_mul_hi_u32 s2, s7, s13
	s_delay_alu instid0(SALU_CYCLE_1) | instskip(NEXT) | instid1(SALU_CYCLE_1)
	s_add_i32 s2, s13, s2
	s_lshr_b32 s2, s2, s8
	s_delay_alu instid0(SALU_CYCLE_1) | instskip(SKIP_2) | instid1(SALU_CYCLE_1)
	s_mul_i32 s3, s2, s9
	s_load_b64 s[8:9], s[0:1], 0x10
	s_sub_i32 s7, s13, s3
	s_mul_hi_u32 s3, s7, s10
	s_delay_alu instid0(SALU_CYCLE_1) | instskip(NEXT) | instid1(SALU_CYCLE_1)
	s_add_i32 s3, s7, s3
	s_lshr_b32 s3, s3, s11
	s_delay_alu instid0(SALU_CYCLE_1) | instskip(NEXT) | instid1(SALU_CYCLE_1)
	s_mul_i32 s10, s3, s16
	s_sub_i32 s7, s7, s10
	s_delay_alu instid0(SALU_CYCLE_1) | instskip(NEXT) | instid1(SALU_CYCLE_1)
	s_mul_hi_u32 s10, s7, s17
	s_add_i32 s10, s7, s10
	s_delay_alu instid0(SALU_CYCLE_1) | instskip(NEXT) | instid1(SALU_CYCLE_1)
	s_lshr_b32 s10, s10, s18
	s_mul_i32 s11, s10, s19
	s_lshl_b32 s10, s10, 3
	s_sub_i32 s7, s7, s11
	s_delay_alu instid0(SALU_CYCLE_1) | instskip(NEXT) | instid1(SALU_CYCLE_1)
	s_lshl_b32 s11, s7, 1
	s_add_i32 s11, s11, s14
	s_waitcnt lgkmcnt(0)
	s_cmp_lt_i32 s11, s8
	s_cselect_b32 s11, -1, 0
	s_add_i32 s12, s10, s15
	s_delay_alu instid0(SALU_CYCLE_1) | instskip(SKIP_1) | instid1(SALU_CYCLE_1)
	s_cmp_lt_i32 s12, s5
	s_cselect_b32 s12, -1, 0
	s_and_b32 s11, s11, s12
	s_delay_alu instid0(SALU_CYCLE_1)
	s_and_not1_b32 vcc_lo, exec_lo, s11
	s_cbranch_vccnz .LBB11_6
; %bb.1:
	s_mul_i32 s2, s2, s8
	s_mul_i32 s5, s3, s5
	s_add_i32 s2, s2, s14
	s_mul_i32 s7, s9, s7
	s_mul_i32 s2, s2, s9
	s_lshl_b32 s7, s7, 8
	s_add_i32 s8, s2, s15
	s_load_b128 s[0:3], s[0:1], 0x0
	s_add_i32 s5, s8, s5
	s_lshl_b32 s9, s14, 3
	s_add_i32 s5, s5, s10
	s_delay_alu instid0(SALU_CYCLE_1) | instskip(NEXT) | instid1(SALU_CYCLE_1)
	s_lshl_b32 s5, s5, 7
	s_add_i32 s7, s7, s5
	s_mul_i32 s5, s13, s6
	v_or_b32_e32 v1, s7, v0
	s_add_i32 s10, s5, s6
	s_delay_alu instid0(VALU_DEP_1) | instskip(NEXT) | instid1(VALU_DEP_1)
	v_ashrrev_i32_e32 v2, 31, v1
	v_lshlrev_b64 v[1:2], 2, v[1:2]
	s_waitcnt lgkmcnt(0)
	s_delay_alu instid0(VALU_DEP_1) | instskip(NEXT) | instid1(VALU_DEP_2)
	v_add_co_u32 v1, vcc_lo, s0, v1
	v_add_co_ci_u32_e32 v2, vcc_lo, s1, v2, vcc_lo
	s_add_i32 s0, s9, s15
	s_lshl_b32 s1, s10, 4
	s_delay_alu instid0(SALU_CYCLE_1) | instskip(SKIP_2) | instid1(SALU_CYCLE_1)
	s_add_i32 s0, s0, s1
	global_load_b32 v5, v[1:2], off
	s_add_i32 s0, s0, -16
	s_ashr_i32 s1, s0, 31
	s_delay_alu instid0(SALU_CYCLE_1) | instskip(NEXT) | instid1(SALU_CYCLE_1)
	s_lshl_b64 s[0:1], s[0:1], 3
	s_add_u32 s0, s2, s0
	s_addc_u32 s1, s3, s1
	s_add_i32 s7, s10, -2
	s_load_b32 s11, s[0:1], 0x4
	s_cmp_lt_i32 s7, s5
	s_cbranch_scc1 .LBB11_4
; %bb.2:
	s_lshl_b32 s16, s4, 6
	s_load_b32 s12, s[0:1], 0x0
	s_ashr_i32 s17, s16, 31
	s_delay_alu instid0(SALU_CYCLE_1) | instskip(NEXT) | instid1(SALU_CYCLE_1)
	s_lshl_b64 s[0:1], s[16:17], 2
	s_add_u32 s7, s2, s0
	s_addc_u32 s8, s3, s1
	s_add_i32 s13, s13, 1
	s_lshl_b32 s0, s14, 10
	s_lshl_b32 s1, s15, 7
	s_mul_i32 s6, s6, s13
	s_add_i32 s0, s1, s0
	s_lshl_b32 s1, s6, 11
	s_delay_alu instid0(SALU_CYCLE_1)
	s_add_i32 s0, s0, s1
	s_lshl_b32 s1, s6, 4
	v_or_b32_e32 v0, s0, v0
	s_lshl_b32 s0, s4, 4
	s_add_i32 s1, s15, s1
	s_waitcnt lgkmcnt(0)
	v_mov_b32_e32 v6, s11
	s_add_i32 s0, s1, s0
	v_dual_mov_b32 v0, s12 :: v_dual_add_nc_u32 v3, 0xfffff000, v0
	s_add_i32 s0, s0, s9
	s_add_i32 s4, s10, -1
	s_sub_i32 s0, s0, 32
.LBB11_3:                               ; =>This Inner Loop Header: Depth=1
	s_delay_alu instid0(VALU_DEP_1) | instskip(SKIP_1) | instid1(SALU_CYCLE_1)
	v_ashrrev_i32_e32 v4, 31, v3
	s_ashr_i32 s1, s0, 31
	s_lshl_b64 s[10:11], s[0:1], 3
	s_delay_alu instid0(SALU_CYCLE_1) | instskip(NEXT) | instid1(VALU_DEP_1)
	s_add_u32 s10, s2, s10
	v_lshlrev_b64 v[7:8], 2, v[3:4]
	s_addc_u32 s11, s3, s11
	s_add_i32 s4, s4, -1
	s_add_i32 s0, s0, -16
	s_cmp_le_i32 s4, s5
	s_load_b64 s[10:11], s[10:11], 0x0
	v_add_co_u32 v7, vcc_lo, s7, v7
	v_add_co_ci_u32_e32 v8, vcc_lo, s8, v8, vcc_lo
	global_load_b32 v4, v[7:8], off
	v_max_f32_e32 v7, v0, v0
	s_waitcnt lgkmcnt(0)
	v_max_f32_e64 v8, s10, s10
	s_delay_alu instid0(VALU_DEP_1) | instskip(NEXT) | instid1(VALU_DEP_1)
	v_max_f32_e32 v7, v7, v8
	v_sub_f32_e32 v8, s10, v7
	s_delay_alu instid0(VALU_DEP_1) | instskip(NEXT) | instid1(VALU_DEP_1)
	v_dual_sub_f32 v0, v0, v7 :: v_dual_mul_f32 v9, 0x3fb8aa3b, v8
	v_fma_f32 v10, 0x3fb8aa3b, v8, -v9
	v_rndne_f32_e32 v11, v9
	s_delay_alu instid0(VALU_DEP_3) | instskip(NEXT) | instid1(VALU_DEP_2)
	v_mul_f32_e32 v12, 0x3fb8aa3b, v0
	v_dual_fmac_f32 v10, 0x32a5705f, v8 :: v_dual_sub_f32 v9, v9, v11
	v_cvt_i32_f32_e32 v11, v11
	s_delay_alu instid0(VALU_DEP_3) | instskip(SKIP_1) | instid1(VALU_DEP_4)
	v_fma_f32 v13, 0x3fb8aa3b, v0, -v12
	v_rndne_f32_e32 v14, v12
	v_add_f32_e32 v9, v9, v10
	v_cmp_ngt_f32_e32 vcc_lo, 0xc2ce8ed0, v8
	s_delay_alu instid0(VALU_DEP_3) | instskip(NEXT) | instid1(VALU_DEP_3)
	v_sub_f32_e32 v10, v12, v14
	v_exp_f32_e32 v9, v9
	s_waitcnt_depctr 0xfff
	v_ldexp_f32 v9, v9, v11
	v_cvt_i32_f32_e32 v11, v14
	s_delay_alu instid0(VALU_DEP_2) | instskip(SKIP_1) | instid1(VALU_DEP_2)
	v_cndmask_b32_e32 v9, 0, v9, vcc_lo
	v_cmp_nlt_f32_e32 vcc_lo, 0x42b17218, v8
	v_cndmask_b32_e32 v9, 0x7f800000, v9, vcc_lo
	v_cmp_ngt_f32_e32 vcc_lo, 0xc2ce8ed0, v0
	v_fmac_f32_e32 v13, 0x32a5705f, v0
	s_delay_alu instid0(VALU_DEP_1) | instskip(NEXT) | instid1(VALU_DEP_1)
	v_add_f32_e32 v10, v10, v13
	v_exp_f32_e32 v10, v10
	s_waitcnt_depctr 0xfff
	v_ldexp_f32 v10, v10, v11
	s_delay_alu instid0(VALU_DEP_1)
	v_dual_mov_b32 v11, v6 :: v_dual_cndmask_b32 v10, 0, v10
	v_cmp_le_f32_e32 vcc_lo, 0xc1a00000, v8
	s_waitcnt vmcnt(1)
	v_dual_cndmask_b32 v8, 0, v9 :: v_dual_mov_b32 v9, v5
	v_cmp_nlt_f32_e32 vcc_lo, 0x42b17218, v0
	v_cndmask_b32_e32 v5, 0x7f800000, v10, vcc_lo
	s_delay_alu instid0(VALU_DEP_3) | instskip(SKIP_2) | instid1(VALU_DEP_3)
	v_mul_f32_e32 v10, s11, v8
	v_cmp_le_f32_e32 vcc_lo, 0xc1a00000, v0
	v_mov_b32_e32 v0, v7
	v_mov_b32_e32 v6, v10
	s_waitcnt vmcnt(0)
	v_dual_cndmask_b32 v12, 0, v5 :: v_dual_mul_f32 v5, v4, v8
	s_delay_alu instid0(VALU_DEP_1) | instskip(NEXT) | instid1(VALU_DEP_2)
	v_dual_fmac_f32 v6, v11, v12 :: v_dual_add_nc_u32 v3, 0xfffff800, v3
	v_fmac_f32_e32 v5, v9, v12
	s_cbranch_scc0 .LBB11_3
	s_branch .LBB11_5
.LBB11_4:
	s_waitcnt lgkmcnt(0)
	v_mov_b32_e32 v6, s11
.LBB11_5:
	s_waitcnt vmcnt(0)
	s_delay_alu instid0(VALU_DEP_1) | instskip(NEXT) | instid1(VALU_DEP_1)
	v_div_scale_f32 v0, null, v6, v6, v5
	v_rcp_f32_e32 v3, v0
	s_waitcnt_depctr 0xfff
	v_fma_f32 v4, -v0, v3, 1.0
	s_delay_alu instid0(VALU_DEP_1) | instskip(SKIP_1) | instid1(VALU_DEP_1)
	v_fmac_f32_e32 v3, v4, v3
	v_div_scale_f32 v4, vcc_lo, v5, v6, v5
	v_mul_f32_e32 v7, v4, v3
	s_delay_alu instid0(VALU_DEP_1) | instskip(NEXT) | instid1(VALU_DEP_1)
	v_fma_f32 v8, -v0, v7, v4
	v_fmac_f32_e32 v7, v8, v3
	s_delay_alu instid0(VALU_DEP_1) | instskip(NEXT) | instid1(VALU_DEP_1)
	v_fma_f32 v0, -v0, v7, v4
	v_div_fmas_f32 v0, v0, v3, v7
	s_delay_alu instid0(VALU_DEP_1)
	v_div_fixup_f32 v0, v0, v6, v5
	global_store_b32 v[1:2], v0, off
.LBB11_6:
	s_nop 0
	s_sendmsg sendmsg(MSG_DEALLOC_VGPRS)
	s_endpgm
	.section	.rodata,"a",@progbits
	.p2align	6, 0x0
	.amdhsa_kernel _ZL33flash_attn_stream_k_fixup_uniformILi128ELi2ELi8EEvPfPK15HIP_vector_typeIfLj2EEiiiiiiS1_IjLj3EES5_S5_
		.amdhsa_group_segment_fixed_size 0
		.amdhsa_private_segment_fixed_size 0
		.amdhsa_kernarg_size 76
		.amdhsa_user_sgpr_count 13
		.amdhsa_user_sgpr_dispatch_ptr 0
		.amdhsa_user_sgpr_queue_ptr 0
		.amdhsa_user_sgpr_kernarg_segment_ptr 1
		.amdhsa_user_sgpr_dispatch_id 0
		.amdhsa_user_sgpr_private_segment_size 0
		.amdhsa_wavefront_size32 1
		.amdhsa_uses_dynamic_stack 0
		.amdhsa_enable_private_segment 0
		.amdhsa_system_sgpr_workgroup_id_x 1
		.amdhsa_system_sgpr_workgroup_id_y 1
		.amdhsa_system_sgpr_workgroup_id_z 1
		.amdhsa_system_sgpr_workgroup_info 0
		.amdhsa_system_vgpr_workitem_id 0
		.amdhsa_next_free_vgpr 15
		.amdhsa_next_free_sgpr 20
		.amdhsa_reserve_vcc 1
		.amdhsa_float_round_mode_32 0
		.amdhsa_float_round_mode_16_64 0
		.amdhsa_float_denorm_mode_32 3
		.amdhsa_float_denorm_mode_16_64 3
		.amdhsa_dx10_clamp 1
		.amdhsa_ieee_mode 1
		.amdhsa_fp16_overflow 0
		.amdhsa_workgroup_processor_mode 1
		.amdhsa_memory_ordered 1
		.amdhsa_forward_progress 0
		.amdhsa_shared_vgpr_count 0
		.amdhsa_exception_fp_ieee_invalid_op 0
		.amdhsa_exception_fp_denorm_src 0
		.amdhsa_exception_fp_ieee_div_zero 0
		.amdhsa_exception_fp_ieee_overflow 0
		.amdhsa_exception_fp_ieee_underflow 0
		.amdhsa_exception_fp_ieee_inexact 0
		.amdhsa_exception_int_div_zero 0
	.end_amdhsa_kernel
	.section	.text._ZL33flash_attn_stream_k_fixup_uniformILi128ELi2ELi8EEvPfPK15HIP_vector_typeIfLj2EEiiiiiiS1_IjLj3EES5_S5_,"axG",@progbits,_ZL33flash_attn_stream_k_fixup_uniformILi128ELi2ELi8EEvPfPK15HIP_vector_typeIfLj2EEiiiiiiS1_IjLj3EES5_S5_,comdat
.Lfunc_end11:
	.size	_ZL33flash_attn_stream_k_fixup_uniformILi128ELi2ELi8EEvPfPK15HIP_vector_typeIfLj2EEiiiiiiS1_IjLj3EES5_S5_, .Lfunc_end11-_ZL33flash_attn_stream_k_fixup_uniformILi128ELi2ELi8EEvPfPK15HIP_vector_typeIfLj2EEiiiiiiS1_IjLj3EES5_S5_
                                        ; -- End function
	.section	.AMDGPU.csdata,"",@progbits
; Kernel info:
; codeLenInByte = 996
; NumSgprs: 22
; NumVgprs: 15
; ScratchSize: 0
; MemoryBound: 0
; FloatMode: 240
; IeeeMode: 1
; LDSByteSize: 0 bytes/workgroup (compile time only)
; SGPRBlocks: 2
; VGPRBlocks: 1
; NumSGPRsForWavesPerEU: 22
; NumVGPRsForWavesPerEU: 15
; Occupancy: 16
; WaveLimiterHint : 0
; COMPUTE_PGM_RSRC2:SCRATCH_EN: 0
; COMPUTE_PGM_RSRC2:USER_SGPR: 13
; COMPUTE_PGM_RSRC2:TRAP_HANDLER: 0
; COMPUTE_PGM_RSRC2:TGID_X_EN: 1
; COMPUTE_PGM_RSRC2:TGID_Y_EN: 1
; COMPUTE_PGM_RSRC2:TGID_Z_EN: 1
; COMPUTE_PGM_RSRC2:TIDIG_COMP_CNT: 0
	.section	.text._ZL33flash_attn_stream_k_fixup_generalILi128ELi2ELi8EEvPfPK15HIP_vector_typeIfLj2EEiiiiS1_IjLj3EES5_S5_S5_,"axG",@progbits,_ZL33flash_attn_stream_k_fixup_generalILi128ELi2ELi8EEvPfPK15HIP_vector_typeIfLj2EEiiiiS1_IjLj3EES5_S5_S5_,comdat
	.globl	_ZL33flash_attn_stream_k_fixup_generalILi128ELi2ELi8EEvPfPK15HIP_vector_typeIfLj2EEiiiiS1_IjLj3EES5_S5_S5_ ; -- Begin function _ZL33flash_attn_stream_k_fixup_generalILi128ELi2ELi8EEvPfPK15HIP_vector_typeIfLj2EEiiiiS1_IjLj3EES5_S5_S5_
	.p2align	8
	.type	_ZL33flash_attn_stream_k_fixup_generalILi128ELi2ELi8EEvPfPK15HIP_vector_typeIfLj2EEiiiiS1_IjLj3EES5_S5_S5_,@function
_ZL33flash_attn_stream_k_fixup_generalILi128ELi2ELi8EEvPfPK15HIP_vector_typeIfLj2EEiiiiS1_IjLj3EES5_S5_S5_: ; @_ZL33flash_attn_stream_k_fixup_generalILi128ELi2ELi8EEvPfPK15HIP_vector_typeIfLj2EEiiiiS1_IjLj3EES5_S5_S5_
; %bb.0:
	s_clause 0x1
	s_load_b128 s[4:7], s[0:1], 0x10
	s_load_b32 s20, s[0:1], 0x50
	s_mov_b32 s2, 0
	s_waitcnt lgkmcnt(0)
	s_mul_hi_i32 s3, s7, s13
	s_mul_i32 s12, s7, s13
	s_cmp_lg_u64 s[2:3], 0
	s_cbranch_scc0 .LBB12_21
; %bb.1:
	v_cvt_f32_ubyte0_e32 v1, 0
	v_cvt_f32_u32_e32 v2, s20
	s_sub_u32 s10, 0, s20
	s_subb_u32 s11, 0, 0
	s_delay_alu instid0(VALU_DEP_1) | instskip(NEXT) | instid1(VALU_DEP_1)
	v_fmamk_f32 v1, v1, 0x4f800000, v2
	v_rcp_f32_e32 v1, v1
	s_waitcnt_depctr 0xfff
	v_mul_f32_e32 v1, 0x5f7ffffc, v1
	s_delay_alu instid0(VALU_DEP_1) | instskip(NEXT) | instid1(VALU_DEP_1)
	v_mul_f32_e32 v2, 0x2f800000, v1
	v_trunc_f32_e32 v2, v2
	s_delay_alu instid0(VALU_DEP_1) | instskip(SKIP_1) | instid1(VALU_DEP_2)
	v_fmamk_f32 v1, v2, 0xcf800000, v1
	v_cvt_u32_f32_e32 v2, v2
	v_cvt_u32_f32_e32 v1, v1
	s_delay_alu instid0(VALU_DEP_2) | instskip(NEXT) | instid1(VALU_DEP_2)
	v_readfirstlane_b32 s8, v2
	v_readfirstlane_b32 s9, v1
	s_delay_alu instid0(VALU_DEP_2) | instskip(NEXT) | instid1(VALU_DEP_1)
	s_mul_i32 s16, s10, s8
	s_mul_hi_u32 s18, s10, s9
	s_mul_i32 s17, s11, s9
	s_add_i32 s16, s18, s16
	s_mul_i32 s19, s10, s9
	s_add_i32 s16, s16, s17
	s_mul_hi_u32 s18, s9, s19
	s_mul_hi_u32 s21, s8, s19
	s_mul_i32 s17, s8, s19
	s_mul_hi_u32 s19, s9, s16
	s_mul_i32 s9, s9, s16
	s_mul_hi_u32 s22, s8, s16
	s_add_u32 s9, s18, s9
	s_addc_u32 s18, 0, s19
	s_add_u32 s9, s9, s17
	s_mul_i32 s16, s8, s16
	s_addc_u32 s9, s18, s21
	s_addc_u32 s17, s22, 0
	s_add_u32 s9, s9, s16
	s_addc_u32 s16, 0, s17
	v_add_co_u32 v1, s9, v1, s9
	s_delay_alu instid0(VALU_DEP_1) | instskip(SKIP_1) | instid1(VALU_DEP_1)
	s_cmp_lg_u32 s9, 0
	s_addc_u32 s8, s8, s16
	v_readfirstlane_b32 s9, v1
	s_mul_i32 s16, s10, s8
	s_delay_alu instid0(VALU_DEP_1)
	s_mul_hi_u32 s17, s10, s9
	s_mul_i32 s11, s11, s9
	s_add_i32 s16, s17, s16
	s_mul_i32 s10, s10, s9
	s_add_i32 s16, s16, s11
	s_mul_hi_u32 s17, s8, s10
	s_mul_i32 s18, s8, s10
	s_mul_hi_u32 s10, s9, s10
	s_mul_hi_u32 s19, s9, s16
	s_mul_i32 s9, s9, s16
	s_mul_hi_u32 s11, s8, s16
	s_add_u32 s9, s10, s9
	s_addc_u32 s10, 0, s19
	s_add_u32 s9, s9, s18
	s_mul_i32 s16, s8, s16
	s_addc_u32 s9, s10, s17
	s_addc_u32 s10, s11, 0
	s_add_u32 s9, s9, s16
	s_addc_u32 s10, 0, s10
	v_add_co_u32 v1, s9, v1, s9
	s_delay_alu instid0(VALU_DEP_1) | instskip(SKIP_2) | instid1(SALU_CYCLE_1)
	s_cmp_lg_u32 s9, 0
	s_addc_u32 s16, s8, s10
	s_ashr_i32 s8, s3, 31
	s_add_u32 s10, s12, s8
	s_addc_u32 s11, s3, s8
	v_readfirstlane_b32 s3, v1
	s_mov_b32 s9, s8
	s_delay_alu instid0(SALU_CYCLE_1) | instskip(NEXT) | instid1(SALU_CYCLE_1)
	s_xor_b64 s[10:11], s[10:11], s[8:9]
	s_mul_i32 s18, s10, s16
	s_delay_alu instid0(VALU_DEP_1)
	s_mul_hi_u32 s19, s10, s3
	s_mul_hi_u32 s17, s10, s16
	;; [unrolled: 1-line block ×3, first 2 shown]
	s_mul_i32 s3, s11, s3
	s_add_u32 s18, s19, s18
	s_addc_u32 s17, 0, s17
	s_mul_hi_u32 s21, s11, s16
	s_add_u32 s3, s18, s3
	s_mul_i32 s16, s11, s16
	s_addc_u32 s3, s17, s22
	s_addc_u32 s17, s21, 0
	s_add_u32 s3, s3, s16
	s_addc_u32 s16, 0, s17
	s_mul_i32 s18, s20, s3
	s_add_u32 s17, s3, 1
	v_sub_co_u32 v1, s10, s10, s18
	s_mul_hi_u32 s18, s20, s3
	s_addc_u32 s19, s16, 0
	s_mul_i32 s21, s20, s16
	s_delay_alu instid0(VALU_DEP_1)
	v_sub_co_u32 v2, s22, v1, s20
	s_add_u32 s23, s3, 2
	s_addc_u32 s24, s16, 0
	s_add_i32 s18, s18, s21
	s_cmp_lg_u32 s10, 0
	v_readfirstlane_b32 s10, v2
	s_subb_u32 s11, s11, s18
	s_cmp_lg_u32 s22, 0
	s_subb_u32 s18, s11, 0
	s_delay_alu instid0(VALU_DEP_1) | instskip(SKIP_4) | instid1(SALU_CYCLE_1)
	s_cmp_ge_u32 s10, s20
	s_cselect_b32 s10, -1, 0
	s_cmp_eq_u32 s18, 0
	v_readfirstlane_b32 s18, v1
	s_cselect_b32 s10, s10, -1
	s_cmp_lg_u32 s10, 0
	s_cselect_b32 s10, s23, s17
	s_cselect_b32 s17, s24, s19
	s_cmp_ge_u32 s18, s20
	s_cselect_b32 s18, -1, 0
	s_cmp_eq_u32 s11, 0
	s_cselect_b32 s11, s18, -1
	s_delay_alu instid0(SALU_CYCLE_1) | instskip(SKIP_2) | instid1(SALU_CYCLE_1)
	s_cmp_lg_u32 s11, 0
	s_cselect_b32 s11, s17, s16
	s_cselect_b32 s10, s10, s3
	s_xor_b64 s[10:11], s[10:11], s[8:9]
	s_delay_alu instid0(SALU_CYCLE_1)
	s_sub_u32 s16, s10, s8
	s_load_b128 s[8:11], s[0:1], 0x44
	s_and_not1_b32 vcc_lo, exec_lo, s2
	s_cbranch_vccnz .LBB12_3
.LBB12_2:
	v_cvt_f32_u32_e32 v1, s20
	s_sub_i32 s3, 0, s20
	s_delay_alu instid0(VALU_DEP_1) | instskip(SKIP_2) | instid1(VALU_DEP_1)
	v_rcp_iflag_f32_e32 v1, v1
	s_waitcnt_depctr 0xfff
	v_mul_f32_e32 v1, 0x4f7ffffe, v1
	v_cvt_u32_f32_e32 v1, v1
	s_delay_alu instid0(VALU_DEP_1) | instskip(NEXT) | instid1(VALU_DEP_1)
	v_readfirstlane_b32 s2, v1
	s_mul_i32 s3, s3, s2
	s_delay_alu instid0(SALU_CYCLE_1) | instskip(NEXT) | instid1(SALU_CYCLE_1)
	s_mul_hi_u32 s3, s2, s3
	s_add_i32 s2, s2, s3
	s_delay_alu instid0(SALU_CYCLE_1) | instskip(NEXT) | instid1(SALU_CYCLE_1)
	s_mul_hi_u32 s2, s12, s2
	s_mul_i32 s3, s2, s20
	s_waitcnt lgkmcnt(0)
	s_add_i32 s11, s2, 1
	s_sub_i32 s3, s12, s3
	s_delay_alu instid0(SALU_CYCLE_1)
	s_sub_i32 s12, s3, s20
	s_cmp_ge_u32 s3, s20
	s_cselect_b32 s2, s11, s2
	s_cselect_b32 s3, s12, s3
	s_add_i32 s11, s2, 1
	s_cmp_ge_u32 s3, s20
	s_cselect_b32 s16, s11, s2
.LBB12_3:
	s_waitcnt lgkmcnt(0)
	s_add_i32 s11, s13, 1
	s_mov_b32 s2, 0
	s_mul_hi_i32 s3, s7, s11
	s_mul_i32 s11, s7, s11
	s_cmp_lg_u64 s[2:3], 0
	s_cbranch_scc0 .LBB12_22
; %bb.4:
	v_cvt_f32_ubyte0_e32 v1, 0
	v_cvt_f32_u32_e32 v2, s20
	s_sub_u32 s18, 0, s20
	s_subb_u32 s19, 0, 0
	s_delay_alu instid0(VALU_DEP_1) | instskip(NEXT) | instid1(VALU_DEP_1)
	v_fmamk_f32 v1, v1, 0x4f800000, v2
	v_rcp_f32_e32 v1, v1
	s_waitcnt_depctr 0xfff
	v_mul_f32_e32 v1, 0x5f7ffffc, v1
	s_delay_alu instid0(VALU_DEP_1) | instskip(NEXT) | instid1(VALU_DEP_1)
	v_mul_f32_e32 v2, 0x2f800000, v1
	v_trunc_f32_e32 v2, v2
	s_delay_alu instid0(VALU_DEP_1) | instskip(SKIP_1) | instid1(VALU_DEP_2)
	v_fmamk_f32 v1, v2, 0xcf800000, v1
	v_cvt_u32_f32_e32 v2, v2
	v_cvt_u32_f32_e32 v1, v1
	s_delay_alu instid0(VALU_DEP_2) | instskip(NEXT) | instid1(VALU_DEP_2)
	v_readfirstlane_b32 s12, v2
	v_readfirstlane_b32 s17, v1
	s_delay_alu instid0(VALU_DEP_2) | instskip(NEXT) | instid1(VALU_DEP_1)
	s_mul_i32 s21, s18, s12
	s_mul_hi_u32 s23, s18, s17
	s_mul_i32 s22, s19, s17
	s_add_i32 s21, s23, s21
	s_mul_i32 s24, s18, s17
	s_add_i32 s21, s21, s22
	s_mul_hi_u32 s23, s17, s24
	s_mul_hi_u32 s25, s12, s24
	s_mul_i32 s22, s12, s24
	s_mul_hi_u32 s24, s17, s21
	s_mul_i32 s17, s17, s21
	s_mul_hi_u32 s26, s12, s21
	s_add_u32 s17, s23, s17
	s_addc_u32 s23, 0, s24
	s_add_u32 s17, s17, s22
	s_mul_i32 s21, s12, s21
	s_addc_u32 s17, s23, s25
	s_addc_u32 s22, s26, 0
	s_add_u32 s17, s17, s21
	s_addc_u32 s21, 0, s22
	v_add_co_u32 v1, s17, v1, s17
	s_delay_alu instid0(VALU_DEP_1) | instskip(SKIP_1) | instid1(VALU_DEP_1)
	s_cmp_lg_u32 s17, 0
	s_addc_u32 s12, s12, s21
	v_readfirstlane_b32 s17, v1
	s_mul_i32 s21, s18, s12
	s_delay_alu instid0(VALU_DEP_1)
	s_mul_hi_u32 s22, s18, s17
	s_mul_i32 s19, s19, s17
	s_add_i32 s21, s22, s21
	s_mul_i32 s18, s18, s17
	s_add_i32 s21, s21, s19
	s_mul_hi_u32 s22, s12, s18
	s_mul_i32 s23, s12, s18
	s_mul_hi_u32 s18, s17, s18
	s_mul_hi_u32 s24, s17, s21
	s_mul_i32 s17, s17, s21
	s_mul_hi_u32 s19, s12, s21
	s_add_u32 s17, s18, s17
	s_addc_u32 s18, 0, s24
	s_add_u32 s17, s17, s23
	s_mul_i32 s21, s12, s21
	s_addc_u32 s17, s18, s22
	s_addc_u32 s18, s19, 0
	s_add_u32 s17, s17, s21
	s_addc_u32 s18, 0, s18
	v_add_co_u32 v1, s17, v1, s17
	s_delay_alu instid0(VALU_DEP_1) | instskip(SKIP_2) | instid1(SALU_CYCLE_1)
	s_cmp_lg_u32 s17, 0
	s_addc_u32 s12, s12, s18
	s_ashr_i32 s18, s3, 31
	s_add_u32 s22, s11, s18
	s_addc_u32 s23, s3, s18
	v_readfirstlane_b32 s3, v1
	s_mov_b32 s19, s18
	s_delay_alu instid0(SALU_CYCLE_1) | instskip(NEXT) | instid1(SALU_CYCLE_1)
	s_xor_b64 s[22:23], s[22:23], s[18:19]
	s_mul_i32 s21, s22, s12
	s_delay_alu instid0(VALU_DEP_1)
	s_mul_hi_u32 s24, s22, s3
	s_mul_hi_u32 s17, s22, s12
	;; [unrolled: 1-line block ×3, first 2 shown]
	s_mul_i32 s3, s23, s3
	s_add_u32 s21, s24, s21
	s_addc_u32 s17, 0, s17
	s_mul_hi_u32 s25, s23, s12
	s_add_u32 s3, s21, s3
	s_mul_i32 s12, s23, s12
	s_addc_u32 s3, s17, s26
	s_addc_u32 s17, s25, 0
	s_add_u32 s3, s3, s12
	s_addc_u32 s12, 0, s17
	s_mul_i32 s21, s20, s3
	s_add_u32 s17, s3, 1
	v_sub_co_u32 v1, s21, s22, s21
	s_mul_hi_u32 s22, s20, s3
	s_addc_u32 s24, s12, 0
	s_mul_i32 s25, s20, s12
	s_delay_alu instid0(VALU_DEP_1)
	v_sub_co_u32 v2, s26, v1, s20
	s_add_u32 s27, s3, 2
	s_addc_u32 s28, s12, 0
	s_add_i32 s22, s22, s25
	s_cmp_lg_u32 s21, 0
	v_readfirstlane_b32 s21, v2
	s_subb_u32 s22, s23, s22
	s_cmp_lg_u32 s26, 0
	s_subb_u32 s23, s22, 0
	s_delay_alu instid0(VALU_DEP_1) | instskip(SKIP_4) | instid1(SALU_CYCLE_1)
	s_cmp_ge_u32 s21, s20
	s_cselect_b32 s21, -1, 0
	s_cmp_eq_u32 s23, 0
	v_readfirstlane_b32 s23, v1
	s_cselect_b32 s21, s21, -1
	s_cmp_lg_u32 s21, 0
	s_cselect_b32 s17, s27, s17
	s_cselect_b32 s21, s28, s24
	s_cmp_ge_u32 s23, s20
	s_cselect_b32 s23, -1, 0
	s_cmp_eq_u32 s22, 0
	s_cselect_b32 s22, s23, -1
	s_delay_alu instid0(SALU_CYCLE_1) | instskip(SKIP_2) | instid1(SALU_CYCLE_1)
	s_cmp_lg_u32 s22, 0
	s_cselect_b32 s23, s21, s12
	s_cselect_b32 s22, s17, s3
	s_xor_b64 s[22:23], s[22:23], s[18:19]
	s_delay_alu instid0(SALU_CYCLE_1)
	s_sub_u32 s18, s22, s18
	s_and_not1_b32 vcc_lo, exec_lo, s2
	s_cbranch_vccnz .LBB12_6
.LBB12_5:
	v_cvt_f32_u32_e32 v1, s20
	s_sub_i32 s3, 0, s20
	s_delay_alu instid0(VALU_DEP_1) | instskip(SKIP_2) | instid1(VALU_DEP_1)
	v_rcp_iflag_f32_e32 v1, v1
	s_waitcnt_depctr 0xfff
	v_mul_f32_e32 v1, 0x4f7ffffe, v1
	v_cvt_u32_f32_e32 v1, v1
	s_delay_alu instid0(VALU_DEP_1) | instskip(NEXT) | instid1(VALU_DEP_1)
	v_readfirstlane_b32 s2, v1
	s_mul_i32 s3, s3, s2
	s_delay_alu instid0(SALU_CYCLE_1) | instskip(NEXT) | instid1(SALU_CYCLE_1)
	s_mul_hi_u32 s3, s2, s3
	s_add_i32 s2, s2, s3
	s_delay_alu instid0(SALU_CYCLE_1) | instskip(NEXT) | instid1(SALU_CYCLE_1)
	s_mul_hi_u32 s2, s11, s2
	s_mul_i32 s3, s2, s20
	s_delay_alu instid0(SALU_CYCLE_1)
	s_sub_i32 s3, s11, s3
	s_add_i32 s11, s2, 1
	s_sub_i32 s12, s3, s20
	s_cmp_ge_u32 s3, s20
	s_cselect_b32 s2, s11, s2
	s_cselect_b32 s3, s12, s3
	s_add_i32 s11, s2, 1
	s_cmp_ge_u32 s3, s20
	s_cselect_b32 s18, s11, s2
.LBB12_6:
	s_delay_alu instid0(SALU_CYCLE_1) | instskip(SKIP_3) | instid1(SALU_CYCLE_1)
	s_cmp_eq_u32 s16, s18
	s_mul_hi_u32 s2, s16, s8
	s_cselect_b32 s3, -1, 0
	s_add_i32 s2, s2, s16
	s_lshr_b32 s11, s2, s9
	s_delay_alu instid0(SALU_CYCLE_1) | instskip(NEXT) | instid1(SALU_CYCLE_1)
	s_mul_i32 s2, s11, s10
	s_cmp_eq_u32 s2, s16
	s_mul_hi_u32 s2, s18, s8
	s_cselect_b32 s12, -1, 0
	s_add_i32 s2, s2, s18
	s_delay_alu instid0(SALU_CYCLE_1) | instskip(NEXT) | instid1(SALU_CYCLE_1)
	s_lshr_b32 s2, s2, s9
	s_cmp_eq_u32 s11, s2
	s_mul_i32 s2, s2, s10
	s_cselect_b32 s17, -1, 0
	s_cmp_lg_u32 s2, s18
	s_cselect_b32 s2, -1, 0
	s_or_b32 s3, s3, s12
	s_and_b32 s2, s17, s2
	s_delay_alu instid0(SALU_CYCLE_1) | instskip(NEXT) | instid1(SALU_CYCLE_1)
	s_or_b32 s2, s3, s2
	s_and_b32 vcc_lo, exec_lo, s2
	s_cbranch_vccnz .LBB12_24
; %bb.7:
	s_load_b256 s[24:31], s[0:1], 0x20
	s_waitcnt lgkmcnt(0)
	s_mul_hi_u32 s2, s16, s24
	s_delay_alu instid0(SALU_CYCLE_1) | instskip(NEXT) | instid1(SALU_CYCLE_1)
	s_add_i32 s2, s2, s16
	s_lshr_b32 s17, s2, s25
	s_load_b32 s2, s[0:1], 0x40
	s_mul_i32 s3, s17, s26
	s_delay_alu instid0(SALU_CYCLE_1) | instskip(NEXT) | instid1(SALU_CYCLE_1)
	s_sub_i32 s3, s16, s3
	s_mul_hi_u32 s12, s3, s27
	s_delay_alu instid0(SALU_CYCLE_1) | instskip(NEXT) | instid1(SALU_CYCLE_1)
	s_add_i32 s12, s3, s12
	s_lshr_b32 s21, s12, s28
	s_delay_alu instid0(SALU_CYCLE_1) | instskip(NEXT) | instid1(SALU_CYCLE_1)
	s_mul_i32 s12, s21, s29
	s_sub_i32 s3, s3, s12
	s_delay_alu instid0(SALU_CYCLE_1) | instskip(NEXT) | instid1(SALU_CYCLE_1)
	s_mul_hi_u32 s12, s3, s30
	s_add_i32 s12, s3, s12
	s_delay_alu instid0(SALU_CYCLE_1)
	s_lshr_b32 s12, s12, s31
	s_waitcnt lgkmcnt(0)
	s_mul_i32 s2, s12, s2
	s_lshl_b32 s23, s12, 3
	s_sub_i32 s2, s3, s2
	s_mov_b32 s12, 0
	s_mul_hi_u32 s3, s2, s8
	s_delay_alu instid0(SALU_CYCLE_1) | instskip(NEXT) | instid1(SALU_CYCLE_1)
	s_add_i32 s2, s2, s3
	s_lshr_b32 s22, s2, s9
	s_delay_alu instid0(SALU_CYCLE_1) | instskip(NEXT) | instid1(SALU_CYCLE_1)
	s_lshl_b32 s2, s22, 1
	s_add_i32 s2, s2, s14
	s_delay_alu instid0(SALU_CYCLE_1) | instskip(SKIP_2) | instid1(SALU_CYCLE_1)
	s_cmp_lt_i32 s2, s4
	s_cselect_b32 s2, -1, 0
	s_add_i32 s3, s23, s15
	s_cmp_lt_i32 s3, s6
	s_cselect_b32 s3, -1, 0
	s_delay_alu instid0(SALU_CYCLE_1) | instskip(NEXT) | instid1(SALU_CYCLE_1)
	s_and_b32 s2, s2, s3
	s_and_not1_b32 vcc_lo, exec_lo, s2
	s_cbranch_vccnz .LBB12_24
; %bb.8:
	s_load_b128 s[0:3], s[0:1], 0x0
	s_lshl_b32 s18, s20, 6
	s_mov_b32 s19, s12
	s_lshl_b32 s24, s14, 3
	s_lshl_b64 s[18:19], s[18:19], 2
	s_mul_i32 s4, s17, s4
	s_add_i32 s17, s24, s15
	s_mul_i32 s21, s21, s6
	v_cvt_f32_ubyte0_e32 v4, 0
	v_cvt_f32_u32_e32 v5, s20
	s_waitcnt lgkmcnt(0)
	s_add_u32 s18, s2, s18
	s_addc_u32 s19, s3, s19
	s_add_i32 s4, s4, s14
	s_delay_alu instid0(SALU_CYCLE_1) | instskip(SKIP_4) | instid1(SALU_CYCLE_1)
	s_mul_i32 s4, s4, s5
	s_mul_i32 s5, s5, s22
	s_add_i32 s4, s4, s15
	s_lshl_b32 s5, s5, 8
	s_add_i32 s4, s4, s21
	s_add_i32 s4, s4, s23
	s_delay_alu instid0(SALU_CYCLE_1) | instskip(NEXT) | instid1(SALU_CYCLE_1)
	s_lshl_b32 s4, s4, 7
	s_add_i32 s5, s5, s4
	s_delay_alu instid0(SALU_CYCLE_1) | instskip(SKIP_1) | instid1(VALU_DEP_2)
	v_or_b32_e32 v1, s5, v0
	v_lshl_or_b32 v0, s17, 7, v0
	v_ashrrev_i32_e32 v2, 31, v1
	s_delay_alu instid0(VALU_DEP_1) | instskip(NEXT) | instid1(VALU_DEP_1)
	v_lshlrev_b64 v[1:2], 2, v[1:2]
	v_add_co_u32 v1, vcc_lo, s0, v1
	s_delay_alu instid0(VALU_DEP_2) | instskip(SKIP_1) | instid1(SALU_CYCLE_1)
	v_add_co_ci_u32_e32 v2, vcc_lo, s1, v2, vcc_lo
	s_lshl_b32 s0, s13, 4
	s_add_i32 s0, s17, s0
	global_load_b32 v3, v[1:2], off
	s_ashr_i32 s1, s0, 31
	s_delay_alu instid0(SALU_CYCLE_1) | instskip(NEXT) | instid1(SALU_CYCLE_1)
	s_lshl_b64 s[0:1], s[0:1], 3
	s_add_u32 s0, s2, s0
	s_addc_u32 s1, s3, s1
	s_add_i32 s14, s13, -1
	s_load_b64 s[0:1], s[0:1], 0x0
	v_fmac_f32_e32 v5, 0x4f800000, v4
	s_sub_i32 s6, 0, s20
	s_waitcnt lgkmcnt(0)
	v_mov_b32_e32 v8, s0
	s_delay_alu instid0(VALU_DEP_2) | instskip(SKIP_2) | instid1(VALU_DEP_2)
	v_rcp_f32_e32 v4, v5
	v_cvt_f32_u32_e32 v5, s20
	v_mov_b32_e32 v7, s1
	v_rcp_iflag_f32_e32 v5, v5
	s_waitcnt_depctr 0xfff
	v_mul_f32_e32 v4, 0x5f7ffffc, v4
	s_delay_alu instid0(VALU_DEP_1) | instskip(SKIP_1) | instid1(VALU_DEP_2)
	v_mul_f32_e32 v6, 0x2f800000, v4
	v_mul_f32_e32 v9, 0x4f7ffffe, v5
	v_trunc_f32_e32 v6, v6
	s_delay_alu instid0(VALU_DEP_1) | instskip(SKIP_1) | instid1(VALU_DEP_4)
	v_fmac_f32_e32 v4, 0xcf800000, v6
	v_cvt_u32_f32_e32 v5, v6
	v_cvt_u32_f32_e32 v6, v9
	s_delay_alu instid0(VALU_DEP_3)
	v_cvt_u32_f32_e32 v4, v4
.LBB12_9:                               ; =>This Inner Loop Header: Depth=1
	s_mul_hi_i32 s13, s14, s7
	s_mul_i32 s4, s14, s7
	s_cmp_lg_u64 s[12:13], 0
	s_mov_b32 s5, -1
                                        ; implicit-def: $sgpr0_sgpr1
	s_cbranch_scc0 .LBB12_11
; %bb.10:                               ;   in Loop: Header=BB12_9 Depth=1
	v_readfirstlane_b32 s0, v4
	v_readfirstlane_b32 s1, v5
	s_sub_u32 s5, 0, s20
	s_subb_u32 s15, 0, 0
	s_delay_alu instid0(VALU_DEP_2) | instskip(NEXT) | instid1(VALU_DEP_1)
	s_mul_hi_u32 s21, s5, s0
	s_mul_i32 s22, s5, s1
	s_mul_i32 s23, s15, s0
	s_add_i32 s21, s21, s22
	s_mul_i32 s22, s5, s0
	s_add_i32 s21, s21, s23
	s_mul_hi_u32 s23, s0, s22
	s_mul_i32 s24, s0, s21
	s_mul_hi_u32 s0, s0, s21
	s_add_u32 s23, s23, s24
	s_mul_i32 s25, s1, s22
	s_addc_u32 s0, 0, s0
	s_mul_hi_u32 s22, s1, s22
	s_mul_hi_u32 s24, s1, s21
	s_add_u32 s23, s23, s25
	s_addc_u32 s0, s0, s22
	s_mul_i32 s21, s1, s21
	s_addc_u32 s22, s24, 0
	s_add_u32 s0, s0, s21
	s_addc_u32 s21, 0, s22
	v_add_co_u32 v9, s0, v4, s0
	s_delay_alu instid0(VALU_DEP_1) | instskip(SKIP_1) | instid1(VALU_DEP_1)
	s_cmp_lg_u32 s0, 0
	s_addc_u32 s1, s1, s21
	v_readfirstlane_b32 s0, v9
	s_mul_i32 s21, s5, s1
	s_delay_alu instid0(VALU_DEP_1)
	s_mul_hi_u32 s22, s5, s0
	s_mul_i32 s15, s15, s0
	s_add_i32 s21, s22, s21
	s_mul_i32 s5, s5, s0
	s_add_i32 s21, s21, s15
	s_mul_hi_u32 s15, s1, s5
	s_mul_i32 s23, s1, s5
	s_mul_i32 s24, s0, s21
	s_mul_hi_u32 s5, s0, s5
	s_mul_hi_u32 s0, s0, s21
	s_add_u32 s5, s5, s24
	s_addc_u32 s0, 0, s0
	s_mul_hi_u32 s22, s1, s21
	s_add_u32 s5, s5, s23
	s_addc_u32 s0, s0, s15
	s_mul_i32 s5, s1, s21
	s_addc_u32 s15, s22, 0
	s_add_u32 s0, s0, s5
	s_addc_u32 s5, 0, s15
	v_add_co_u32 v9, s0, v9, s0
	s_delay_alu instid0(VALU_DEP_1) | instskip(SKIP_2) | instid1(SALU_CYCLE_1)
	s_cmp_lg_u32 s0, 0
	s_addc_u32 s5, s1, s5
	s_ashr_i32 s0, s13, 31
	s_add_u32 s22, s4, s0
	s_addc_u32 s23, s13, s0
	v_readfirstlane_b32 s13, v9
	s_mov_b32 s1, s0
	s_delay_alu instid0(SALU_CYCLE_1) | instskip(NEXT) | instid1(SALU_CYCLE_1)
	s_xor_b64 s[22:23], s[22:23], s[0:1]
	s_mul_i32 s15, s22, s5
	s_delay_alu instid0(VALU_DEP_1)
	s_mul_hi_u32 s21, s22, s13
	s_mul_hi_u32 s24, s22, s5
	s_add_u32 s15, s21, s15
	s_mul_i32 s25, s23, s13
	s_addc_u32 s21, 0, s24
	s_mul_hi_u32 s13, s23, s13
	s_mul_hi_u32 s24, s23, s5
	s_add_u32 s15, s15, s25
	s_addc_u32 s13, s21, s13
	s_mul_i32 s5, s23, s5
	s_addc_u32 s15, s24, 0
	s_add_u32 s5, s13, s5
	s_addc_u32 s13, 0, s15
	s_mul_i32 s21, s20, s5
	s_add_u32 s15, s5, 1
	v_sub_co_u32 v9, s21, s22, s21
	s_addc_u32 s22, s13, 0
	s_mul_i32 s25, s20, s13
	s_mul_hi_u32 s27, s20, s5
	s_delay_alu instid0(VALU_DEP_1)
	v_sub_co_u32 v10, s26, v9, s20
	s_add_u32 s24, s5, 2
	s_addc_u32 s28, s13, 0
	s_add_i32 s27, s27, s25
	s_cmp_lg_u32 s21, 0
	v_readfirstlane_b32 s21, v10
	s_subb_u32 s23, s23, s27
	s_cmp_lg_u32 s26, 0
	s_subb_u32 s25, s23, 0
	s_delay_alu instid0(VALU_DEP_1) | instskip(SKIP_4) | instid1(SALU_CYCLE_1)
	s_cmp_ge_u32 s21, s20
	s_cselect_b32 s21, -1, 0
	s_cmp_eq_u32 s25, 0
	v_readfirstlane_b32 s25, v9
	s_cselect_b32 s21, s21, -1
	s_cmp_lg_u32 s21, 0
	s_cselect_b32 s15, s24, s15
	s_cselect_b32 s21, s28, s22
	s_cmp_ge_u32 s25, s20
	s_cselect_b32 s22, -1, 0
	s_cmp_eq_u32 s23, 0
	s_cselect_b32 s22, s22, -1
	s_delay_alu instid0(SALU_CYCLE_1) | instskip(SKIP_4) | instid1(SALU_CYCLE_1)
	s_cmp_lg_u32 s22, 0
	s_cselect_b32 s23, s21, s13
	s_cselect_b32 s22, s15, s5
	s_mov_b32 s5, 0
	s_xor_b64 s[22:23], s[22:23], s[0:1]
	s_sub_u32 s0, s22, s0
.LBB12_11:                              ;   in Loop: Header=BB12_9 Depth=1
	s_and_not1_b32 vcc_lo, exec_lo, s5
	s_cbranch_vccnz .LBB12_13
; %bb.12:                               ;   in Loop: Header=BB12_9 Depth=1
	v_readfirstlane_b32 s0, v6
	s_delay_alu instid0(VALU_DEP_1) | instskip(NEXT) | instid1(SALU_CYCLE_1)
	s_mul_i32 s1, s6, s0
	s_mul_hi_u32 s1, s0, s1
	s_delay_alu instid0(SALU_CYCLE_1) | instskip(NEXT) | instid1(SALU_CYCLE_1)
	s_add_i32 s0, s0, s1
	s_mul_hi_u32 s0, s4, s0
	s_delay_alu instid0(SALU_CYCLE_1) | instskip(NEXT) | instid1(SALU_CYCLE_1)
	s_mul_i32 s1, s0, s20
	s_sub_i32 s1, s4, s1
	s_add_i32 s4, s0, 1
	s_sub_i32 s5, s1, s20
	s_cmp_ge_u32 s1, s20
	s_cselect_b32 s0, s4, s0
	s_cselect_b32 s1, s5, s1
	s_add_i32 s4, s0, 1
	s_cmp_ge_u32 s1, s20
	s_cselect_b32 s0, s4, s0
.LBB12_13:                              ;   in Loop: Header=BB12_9 Depth=1
	s_delay_alu instid0(SALU_CYCLE_1)
	s_cmp_lg_u32 s16, s0
	s_cbranch_scc0 .LBB12_17
; %bb.14:                               ;   in Loop: Header=BB12_9 Depth=1
	s_add_i32 s1, s14, s20
	s_mov_b32 s5, s12
	s_lshl_b32 s1, s1, 4
	s_mov_b32 s15, s16
	s_add_i32 s4, s1, s17
	s_mul_hi_u32 s1, s0, s8
	s_lshl_b64 s[4:5], s[4:5], 3
	s_delay_alu instid0(SALU_CYCLE_1) | instskip(SKIP_2) | instid1(SALU_CYCLE_1)
	s_add_u32 s4, s2, s4
	s_addc_u32 s5, s3, s5
	s_add_i32 s1, s1, s0
	s_lshr_b32 s1, s1, s9
	s_delay_alu instid0(SALU_CYCLE_1) | instskip(NEXT) | instid1(SALU_CYCLE_1)
	s_mul_i32 s13, s1, s10
	s_cmp_eq_u32 s13, s0
	s_cselect_b32 s13, -1, 0
	s_cmp_lt_u32 s1, s11
	s_cselect_b32 s1, -1, 0
	s_delay_alu instid0(SALU_CYCLE_1)
	s_or_b32 s1, s1, s13
	s_mov_b32 s13, -1
	s_and_b32 vcc_lo, exec_lo, s1
	s_mov_b32 s1, s14
	s_cbranch_vccnz .LBB12_16
; %bb.15:                               ;   in Loop: Header=BB12_9 Depth=1
	s_add_i32 s1, s14, -1
	s_mov_b32 s13, 0
	s_mov_b32 s15, s0
.LBB12_16:                              ;   in Loop: Header=BB12_9 Depth=1
	v_lshl_add_u32 v9, s14, 11, v0
	s_load_b64 s[4:5], s[4:5], 0x0
	s_delay_alu instid0(VALU_DEP_1) | instskip(NEXT) | instid1(VALU_DEP_1)
	v_ashrrev_i32_e32 v10, 31, v9
	v_lshlrev_b64 v[9:10], 2, v[9:10]
	s_delay_alu instid0(VALU_DEP_1) | instskip(NEXT) | instid1(VALU_DEP_2)
	v_add_co_u32 v9, vcc_lo, s18, v9
	v_add_co_ci_u32_e32 v10, vcc_lo, s19, v10, vcc_lo
	s_waitcnt lgkmcnt(0)
	v_max_f32_e64 v11, s4, s4
	global_load_b32 v10, v[9:10], off
	v_max_f32_e32 v9, v8, v8
	s_delay_alu instid0(VALU_DEP_1) | instskip(NEXT) | instid1(VALU_DEP_1)
	v_max_f32_e32 v9, v9, v11
	v_sub_f32_e32 v12, v8, v9
	s_delay_alu instid0(VALU_DEP_1) | instskip(NEXT) | instid1(VALU_DEP_1)
	v_dual_mul_f32 v14, 0x3fb8aa3b, v12 :: v_dual_sub_f32 v11, s4, v9
	v_rndne_f32_e32 v18, v14
	s_delay_alu instid0(VALU_DEP_2) | instskip(SKIP_2) | instid1(VALU_DEP_4)
	v_mul_f32_e32 v13, 0x3fb8aa3b, v11
	v_fma_f32 v17, 0x3fb8aa3b, v12, -v14
	v_cmp_ngt_f32_e32 vcc_lo, 0xc2ce8ed0, v11
	v_sub_f32_e32 v14, v14, v18
	s_delay_alu instid0(VALU_DEP_4) | instskip(SKIP_2) | instid1(VALU_DEP_3)
	v_fma_f32 v15, 0x3fb8aa3b, v11, -v13
	v_rndne_f32_e32 v16, v13
	v_fmac_f32_e32 v17, 0x32a5705f, v12
	v_fmac_f32_e32 v15, 0x32a5705f, v11
	s_delay_alu instid0(VALU_DEP_2) | instskip(NEXT) | instid1(VALU_DEP_1)
	v_dual_sub_f32 v13, v13, v16 :: v_dual_add_f32 v14, v14, v17
	v_add_f32_e32 v13, v13, v15
	s_delay_alu instid0(VALU_DEP_2) | instskip(SKIP_2) | instid1(VALU_DEP_3)
	v_exp_f32_e32 v14, v14
	v_cvt_i32_f32_e32 v15, v16
	v_cvt_i32_f32_e32 v16, v18
	v_exp_f32_e32 v13, v13
	s_waitcnt_depctr 0xfff
	v_ldexp_f32 v14, v14, v16
	v_ldexp_f32 v13, v13, v15
	s_delay_alu instid0(VALU_DEP_1) | instskip(SKIP_1) | instid1(VALU_DEP_4)
	v_cndmask_b32_e32 v13, 0, v13, vcc_lo
	v_cmp_ngt_f32_e32 vcc_lo, 0xc2ce8ed0, v12
	v_cndmask_b32_e32 v14, 0, v14, vcc_lo
	v_cmp_nlt_f32_e32 vcc_lo, 0x42b17218, v11
	s_delay_alu instid0(VALU_DEP_4) | instskip(SKIP_1) | instid1(VALU_DEP_4)
	v_cndmask_b32_e32 v13, 0x7f800000, v13, vcc_lo
	v_cmp_nlt_f32_e32 vcc_lo, 0x42b17218, v12
	v_cndmask_b32_e32 v14, 0x7f800000, v14, vcc_lo
	v_cmp_le_f32_e32 vcc_lo, 0xc1a00000, v11
	s_delay_alu instid0(VALU_DEP_4) | instskip(SKIP_1) | instid1(VALU_DEP_4)
	v_cndmask_b32_e32 v11, 0, v13, vcc_lo
	v_cmp_le_f32_e32 vcc_lo, 0xc1a00000, v12
	v_cndmask_b32_e32 v12, 0, v14, vcc_lo
	s_waitcnt vmcnt(0)
	s_delay_alu instid0(VALU_DEP_3) | instskip(NEXT) | instid1(VALU_DEP_1)
	v_mul_f32_e32 v10, v10, v11
	v_dual_mul_f32 v11, s5, v11 :: v_dual_fmac_f32 v10, v3, v12
	s_delay_alu instid0(VALU_DEP_1)
	v_fmac_f32_e32 v11, v7, v12
	s_cbranch_execz .LBB12_18
	s_branch .LBB12_19
.LBB12_17:                              ;   in Loop: Header=BB12_9 Depth=1
                                        ; implicit-def: $sgpr13
                                        ; implicit-def: $vgpr10
                                        ; implicit-def: $vgpr9
                                        ; implicit-def: $vgpr11
                                        ; implicit-def: $sgpr1
                                        ; implicit-def: $sgpr15
.LBB12_18:                              ;   in Loop: Header=BB12_9 Depth=1
	v_mov_b32_e32 v11, v7
	s_waitcnt vmcnt(0)
	v_dual_mov_b32 v9, v8 :: v_dual_mov_b32 v10, v3
	s_add_i32 s1, s14, -1
	s_mov_b32 s13, 0
	s_mov_b32 s15, s16
.LBB12_19:                              ;   in Loop: Header=BB12_9 Depth=1
	s_and_not1_b32 vcc_lo, exec_lo, s13
	s_cbranch_vccz .LBB12_23
; %bb.20:                               ;   in Loop: Header=BB12_9 Depth=1
	v_dual_mov_b32 v7, v11 :: v_dual_mov_b32 v8, v9
	s_waitcnt vmcnt(0)
	v_mov_b32_e32 v3, v10
	s_mov_b32 s16, s15
	s_mov_b32 s14, s1
	s_branch .LBB12_9
.LBB12_21:
                                        ; implicit-def: $sgpr16_sgpr17
	s_load_b128 s[8:11], s[0:1], 0x44
	s_branch .LBB12_2
.LBB12_22:
                                        ; implicit-def: $sgpr18_sgpr19
	s_branch .LBB12_5
.LBB12_23:
	v_div_scale_f32 v0, null, v11, v11, v10
	s_waitcnt vmcnt(0)
	s_delay_alu instid0(VALU_DEP_1) | instskip(SKIP_2) | instid1(VALU_DEP_1)
	v_rcp_f32_e32 v3, v0
	s_waitcnt_depctr 0xfff
	v_fma_f32 v4, -v0, v3, 1.0
	v_fmac_f32_e32 v3, v4, v3
	v_div_scale_f32 v4, vcc_lo, v10, v11, v10
	s_delay_alu instid0(VALU_DEP_1) | instskip(NEXT) | instid1(VALU_DEP_1)
	v_mul_f32_e32 v5, v4, v3
	v_fma_f32 v6, -v0, v5, v4
	s_delay_alu instid0(VALU_DEP_1) | instskip(NEXT) | instid1(VALU_DEP_1)
	v_fmac_f32_e32 v5, v6, v3
	v_fma_f32 v0, -v0, v5, v4
	s_delay_alu instid0(VALU_DEP_1) | instskip(NEXT) | instid1(VALU_DEP_1)
	v_div_fmas_f32 v0, v0, v3, v5
	v_div_fixup_f32 v0, v0, v11, v10
	global_store_b32 v[1:2], v0, off
.LBB12_24:
	s_nop 0
	s_sendmsg sendmsg(MSG_DEALLOC_VGPRS)
	s_endpgm
	.section	.rodata,"a",@progbits
	.p2align	6, 0x0
	.amdhsa_kernel _ZL33flash_attn_stream_k_fixup_generalILi128ELi2ELi8EEvPfPK15HIP_vector_typeIfLj2EEiiiiS1_IjLj3EES5_S5_S5_
		.amdhsa_group_segment_fixed_size 0
		.amdhsa_private_segment_fixed_size 0
		.amdhsa_kernarg_size 336
		.amdhsa_user_sgpr_count 13
		.amdhsa_user_sgpr_dispatch_ptr 0
		.amdhsa_user_sgpr_queue_ptr 0
		.amdhsa_user_sgpr_kernarg_segment_ptr 1
		.amdhsa_user_sgpr_dispatch_id 0
		.amdhsa_user_sgpr_private_segment_size 0
		.amdhsa_wavefront_size32 1
		.amdhsa_uses_dynamic_stack 0
		.amdhsa_enable_private_segment 0
		.amdhsa_system_sgpr_workgroup_id_x 1
		.amdhsa_system_sgpr_workgroup_id_y 1
		.amdhsa_system_sgpr_workgroup_id_z 1
		.amdhsa_system_sgpr_workgroup_info 0
		.amdhsa_system_vgpr_workitem_id 0
		.amdhsa_next_free_vgpr 19
		.amdhsa_next_free_sgpr 32
		.amdhsa_reserve_vcc 1
		.amdhsa_float_round_mode_32 0
		.amdhsa_float_round_mode_16_64 0
		.amdhsa_float_denorm_mode_32 3
		.amdhsa_float_denorm_mode_16_64 3
		.amdhsa_dx10_clamp 1
		.amdhsa_ieee_mode 1
		.amdhsa_fp16_overflow 0
		.amdhsa_workgroup_processor_mode 1
		.amdhsa_memory_ordered 1
		.amdhsa_forward_progress 0
		.amdhsa_shared_vgpr_count 0
		.amdhsa_exception_fp_ieee_invalid_op 0
		.amdhsa_exception_fp_denorm_src 0
		.amdhsa_exception_fp_ieee_div_zero 0
		.amdhsa_exception_fp_ieee_overflow 0
		.amdhsa_exception_fp_ieee_underflow 0
		.amdhsa_exception_fp_ieee_inexact 0
		.amdhsa_exception_int_div_zero 0
	.end_amdhsa_kernel
	.section	.text._ZL33flash_attn_stream_k_fixup_generalILi128ELi2ELi8EEvPfPK15HIP_vector_typeIfLj2EEiiiiS1_IjLj3EES5_S5_S5_,"axG",@progbits,_ZL33flash_attn_stream_k_fixup_generalILi128ELi2ELi8EEvPfPK15HIP_vector_typeIfLj2EEiiiiS1_IjLj3EES5_S5_S5_,comdat
.Lfunc_end12:
	.size	_ZL33flash_attn_stream_k_fixup_generalILi128ELi2ELi8EEvPfPK15HIP_vector_typeIfLj2EEiiiiS1_IjLj3EES5_S5_S5_, .Lfunc_end12-_ZL33flash_attn_stream_k_fixup_generalILi128ELi2ELi8EEvPfPK15HIP_vector_typeIfLj2EEiiiiS1_IjLj3EES5_S5_S5_
                                        ; -- End function
	.section	.AMDGPU.csdata,"",@progbits
; Kernel info:
; codeLenInByte = 3224
; NumSgprs: 34
; NumVgprs: 19
; ScratchSize: 0
; MemoryBound: 0
; FloatMode: 240
; IeeeMode: 1
; LDSByteSize: 0 bytes/workgroup (compile time only)
; SGPRBlocks: 4
; VGPRBlocks: 2
; NumSGPRsForWavesPerEU: 34
; NumVGPRsForWavesPerEU: 19
; Occupancy: 16
; WaveLimiterHint : 0
; COMPUTE_PGM_RSRC2:SCRATCH_EN: 0
; COMPUTE_PGM_RSRC2:USER_SGPR: 13
; COMPUTE_PGM_RSRC2:TRAP_HANDLER: 0
; COMPUTE_PGM_RSRC2:TGID_X_EN: 1
; COMPUTE_PGM_RSRC2:TGID_Y_EN: 1
; COMPUTE_PGM_RSRC2:TGID_Z_EN: 1
; COMPUTE_PGM_RSRC2:TIDIG_COMP_CNT: 0
	.section	.text._ZL15flash_attn_tileILi128ELi128ELi1ELi8ELb0EEvPKcS1_S1_S1_S1_PKiPfP15HIP_vector_typeIfLj2EEffffjfiS5_IjLj3EEiiiiiiiiiiiliiliiiiil,"axG",@progbits,_ZL15flash_attn_tileILi128ELi128ELi1ELi8ELb0EEvPKcS1_S1_S1_S1_PKiPfP15HIP_vector_typeIfLj2EEffffjfiS5_IjLj3EEiiiiiiiiiiiliiliiiiil,comdat
	.globl	_ZL15flash_attn_tileILi128ELi128ELi1ELi8ELb0EEvPKcS1_S1_S1_S1_PKiPfP15HIP_vector_typeIfLj2EEffffjfiS5_IjLj3EEiiiiiiiiiiiliiliiiiil ; -- Begin function _ZL15flash_attn_tileILi128ELi128ELi1ELi8ELb0EEvPKcS1_S1_S1_S1_PKiPfP15HIP_vector_typeIfLj2EEffffjfiS5_IjLj3EEiiiiiiiiiiiliiliiiiil
	.p2align	8
	.type	_ZL15flash_attn_tileILi128ELi128ELi1ELi8ELb0EEvPKcS1_S1_S1_S1_PKiPfP15HIP_vector_typeIfLj2EEffffjfiS5_IjLj3EEiiiiiiiiiiiliiliiiiil,@function
_ZL15flash_attn_tileILi128ELi128ELi1ELi8ELb0EEvPKcS1_S1_S1_S1_PKiPfP15HIP_vector_typeIfLj2EEffffjfiS5_IjLj3EEiiiiiiiiiiiliiliiiiil: ; @_ZL15flash_attn_tileILi128ELi128ELi1ELi8ELb0EEvPKcS1_S1_S1_S1_PKiPfP15HIP_vector_typeIfLj2EEffffjfiS5_IjLj3EEiiiiiiiiiiiliiliiiiil
; %bb.0:
	s_clause 0x1
	s_load_b128 s[36:39], s[0:1], 0x5c
	s_load_b64 s[34:35], s[0:1], 0x80
	s_mov_b64 s[40:41], 0
	s_waitcnt lgkmcnt(0)
	s_ashr_i32 s2, s39, 31
	s_delay_alu instid0(SALU_CYCLE_1) | instskip(NEXT) | instid1(SALU_CYCLE_1)
	s_lshr_b32 s2, s2, 29
	s_add_i32 s2, s39, s2
	s_delay_alu instid0(SALU_CYCLE_1) | instskip(NEXT) | instid1(SALU_CYCLE_1)
	s_ashr_i32 s2, s2, 3
	v_cvt_f32_u32_e32 v1, s2
	s_sub_i32 s4, 0, s2
	s_delay_alu instid0(VALU_DEP_1) | instskip(SKIP_2) | instid1(VALU_DEP_1)
	v_rcp_iflag_f32_e32 v1, v1
	s_waitcnt_depctr 0xfff
	v_mul_f32_e32 v1, 0x4f7ffffe, v1
	v_cvt_u32_f32_e32 v1, v1
	s_delay_alu instid0(VALU_DEP_1) | instskip(NEXT) | instid1(VALU_DEP_1)
	v_readfirstlane_b32 s3, v1
	s_mul_i32 s4, s4, s3
	s_delay_alu instid0(SALU_CYCLE_1) | instskip(NEXT) | instid1(SALU_CYCLE_1)
	s_mul_hi_u32 s4, s3, s4
	s_add_i32 s3, s3, s4
	s_delay_alu instid0(SALU_CYCLE_1) | instskip(NEXT) | instid1(SALU_CYCLE_1)
	s_mul_hi_u32 s3, s15, s3
	s_mul_i32 s4, s3, s2
	s_add_i32 s5, s3, 1
	s_sub_i32 s4, s15, s4
	s_delay_alu instid0(SALU_CYCLE_1)
	s_sub_i32 s6, s4, s2
	s_cmp_ge_u32 s4, s2
	s_cselect_b32 s3, s5, s3
	s_cselect_b32 s4, s6, s4
	s_add_i32 s5, s3, 1
	s_cmp_ge_u32 s4, s2
	s_cselect_b32 s33, s5, s3
	s_abs_i32 s2, s35
	s_abs_i32 s7, s39
	v_cvt_f32_u32_e32 v1, s2
	s_sub_i32 s4, 0, s2
	s_lshl_b32 s5, s15, 3
	s_mul_i32 s6, s33, s39
	s_delay_alu instid0(VALU_DEP_1) | instskip(SKIP_3) | instid1(VALU_DEP_1)
	v_rcp_iflag_f32_e32 v1, v1
	s_sub_i32 s15, s5, s6
	s_waitcnt_depctr 0xfff
	v_mul_f32_e32 v1, 0x4f7ffffe, v1
	v_cvt_u32_f32_e32 v1, v1
	s_delay_alu instid0(VALU_DEP_1) | instskip(NEXT) | instid1(VALU_DEP_1)
	v_readfirstlane_b32 s3, v1
	s_mul_i32 s4, s4, s3
	s_delay_alu instid0(SALU_CYCLE_1) | instskip(NEXT) | instid1(SALU_CYCLE_1)
	s_mul_hi_u32 s4, s3, s4
	s_add_i32 s3, s3, s4
	s_xor_b32 s4, s39, s35
	s_mul_hi_u32 s3, s7, s3
	s_ashr_i32 s4, s4, 31
	s_mul_i32 s5, s3, s2
	s_add_i32 s6, s3, 1
	s_sub_i32 s5, s7, s5
	s_delay_alu instid0(SALU_CYCLE_1)
	s_sub_i32 s7, s5, s2
	s_cmp_ge_u32 s5, s2
	s_cselect_b32 s3, s6, s3
	s_cselect_b32 s5, s7, s5
	s_add_i32 s6, s3, 1
	s_cmp_ge_u32 s5, s2
	s_cselect_b32 s2, s6, s3
	s_delay_alu instid0(SALU_CYCLE_1) | instskip(NEXT) | instid1(SALU_CYCLE_1)
	s_xor_b32 s2, s2, s4
	s_sub_i32 s9, s2, s4
	s_clause 0x1
	s_load_b512 s[16:31], s[0:1], 0x0
	s_load_b64 s[2:3], s[0:1], 0xb8
	s_abs_i32 s8, s9
	s_delay_alu instid0(SALU_CYCLE_1) | instskip(NEXT) | instid1(VALU_DEP_1)
	v_cvt_f32_u32_e32 v1, s8
	v_rcp_iflag_f32_e32 v1, v1
	s_waitcnt_depctr 0xfff
	v_mul_f32_e32 v1, 0x4f7ffffe, v1
	s_waitcnt lgkmcnt(0)
	s_cmp_eq_u64 s[22:23], 0
	s_delay_alu instid0(VALU_DEP_1) | instskip(NEXT) | instid1(VALU_DEP_1)
	v_cvt_u32_f32_e32 v1, v1
	v_readfirstlane_b32 s10, v1
	s_cbranch_scc1 .LBB13_2
; %bb.1:
	s_abs_i32 s2, s2
	s_abs_i32 s6, s33
	v_cvt_f32_u32_e32 v1, s2
	s_sub_i32 s5, 0, s2
	s_delay_alu instid0(VALU_DEP_1) | instskip(SKIP_2) | instid1(VALU_DEP_1)
	v_rcp_iflag_f32_e32 v1, v1
	s_waitcnt_depctr 0xfff
	v_mul_f32_e32 v1, 0x4f7ffffe, v1
	v_cvt_u32_f32_e32 v1, v1
	s_delay_alu instid0(VALU_DEP_1) | instskip(NEXT) | instid1(VALU_DEP_1)
	v_readfirstlane_b32 s4, v1
	s_mul_i32 s5, s5, s4
	s_delay_alu instid0(SALU_CYCLE_1) | instskip(NEXT) | instid1(SALU_CYCLE_1)
	s_mul_hi_u32 s5, s4, s5
	s_add_i32 s7, s4, s5
	s_load_b64 s[4:5], s[0:1], 0xc8
	s_mul_hi_u32 s7, s6, s7
	s_delay_alu instid0(SALU_CYCLE_1) | instskip(NEXT) | instid1(SALU_CYCLE_1)
	s_mul_i32 s7, s7, s2
	s_sub_i32 s6, s6, s7
	s_ashr_i32 s7, s33, 31
	s_sub_i32 s11, s6, s2
	s_cmp_ge_u32 s6, s2
	s_cselect_b32 s6, s11, s6
	s_delay_alu instid0(SALU_CYCLE_1) | instskip(SKIP_2) | instid1(SALU_CYCLE_1)
	s_sub_i32 s11, s6, s2
	s_cmp_ge_u32 s6, s2
	s_cselect_b32 s2, s11, s6
	s_xor_b32 s2, s2, s7
	s_delay_alu instid0(SALU_CYCLE_1)
	s_sub_i32 s2, s2, s7
	s_waitcnt lgkmcnt(0)
	s_mul_i32 s5, s2, s5
	s_mul_hi_u32 s6, s2, s4
	s_ashr_i32 s7, s2, 31
	s_add_i32 s5, s6, s5
	s_mul_i32 s7, s7, s4
	s_mul_i32 s2, s2, s4
	s_add_i32 s5, s5, s7
	s_add_u32 s40, s22, s2
	s_addc_u32 s41, s23, s5
.LBB13_2:
	s_load_b128 s[4:7], s[0:1], 0x70
	v_bfe_u32 v1, v0, 10, 10
	v_and_b32_e32 v17, 0x3ff, v0
	s_delay_alu instid0(VALU_DEP_2) | instskip(SKIP_1) | instid1(VALU_DEP_3)
	v_lshrrev_b32_e32 v2, 2, v1
	v_lshlrev_b32_e32 v3, 1, v1
	v_lshlrev_b32_e32 v0, 4, v17
	s_delay_alu instid0(VALU_DEP_3) | instskip(NEXT) | instid1(VALU_DEP_3)
	v_add_nc_u32_e32 v16, s13, v2
	v_or_b32_e32 v13, 1, v3
	v_and_b32_e32 v38, 6, v3
	s_delay_alu instid0(VALU_DEP_3) | instskip(NEXT) | instid1(VALU_DEP_3)
	v_mul_hi_u32 v2, s36, v16
	v_and_b32_e32 v14, 7, v13
	v_lshlrev_b32_e32 v19, 6, v13
	s_waitcnt lgkmcnt(0)
	s_mul_i32 s2, s33, s6
	s_mul_i32 s6, s15, s5
	s_ashr_i32 s7, s2, 31
	s_add_u32 s2, s16, s2
	s_addc_u32 s7, s17, s7
	s_ashr_i32 s11, s6, 31
	s_add_u32 s2, s2, s6
	s_addc_u32 s6, s7, s11
	s_ashr_i32 s7, s4, 31
	s_delay_alu instid0(SALU_CYCLE_1) | instskip(SKIP_1) | instid1(SALU_CYCLE_1)
	v_alignbit_b32 v6, s7, s4, 2
	s_ashr_i32 s4, s5, 31
	v_alignbit_b32 v10, s4, s5, 2
	s_lshr_b32 s5, s7, 2
	s_lshr_b32 s4, s4, 2
	s_cmp_eq_u64 s[26:27], 0
	s_delay_alu instid0(VALU_DEP_1) | instskip(SKIP_1) | instid1(VALU_DEP_1)
	v_mad_u64_u32 v[8:9], null, v10, v14, 0
	v_add_nc_u32_e32 v2, v16, v2
	v_lshrrev_b32_e32 v2, s37, v2
	s_delay_alu instid0(VALU_DEP_1) | instskip(NEXT) | instid1(VALU_DEP_1)
	v_mul_lo_u32 v2, v2, s38
	v_sub_nc_u32_e32 v2, v16, v2
	s_delay_alu instid0(VALU_DEP_1) | instskip(SKIP_1) | instid1(VALU_DEP_1)
	v_mad_u64_u32 v[4:5], null, v6, v2, 0
	v_mad_u64_u32 v[6:7], null, v10, v38, 0
	;; [unrolled: 1-line block ×3, first 2 shown]
	s_delay_alu instid0(VALU_DEP_2) | instskip(SKIP_1) | instid1(VALU_DEP_2)
	v_mov_b32_e32 v5, v7
	v_mov_b32_e32 v7, v9
	v_mad_u64_u32 v[11:12], null, s4, v38, v[5:6]
	s_delay_alu instid0(VALU_DEP_4) | instskip(NEXT) | instid1(VALU_DEP_3)
	v_mov_b32_e32 v5, v10
	v_mad_u64_u32 v[9:10], null, s4, v14, v[7:8]
	v_lshlrev_b32_e32 v12, 7, v1
	s_delay_alu instid0(VALU_DEP_3) | instskip(SKIP_1) | instid1(VALU_DEP_2)
	v_lshlrev_b64 v[4:5], 2, v[4:5]
	v_mov_b32_e32 v7, v11
	v_add_co_u32 v10, vcc_lo, s2, v4
	s_delay_alu instid0(VALU_DEP_3) | instskip(NEXT) | instid1(VALU_DEP_3)
	v_add_co_ci_u32_e32 v11, vcc_lo, s6, v5, vcc_lo
	v_lshlrev_b64 v[4:5], 2, v[6:7]
	s_delay_alu instid0(VALU_DEP_3) | instskip(NEXT) | instid1(VALU_DEP_3)
	v_add_co_u32 v0, vcc_lo, v10, v0
	v_add_co_ci_u32_e32 v10, vcc_lo, 0, v11, vcc_lo
	v_lshlrev_b64 v[6:7], 2, v[8:9]
	s_delay_alu instid0(VALU_DEP_3) | instskip(NEXT) | instid1(VALU_DEP_3)
	v_add_co_u32 v4, vcc_lo, v0, v4
	v_add_co_ci_u32_e32 v5, vcc_lo, v10, v5, vcc_lo
	s_load_b32 s2, s[0:1], 0x40
	s_delay_alu instid0(VALU_DEP_3) | instskip(NEXT) | instid1(VALU_DEP_4)
	v_add_co_u32 v8, vcc_lo, v0, v6
	v_add_co_ci_u32_e32 v9, vcc_lo, v10, v7, vcc_lo
	s_clause 0x1
	global_load_b128 v[4:7], v[4:5], off
	global_load_b128 v[8:11], v[8:9], off
	v_lshlrev_b32_e32 v0, 1, v17
	s_delay_alu instid0(VALU_DEP_1)
	v_add_lshl_u32 v18, v12, v0, 2
	v_add_lshl_u32 v0, v19, v0, 2
	s_waitcnt vmcnt(1) lgkmcnt(0)
	v_fma_mixlo_f16 v13, v6, s2, 0
	v_fma_mixlo_f16 v12, v4, s2, 0
	s_waitcnt vmcnt(0)
	v_fma_mixlo_f16 v15, v10, s2, 0
	v_fma_mixlo_f16 v14, v8, s2, 0
	v_fma_mixhi_f16 v13, v7, s2, 0
	v_fma_mixhi_f16 v12, v5, s2, 0
	s_delay_alu instid0(VALU_DEP_4) | instskip(NEXT) | instid1(VALU_DEP_4)
	v_fma_mixhi_f16 v15, v11, s2, 0
	v_fma_mixhi_f16 v14, v9, s2, 0
	ds_store_b64 v18, v[12:13] offset:9216
	ds_store_b64 v0, v[14:15] offset:9216
	s_waitcnt lgkmcnt(0)
	s_barrier
	buffer_gl0_inv
	s_cbranch_scc1 .LBB13_4
; %bb.3:
	s_load_b32 s2, s[0:1], 0xd0
	s_mov_b32 s5, 0
	s_waitcnt lgkmcnt(0)
	s_mul_i32 s2, s2, s33
	s_delay_alu instid0(SALU_CYCLE_1) | instskip(NEXT) | instid1(SALU_CYCLE_1)
	s_add_i32 s4, s2, s13
	s_lshl_b64 s[4:5], s[4:5], 2
	s_delay_alu instid0(SALU_CYCLE_1)
	s_add_u32 s4, s26, s4
	s_addc_u32 s5, s27, s5
	s_load_b32 s34, s[4:5], 0x0
.LBB13_4:
	v_mbcnt_lo_u32_b32 v39, -1, 0
	s_lshl_b32 s13, s14, 6
	s_waitcnt lgkmcnt(0)
	s_cmp_lt_i32 s13, s34
	s_cbranch_scc1 .LBB13_6
; %bb.5:
	v_mbcnt_lo_u32_b32 v4, -1, 0
	v_mov_b32_e32 v0, 32
	s_mov_b32 s2, 0
	s_mov_b32 s4, 0xfeffffff
	s_delay_alu instid0(VALU_DEP_2)
	v_xor_b32_e32 v44, 16, v4
	v_xor_b32_e32 v43, 8, v4
	;; [unrolled: 1-line block ×5, first 2 shown]
	s_branch .LBB13_7
.LBB13_6:
	s_mov_b32 s2, -1
                                        ; implicit-def: $sgpr4
                                        ; implicit-def: $vgpr4
                                        ; implicit-def: $vgpr0
                                        ; implicit-def: $vgpr44
                                        ; implicit-def: $vgpr43
                                        ; implicit-def: $vgpr42
                                        ; implicit-def: $vgpr41
                                        ; implicit-def: $vgpr40
.LBB13_7:
	s_delay_alu instid0(SALU_CYCLE_1) | instskip(SKIP_2) | instid1(VALU_DEP_3)
	v_cndmask_b32_e64 v5, 0, 1, s2
	v_dual_mov_b32 v36, s4 :: v_dual_lshlrev_b32 v37, 2, v17
	v_dual_mov_b32 v68, s2 :: v_dual_mov_b32 v35, s4
	v_cmp_ne_u32_e32 vcc_lo, 1, v5
	v_dual_mov_b32 v66, s2 :: v_dual_mov_b32 v45, s2
	v_mov_b32_e32 v67, s2
	v_mov_b32_e32 v65, s2
	;; [unrolled: 1-line block ×3, first 2 shown]
	s_cbranch_vccnz .LBB13_11
; %bb.8:
	s_clause 0x1
	s_load_b128 s[4:7], s[0:1], 0x98
	s_load_b64 s[16:17], s[0:1], 0x8c
	s_sub_i32 s2, 0, s8
	s_abs_i32 s11, s15
	s_mul_i32 s2, s2, s10
	s_ashr_i32 s12, s15, 31
	s_mul_hi_u32 s2, s10, s2
	s_ashr_i32 s9, s9, 31
	s_add_i32 s10, s10, s2
	s_ashr_i32 s2, s3, 1
	s_mul_hi_u32 s3, s11, s10
	s_ashr_i32 s10, s33, 31
	s_load_b64 s[26:27], s[0:1], 0xa8
	s_mul_i32 s35, s3, s8
	v_lshrrev_b32_e32 v0, 3, v17
	v_dual_mov_b32 v66, 0 :: v_dual_and_b32 v21, 28, v37
	v_lshrrev_b32_e32 v7, 4, v17
	v_mov_b32_e32 v36, 0xfeffffff
	s_delay_alu instid0(VALU_DEP_4)
	v_lshl_add_u32 v0, v1, 2, v0
	s_waitcnt lgkmcnt(0)
	s_ashr_i32 s22, s6, 2
	s_mul_i32 s5, s33, s5
	s_mul_hi_u32 s6, s33, s4
	s_ashr_i32 s23, s16, 2
	s_mul_i32 s16, s10, s4
	s_add_i32 s5, s6, s5
	s_mul_i32 s4, s33, s4
	s_add_i32 s5, s5, s16
	s_add_u32 s4, s18, s4
	s_addc_u32 s5, s19, s5
	s_xor_b32 s6, s12, s9
	s_sub_i32 s9, s11, s35
	s_add_i32 s11, s3, 1
	s_sub_i32 s12, s9, s8
	s_cmp_ge_u32 s9, s8
	s_mul_i32 s10, s10, s26
	s_cselect_b32 s3, s11, s3
	s_cselect_b32 s9, s12, s9
	s_add_i32 s11, s3, 1
	s_cmp_ge_u32 s9, s8
	s_mul_i32 s8, s33, s27
	s_cselect_b32 s3, s11, s3
	v_mul_lo_u32 v4, s23, v0
	s_xor_b32 s3, s3, s6
	v_lshlrev_b32_e32 v5, 2, v21
	s_sub_i32 s3, s3, s6
	s_mul_hi_u32 s6, s33, s26
	s_mul_i32 s9, s3, s17
	s_mul_i32 s3, s3, s7
	s_ashr_i32 s11, s9, 31
	s_add_u32 s18, s4, s9
	s_addc_u32 s19, s5, s11
	s_add_i32 s4, s6, s8
	s_mul_i32 s5, s33, s26
	s_add_i32 s4, s4, s10
	s_add_u32 s5, s20, s5
	s_addc_u32 s4, s21, s4
	s_ashr_i32 s6, s3, 31
	s_add_u32 s20, s5, s3
	s_addc_u32 s21, s4, s6
	s_lshl_b32 s3, s23, 4
	v_dual_mov_b32 v68, 0 :: v_dual_add_nc_u32 v3, v7, v3
	v_dual_mov_b32 v55, 0 :: v_dual_add_nc_u32 v6, s3, v4
	v_mad_u32_u24 v46, 0x90, v0, v5
	s_delay_alu instid0(VALU_DEP_3) | instskip(NEXT) | instid1(VALU_DEP_3)
	v_mul_lo_u32 v0, s22, v3
	v_dual_mov_b32 v35, 0xfeffffff :: v_dual_add_nc_u32 v8, s3, v6
	v_and_b32_e32 v29, 60, v37
	v_mov_b32_e32 v45, 0
	v_mad_u64_u32 v[18:19], null, v2, s2, v[17:18]
	s_delay_alu instid0(VALU_DEP_4)
	v_dual_mov_b32 v67, 0 :: v_dual_add_nc_u32 v10, s3, v8
	s_lshl_b32 s3, s22, 3
	v_lshlrev_b32_e32 v13, 2, v29
	v_add_nc_u32_e32 v12, s3, v0
	v_ashrrev_i32_e32 v5, 31, v4
	v_ashrrev_i32_e32 v7, 31, v6
	;; [unrolled: 1-line block ×4, first 2 shown]
	v_add_nc_u32_e32 v14, s3, v12
	v_lshl_add_u32 v51, v1, 9, 0x2400
	v_lshl_or_b32 v52, v3, 8, v13
	v_lshl_add_u32 v53, v1, 8, 0x2c00
	v_ashrrev_i32_e32 v1, 31, v0
	v_add_nc_u32_e32 v2, s3, v14
	v_ashrrev_i32_e32 v13, 31, v12
	v_ashrrev_i32_e32 v15, 31, v14
	v_lshlrev_b32_e32 v58, 3, v17
	v_lshlrev_b64 v[19:20], 2, v[4:5]
	v_ashrrev_i32_e32 v3, 31, v2
	v_lshlrev_b32_e32 v59, 2, v21
	v_lshlrev_b64 v[21:22], 2, v[6:7]
	v_lshlrev_b64 v[23:24], 2, v[8:9]
	;; [unrolled: 1-line block ×4, first 2 shown]
	v_lshlrev_b32_e32 v61, 2, v29
	v_lshlrev_b64 v[29:30], 2, v[12:13]
	v_lshlrev_b64 v[31:32], 2, v[14:15]
	;; [unrolled: 1-line block ×3, first 2 shown]
	v_add_nc_u32_e32 v47, 0x900, v46
	v_dual_mov_b32 v65, 0 :: v_dual_add_nc_u32 v48, 0x1200, v46
	v_add_nc_u32_e32 v49, 0x1b00, v46
	v_mul_u32_u24_e32 v50, 0x90, v17
	v_add_nc_u32_e32 v54, 0x800, v52
	v_add_nc_u32_e32 v56, 0x1000, v52
	;; [unrolled: 1-line block ×3, first 2 shown]
	v_xor_b32_e32 v44, 16, v39
	v_xor_b32_e32 v43, 8, v39
	;; [unrolled: 1-line block ×5, first 2 shown]
	v_add_nc_u32_e32 v60, v53, v37
	v_add_nc_u32_e32 v62, 0x800, v58
	;; [unrolled: 1-line block ×4, first 2 shown]
	s_add_u32 s16, s0, 0xd0
	s_addc_u32 s17, s1, 0
.LBB13_9:                               ; =>This Inner Loop Header: Depth=1
	s_mul_hi_i32 s3, s13, s23
	s_mul_i32 s2, s13, s23
	v_dual_mov_b32 v69, 0 :: v_dual_mov_b32 v70, 0
	s_lshl_b64 s[2:3], s[2:3], 2
	v_dual_mov_b32 v71, 0 :: v_dual_mov_b32 v72, 0
	s_add_u32 s4, s18, s2
	s_addc_u32 s5, s19, s3
	v_add_co_u32 v0, vcc_lo, s4, v21
	v_add_co_u32 v1, s2, s4, v23
	v_add_co_u32 v2, s3, s4, v25
	;; [unrolled: 1-line block ×3, first 2 shown]
	s_delay_alu instid0(VALU_DEP_1)
	v_add_co_ci_u32_e64 v5, s4, s5, v20, s4
	v_add_co_ci_u32_e32 v6, vcc_lo, s5, v22, vcc_lo
	v_add_co_ci_u32_e64 v7, vcc_lo, s5, v24, s2
	v_add_co_ci_u32_e64 v10, vcc_lo, s5, v26, s3
	v_add_co_u32 v4, vcc_lo, v0, v59
	v_add_co_u32 v0, s4, v3, v59
	v_add_co_u32 v8, s2, v1, v59
	v_add_co_ci_u32_e64 v1, s4, 0, v5, s4
	v_add_co_u32 v12, s3, v2, v59
	v_add_co_ci_u32_e32 v5, vcc_lo, 0, v6, vcc_lo
	v_add_co_ci_u32_e64 v9, vcc_lo, 0, v7, s2
	v_add_co_ci_u32_e64 v13, vcc_lo, 0, v10, s3
	s_clause 0x3
	global_load_b128 v[73:76], v[0:1], off
	global_load_b128 v[77:80], v[4:5], off
	;; [unrolled: 1-line block ×4, first 2 shown]
	v_cmp_gt_i32_e64 s3, 32, v42
	v_cmp_gt_i32_e64 s4, 32, v41
	;; [unrolled: 1-line block ×4, first 2 shown]
	s_mul_hi_i32 s7, s13, s22
	s_mul_i32 s6, s13, s22
	s_waitcnt vmcnt(3)
	ds_store_b128 v46, v[73:76]
	s_waitcnt vmcnt(2)
	ds_store_b128 v47, v[77:80]
	;; [unrolled: 2-line block ×4, first 2 shown]
	s_waitcnt lgkmcnt(0)
	s_barrier
	buffer_gl0_inv
	ds_load_b128 v[73:76], v50
	ds_load_b128 v[77:80], v51
	ds_load_b128 v[81:84], v51 offset:256
	ds_load_b128 v[85:88], v50 offset:4608
	s_waitcnt lgkmcnt(2)
	;;#ASMSTART
	v_dot2_f32_f16 v69, v73, v77, v69
	;;#ASMEND
	;;#ASMSTART
	v_dot2_f32_f16 v69, v74, v78, v69
	;;#ASMEND
	;;#ASMSTART
	v_dot2_f32_f16 v69, v75, v79, v69
	;;#ASMEND
	;;#ASMSTART
	v_dot2_f32_f16 v69, v76, v80, v69
	;;#ASMEND
	s_waitcnt lgkmcnt(1)
	;;#ASMSTART
	v_dot2_f32_f16 v70, v73, v81, v70
	;;#ASMEND
	;;#ASMSTART
	v_dot2_f32_f16 v70, v74, v82, v70
	;;#ASMEND
	;;#ASMSTART
	v_dot2_f32_f16 v70, v75, v83, v70
	;;#ASMEND
	;;#ASMSTART
	v_dot2_f32_f16 v70, v76, v84, v70
	;;#ASMEND
	s_waitcnt lgkmcnt(0)
	;;#ASMSTART
	v_dot2_f32_f16 v71, v85, v77, v71
	;;#ASMEND
	;;#ASMSTART
	v_dot2_f32_f16 v71, v86, v78, v71
	;;#ASMEND
	;;#ASMSTART
	v_dot2_f32_f16 v71, v87, v79, v71
	;;#ASMEND
	;;#ASMSTART
	v_dot2_f32_f16 v71, v88, v80, v71
	;;#ASMEND
	;;#ASMSTART
	v_dot2_f32_f16 v72, v85, v81, v72
	;;#ASMEND
	;;#ASMSTART
	v_dot2_f32_f16 v72, v86, v82, v72
	;;#ASMEND
	;;#ASMSTART
	v_dot2_f32_f16 v72, v87, v83, v72
	;;#ASMEND
	;;#ASMSTART
	v_dot2_f32_f16 v72, v88, v84, v72
	;;#ASMEND
	ds_load_b128 v[73:76], v50 offset:16
	ds_load_b128 v[77:80], v51 offset:16
	ds_load_b128 v[81:84], v51 offset:272
	ds_load_b128 v[85:88], v50 offset:4624
	s_waitcnt lgkmcnt(2)
	;;#ASMSTART
	v_dot2_f32_f16 v69, v73, v77, v69
	;;#ASMEND
	;;#ASMSTART
	v_dot2_f32_f16 v69, v74, v78, v69
	;;#ASMEND
	;;#ASMSTART
	v_dot2_f32_f16 v69, v75, v79, v69
	;;#ASMEND
	;;#ASMSTART
	v_dot2_f32_f16 v69, v76, v80, v69
	;;#ASMEND
	s_waitcnt lgkmcnt(1)
	;;#ASMSTART
	v_dot2_f32_f16 v70, v73, v81, v70
	;;#ASMEND
	;;#ASMSTART
	v_dot2_f32_f16 v70, v74, v82, v70
	;;#ASMEND
	;;#ASMSTART
	v_dot2_f32_f16 v70, v75, v83, v70
	;;#ASMEND
	;;#ASMSTART
	v_dot2_f32_f16 v70, v76, v84, v70
	;;#ASMEND
	s_waitcnt lgkmcnt(0)
	;;#ASMSTART
	v_dot2_f32_f16 v71, v85, v77, v71
	;;#ASMEND
	;;#ASMSTART
	v_dot2_f32_f16 v71, v86, v78, v71
	;;#ASMEND
	;;#ASMSTART
	v_dot2_f32_f16 v71, v87, v79, v71
	;;#ASMEND
	;;#ASMSTART
	v_dot2_f32_f16 v71, v88, v80, v71
	;;#ASMEND
	;;#ASMSTART
	v_dot2_f32_f16 v72, v85, v81, v72
	;;#ASMEND
	;;#ASMSTART
	v_dot2_f32_f16 v72, v86, v82, v72
	;;#ASMEND
	;;#ASMSTART
	v_dot2_f32_f16 v72, v87, v83, v72
	;;#ASMEND
	;;#ASMSTART
	v_dot2_f32_f16 v72, v88, v84, v72
	;;#ASMEND
	ds_load_b128 v[73:76], v50 offset:32
	ds_load_b128 v[77:80], v51 offset:32
	;; [unrolled: 55-line block ×7, first 2 shown]
	ds_load_b128 v[81:84], v51 offset:368
	ds_load_b128 v[85:88], v50 offset:4720
	s_waitcnt lgkmcnt(2)
	;;#ASMSTART
	v_dot2_f32_f16 v69, v73, v77, v69
	;;#ASMEND
	;;#ASMSTART
	v_dot2_f32_f16 v69, v74, v78, v69
	;;#ASMEND
	;;#ASMSTART
	v_dot2_f32_f16 v69, v75, v79, v69
	;;#ASMEND
	;;#ASMSTART
	v_dot2_f32_f16 v69, v76, v80, v69
	;;#ASMEND
	s_waitcnt lgkmcnt(1)
	;;#ASMSTART
	v_dot2_f32_f16 v70, v73, v81, v70
	;;#ASMEND
	;;#ASMSTART
	v_dot2_f32_f16 v70, v74, v82, v70
	;;#ASMEND
	;;#ASMSTART
	v_dot2_f32_f16 v70, v75, v83, v70
	;;#ASMEND
	;;#ASMSTART
	v_dot2_f32_f16 v70, v76, v84, v70
	;;#ASMEND
	;; [unrolled: 13-line block ×3, first 2 shown]
	;;#ASMSTART
	v_dot2_f32_f16 v72, v85, v81, v72
	;;#ASMEND
	;;#ASMSTART
	v_dot2_f32_f16 v72, v86, v82, v72
	;;#ASMEND
	;; [unrolled: 3-line block ×4, first 2 shown]
	s_barrier
	buffer_gl0_inv
	s_clause 0x3
	global_load_b128 v[0:3], v[0:1], off offset:128
	global_load_b128 v[4:7], v[4:5], off offset:128
	;; [unrolled: 1-line block ×4, first 2 shown]
	v_add_nc_u32_e32 v73, s13, v18
	s_waitcnt vmcnt(3)
	ds_store_b128 v46, v[0:3]
	s_waitcnt vmcnt(2)
	ds_store_b128 v47, v[4:7]
	;; [unrolled: 2-line block ×4, first 2 shown]
	s_waitcnt lgkmcnt(0)
	s_barrier
	buffer_gl0_inv
	ds_load_b128 v[0:3], v50
	ds_load_b128 v[4:7], v51 offset:128
	ds_load_b128 v[8:11], v51 offset:384
	ds_load_b128 v[12:15], v50 offset:4608
	s_waitcnt lgkmcnt(2)
	;;#ASMSTART
	v_dot2_f32_f16 v69, v0, v4, v69
	;;#ASMEND
	;;#ASMSTART
	v_dot2_f32_f16 v69, v1, v5, v69
	;;#ASMEND
	;;#ASMSTART
	v_dot2_f32_f16 v69, v2, v6, v69
	;;#ASMEND
	;;#ASMSTART
	v_dot2_f32_f16 v69, v3, v7, v69
	;;#ASMEND
	s_waitcnt lgkmcnt(1)
	;;#ASMSTART
	v_dot2_f32_f16 v70, v0, v8, v70
	;;#ASMEND
	;;#ASMSTART
	v_dot2_f32_f16 v70, v1, v9, v70
	;;#ASMEND
	;;#ASMSTART
	v_dot2_f32_f16 v70, v2, v10, v70
	;;#ASMEND
	;;#ASMSTART
	v_dot2_f32_f16 v70, v3, v11, v70
	;;#ASMEND
	s_waitcnt lgkmcnt(0)
	;;#ASMSTART
	v_dot2_f32_f16 v71, v12, v4, v71
	;;#ASMEND
	;;#ASMSTART
	v_dot2_f32_f16 v71, v13, v5, v71
	;;#ASMEND
	;;#ASMSTART
	v_dot2_f32_f16 v71, v14, v6, v71
	;;#ASMEND
	;;#ASMSTART
	v_dot2_f32_f16 v71, v15, v7, v71
	;;#ASMEND
	;;#ASMSTART
	v_dot2_f32_f16 v72, v12, v8, v72
	;;#ASMEND
	;;#ASMSTART
	v_dot2_f32_f16 v72, v13, v9, v72
	;;#ASMEND
	;;#ASMSTART
	v_dot2_f32_f16 v72, v14, v10, v72
	;;#ASMEND
	;;#ASMSTART
	v_dot2_f32_f16 v72, v15, v11, v72
	;;#ASMEND
	ds_load_b128 v[0:3], v50 offset:16
	ds_load_b128 v[4:7], v51 offset:144
	ds_load_b128 v[8:11], v51 offset:400
	ds_load_b128 v[12:15], v50 offset:4624
	s_waitcnt lgkmcnt(2)
	;;#ASMSTART
	v_dot2_f32_f16 v69, v0, v4, v69
	;;#ASMEND
	;;#ASMSTART
	v_dot2_f32_f16 v69, v1, v5, v69
	;;#ASMEND
	;;#ASMSTART
	v_dot2_f32_f16 v69, v2, v6, v69
	;;#ASMEND
	;;#ASMSTART
	v_dot2_f32_f16 v69, v3, v7, v69
	;;#ASMEND
	s_waitcnt lgkmcnt(1)
	;;#ASMSTART
	v_dot2_f32_f16 v70, v0, v8, v70
	;;#ASMEND
	;;#ASMSTART
	v_dot2_f32_f16 v70, v1, v9, v70
	;;#ASMEND
	;;#ASMSTART
	v_dot2_f32_f16 v70, v2, v10, v70
	;;#ASMEND
	;;#ASMSTART
	v_dot2_f32_f16 v70, v3, v11, v70
	;;#ASMEND
	s_waitcnt lgkmcnt(0)
	;;#ASMSTART
	v_dot2_f32_f16 v71, v12, v4, v71
	;;#ASMEND
	;;#ASMSTART
	v_dot2_f32_f16 v71, v13, v5, v71
	;;#ASMEND
	;;#ASMSTART
	v_dot2_f32_f16 v71, v14, v6, v71
	;;#ASMEND
	;;#ASMSTART
	v_dot2_f32_f16 v71, v15, v7, v71
	;;#ASMEND
	;;#ASMSTART
	v_dot2_f32_f16 v72, v12, v8, v72
	;;#ASMEND
	;;#ASMSTART
	v_dot2_f32_f16 v72, v13, v9, v72
	;;#ASMEND
	;;#ASMSTART
	v_dot2_f32_f16 v72, v14, v10, v72
	;;#ASMEND
	;;#ASMSTART
	v_dot2_f32_f16 v72, v15, v11, v72
	;;#ASMEND
	ds_load_b128 v[0:3], v50 offset:32
	;; [unrolled: 55-line block ×7, first 2 shown]
	ds_load_b128 v[4:7], v51 offset:240
	ds_load_b128 v[8:11], v51 offset:496
	ds_load_b128 v[12:15], v50 offset:4720
	s_waitcnt lgkmcnt(2)
	;;#ASMSTART
	v_dot2_f32_f16 v69, v0, v4, v69
	;;#ASMEND
	;;#ASMSTART
	v_dot2_f32_f16 v69, v1, v5, v69
	;;#ASMEND
	;; [unrolled: 3-line block ×4, first 2 shown]
	s_waitcnt lgkmcnt(1)
	;;#ASMSTART
	v_dot2_f32_f16 v70, v0, v8, v70
	;;#ASMEND
	v_mov_b32_e32 v0, v36
	v_ashrrev_i32_e32 v74, 31, v73
	;;#ASMSTART
	v_dot2_f32_f16 v70, v1, v9, v70
	;;#ASMEND
	;;#ASMSTART
	v_dot2_f32_f16 v70, v2, v10, v70
	;;#ASMEND
	;; [unrolled: 3-line block ×3, first 2 shown]
	s_waitcnt lgkmcnt(0)
	;;#ASMSTART
	v_dot2_f32_f16 v71, v12, v4, v71
	;;#ASMEND
	v_lshlrev_b64 v[73:74], 1, v[73:74]
	;;#ASMSTART
	v_dot2_f32_f16 v71, v13, v5, v71
	;;#ASMEND
	;;#ASMSTART
	v_dot2_f32_f16 v71, v14, v6, v71
	;;#ASMEND
	;; [unrolled: 3-line block ×5, first 2 shown]
	v_add_co_u32 v73, vcc_lo, s40, v73
	v_add_co_ci_u32_e32 v74, vcc_lo, s41, v74, vcc_lo
	;;#ASMSTART
	v_dot2_f32_f16 v72, v14, v10, v72
	;;#ASMEND
	;;#ASMSTART
	v_dot2_f32_f16 v72, v15, v11, v72
	;;#ASMEND
	s_clause 0x1
	flat_load_u16 v2, v[73:74]
	flat_load_u16 v3, v[73:74] offset:64
	v_cmp_gt_i32_e32 vcc_lo, 32, v44
	v_cndmask_b32_e64 v6, v39, v42, s3
	v_cndmask_b32_e64 v7, v39, v41, s4
	;; [unrolled: 1-line block ×3, first 2 shown]
	s_lshl_b64 s[2:3], s[6:7], 2
	s_delay_alu instid0(VALU_DEP_3)
	v_dual_cndmask_b32 v4, v39, v44 :: v_dual_lshlrev_b32 v79, 2, v6
	s_add_u32 s4, s20, s2
	v_cndmask_b32_e64 v8, v39, v40, s5
	s_addc_u32 s5, s21, s3
	s_or_b32 s6, s13, 32
	v_add_co_u32 v9, vcc_lo, s4, v29
	v_add_co_u32 v10, s2, s4, v31
	v_add_co_u32 v11, s3, s4, v33
	;; [unrolled: 1-line block ×3, first 2 shown]
	s_mul_hi_i32 s7, s6, s22
	s_mul_i32 s6, s6, s22
	v_dual_mov_b32 v1, v35 :: v_dual_lshlrev_b32 v78, 2, v5
	v_add_co_ci_u32_e64 v5, s4, s5, v28, s4
	v_add_co_ci_u32_e32 v6, vcc_lo, s5, v30, vcc_lo
	v_add_co_ci_u32_e64 v14, vcc_lo, s5, v34, s3
	v_add_co_u32 v35, s3, v11, v61
	s_waitcnt vmcnt(0) lgkmcnt(0)
	s_barrier
	buffer_gl0_inv
	v_cvt_f32_f16_e32 v2, v2
	v_lshlrev_b32_e32 v77, 2, v4
	v_lshlrev_b32_e32 v80, 2, v7
	v_cvt_f32_f16_e32 v3, v3
	v_add_co_ci_u32_e64 v7, vcc_lo, s5, v32, s2
	v_add_f32_e32 v69, v69, v2
	v_add_f32_e32 v2, v70, v2
	s_lshl_b64 s[4:5], s[6:7], 2
	v_add_co_u32 v12, s2, v10, v61
	s_add_u32 s6, s20, s4
	v_add_co_u32 v4, s4, v13, v61
	v_dual_add_f32 v71, v71, v3 :: v_dual_add_f32 v70, 0x40051340, v2
	v_lshlrev_b32_e32 v81, 2, v8
	v_add_co_u32 v8, vcc_lo, v9, v61
	v_add_co_ci_u32_e64 v5, s4, 0, v5, s4
	v_add_co_ci_u32_e32 v9, vcc_lo, 0, v6, vcc_lo
	v_add_co_ci_u32_e64 v13, vcc_lo, 0, v7, s2
	v_add_co_ci_u32_e64 v36, vcc_lo, 0, v14, s3
	s_addc_u32 s5, s21, s5
	v_add_co_u32 v6, vcc_lo, s6, v29
	v_add_co_u32 v7, s2, s6, v31
	v_add_co_u32 v10, s3, s6, v33
	;; [unrolled: 1-line block ×3, first 2 shown]
	s_delay_alu instid0(VALU_DEP_1)
	v_add_co_ci_u32_e64 v14, s4, s5, v28, s4
	v_add_co_ci_u32_e32 v15, vcc_lo, s5, v30, vcc_lo
	v_add_co_ci_u32_e64 v73, vcc_lo, s5, v32, s2
	v_add_co_ci_u32_e64 v74, vcc_lo, s5, v34, s3
	v_add_co_u32 v129, vcc_lo, v6, v61
	v_add_co_u32 v131, s2, v7, v61
	v_add_co_u32 v133, s3, v10, v61
	;; [unrolled: 1-line block ×3, first 2 shown]
	s_delay_alu instid0(VALU_DEP_1)
	v_add_co_ci_u32_e64 v136, s4, 0, v14, s4
	v_add_co_ci_u32_e32 v130, vcc_lo, 0, v15, vcc_lo
	v_add_co_ci_u32_e64 v132, vcc_lo, 0, v73, s2
	v_add_co_ci_u32_e64 v134, vcc_lo, 0, v74, s3
	s_clause 0x3
	global_load_b128 v[4:7], v[4:5], off
	global_load_b128 v[8:11], v[8:9], off
	;; [unrolled: 1-line block ×4, first 2 shown]
	v_add_f32_e32 v36, 0x40051340, v71
	v_add_f32_e32 v3, v72, v3
	s_delay_alu instid0(VALU_DEP_1) | instskip(NEXT) | instid1(VALU_DEP_1)
	v_dual_add_f32 v35, 0x40051340, v69 :: v_dual_add_f32 v72, 0x40051340, v3
	v_max3_f32 v35, v1, v35, v36
	s_delay_alu instid0(VALU_DEP_2)
	v_max3_f32 v36, v0, v70, v72
	ds_bpermute_b32 v70, v77, v35
	ds_bpermute_b32 v72, v77, v36
	s_waitcnt lgkmcnt(1)
	v_max_f32_e32 v70, v70, v70
	s_waitcnt lgkmcnt(0)
	s_delay_alu instid0(VALU_DEP_1) | instskip(SKIP_3) | instid1(VALU_DEP_1)
	v_dual_max_f32 v72, v72, v72 :: v_dual_max_f32 v35, v35, v70
	ds_bpermute_b32 v70, v78, v35
	s_waitcnt lgkmcnt(0)
	v_max_f32_e32 v70, v70, v70
	v_dual_max_f32 v36, v36, v72 :: v_dual_max_f32 v35, v35, v70
	ds_bpermute_b32 v72, v78, v36
	ds_bpermute_b32 v70, v79, v35
	s_waitcnt lgkmcnt(0)
	v_max_f32_e32 v70, v70, v70
	s_delay_alu instid0(VALU_DEP_1) | instskip(SKIP_3) | instid1(VALU_DEP_1)
	v_dual_max_f32 v72, v72, v72 :: v_dual_max_f32 v35, v35, v70
	ds_bpermute_b32 v70, v80, v35
	s_waitcnt lgkmcnt(0)
	v_max_f32_e32 v70, v70, v70
	v_dual_max_f32 v36, v36, v72 :: v_dual_max_f32 v35, v35, v70
	ds_bpermute_b32 v72, v79, v36
	ds_bpermute_b32 v70, v81, v35
	s_waitcnt lgkmcnt(0)
	v_max_f32_e32 v70, v70, v70
	s_delay_alu instid0(VALU_DEP_1) | instskip(NEXT) | instid1(VALU_DEP_1)
	v_dual_max_f32 v72, v72, v72 :: v_dual_max_f32 v35, v35, v70
	v_sub_f32_e32 v70, v71, v35
	s_delay_alu instid0(VALU_DEP_2) | instskip(SKIP_1) | instid1(VALU_DEP_3)
	v_dual_max_f32 v36, v36, v72 :: v_dual_sub_f32 v69, v69, v35
	v_sub_f32_e32 v1, v1, v35
	v_mul_f32_e32 v71, 0x3fb8aa3b, v70
	ds_bpermute_b32 v72, v80, v36
	v_mul_f32_e32 v77, 0x3fb8aa3b, v69
	v_cmp_ngt_f32_e64 s2, 0xc2ce8ed0, v69
	v_cmp_nlt_f32_e64 s8, 0x42b17218, v69
	v_mul_f32_e32 v78, 0x3fb8aa3b, v1
	v_cmp_ngt_f32_e64 s3, 0xc2ce8ed0, v1
	v_fma_f32 v85, 0x3fb8aa3b, v69, -v77
	v_rndne_f32_e32 v86, v77
	v_cmp_nlt_f32_e64 s9, 0x42b17218, v1
	v_fma_f32 v87, 0x3fb8aa3b, v1, -v78
	v_rndne_f32_e32 v88, v78
	v_fmac_f32_e32 v85, 0x32a5705f, v69
	v_sub_f32_e32 v69, v77, v86
	v_rndne_f32_e32 v82, v71
	v_fmac_f32_e32 v87, 0x32a5705f, v1
	v_sub_f32_e32 v1, v78, v88
	v_cmp_ngt_f32_e64 s6, 0xc2ce8ed0, v70
	v_cmp_nlt_f32_e64 s12, 0x42b17218, v70
	v_add_f32_e32 v69, v69, v85
	v_cvt_i32_f32_e32 v77, v86
	s_waitcnt lgkmcnt(0)
	v_dual_max_f32 v72, v72, v72 :: v_dual_add_f32 v1, v1, v87
	v_cvt_i32_f32_e32 v78, v88
	v_exp_f32_e32 v69, v69
	s_delay_alu instid0(VALU_DEP_2) | instskip(NEXT) | instid1(VALU_DEP_3)
	v_max_f32_e32 v36, v36, v72
	v_exp_f32_e32 v1, v1
	ds_bpermute_b32 v72, v81, v36
	v_fma_f32 v81, 0x3fb8aa3b, v70, -v71
	v_ldexp_f32 v69, v69, v77
	s_delay_alu instid0(VALU_DEP_2) | instskip(SKIP_1) | instid1(VALU_DEP_3)
	v_fmac_f32_e32 v81, 0x32a5705f, v70
	v_ldexp_f32 v1, v1, v78
	v_cndmask_b32_e64 v69, 0, v69, s2
	s_delay_alu instid0(VALU_DEP_2) | instskip(NEXT) | instid1(VALU_DEP_2)
	v_cndmask_b32_e64 v1, 0, v1, s3
	v_cndmask_b32_e64 v138, 0x7f800000, v69, s8
	s_delay_alu instid0(VALU_DEP_2) | instskip(SKIP_2) | instid1(VALU_DEP_2)
	v_cndmask_b32_e64 v140, 0x7f800000, v1, s9
	s_waitcnt lgkmcnt(0)
	v_max_f32_e32 v72, v72, v72
	v_cvt_f16_f32_e64 v121, v140
	s_delay_alu instid0(VALU_DEP_2) | instskip(NEXT) | instid1(VALU_DEP_1)
	v_max_f32_e32 v36, v36, v72
	v_sub_f32_e32 v2, v2, v36
	s_delay_alu instid0(VALU_DEP_1) | instskip(SKIP_2) | instid1(VALU_DEP_3)
	v_mul_f32_e32 v72, 0x3fb8aa3b, v2
	v_cmp_ngt_f32_e32 vcc_lo, 0xc2ce8ed0, v2
	v_cmp_nlt_f32_e64 s7, 0x42b17218, v2
	v_fma_f32 v83, 0x3fb8aa3b, v2, -v72
	v_rndne_f32_e32 v84, v72
	s_delay_alu instid0(VALU_DEP_2) | instskip(SKIP_1) | instid1(VALU_DEP_3)
	v_fmac_f32_e32 v83, 0x32a5705f, v2
	v_sub_f32_e32 v3, v3, v36
	v_sub_f32_e32 v2, v72, v84
	v_cvt_i32_f32_e32 v72, v84
	s_delay_alu instid0(VALU_DEP_3) | instskip(SKIP_3) | instid1(VALU_DEP_4)
	v_mul_f32_e32 v79, 0x3fb8aa3b, v3
	v_cmp_ngt_f32_e64 s4, 0xc2ce8ed0, v3
	v_cmp_nlt_f32_e64 s10, 0x42b17218, v3
	v_add_f32_e32 v2, v2, v83
	v_fma_f32 v89, 0x3fb8aa3b, v3, -v79
	v_sub_f32_e32 v0, v0, v36
	v_rndne_f32_e32 v90, v79
	s_delay_alu instid0(VALU_DEP_4) | instskip(NEXT) | instid1(VALU_DEP_3)
	v_exp_f32_e32 v2, v2
	v_fmac_f32_e32 v89, 0x32a5705f, v3
	s_delay_alu instid0(VALU_DEP_2) | instskip(SKIP_3) | instid1(VALU_DEP_4)
	v_dual_mul_f32 v80, 0x3fb8aa3b, v0 :: v_dual_sub_f32 v3, v79, v90
	v_cmp_ngt_f32_e64 s5, 0xc2ce8ed0, v0
	v_cmp_nlt_f32_e64 s11, 0x42b17218, v0
	v_cvt_i32_f32_e32 v79, v90
	v_fma_f32 v91, 0x3fb8aa3b, v0, -v80
	v_sub_f32_e32 v70, v71, v82
	v_rndne_f32_e32 v92, v80
	v_cvt_i32_f32_e32 v71, v82
	v_add_f32_e32 v3, v3, v89
	s_delay_alu instid0(VALU_DEP_4) | instskip(NEXT) | instid1(VALU_DEP_4)
	v_dual_fmac_f32 v91, 0x32a5705f, v0 :: v_dual_add_f32 v70, v70, v81
	v_sub_f32_e32 v0, v80, v92
	v_ldexp_f32 v2, v2, v72
	s_delay_alu instid0(VALU_DEP_4) | instskip(SKIP_2) | instid1(VALU_DEP_2)
	v_exp_f32_e32 v3, v3
	v_cvt_i32_f32_e32 v80, v92
	v_exp_f32_e32 v70, v70
	v_cndmask_b32_e32 v2, 0, v2, vcc_lo
	s_delay_alu instid0(VALU_DEP_1) | instskip(SKIP_4) | instid1(VALU_DEP_3)
	v_cndmask_b32_e64 v139, 0x7f800000, v2, s7
	s_waitcnt_depctr 0xfff
	v_ldexp_f32 v3, v3, v79
	v_ldexp_f32 v70, v70, v71
	v_cvt_f16_f32_e64 v2, v139
	v_cndmask_b32_e64 v3, 0, v3, s4
	s_delay_alu instid0(VALU_DEP_3) | instskip(NEXT) | instid1(VALU_DEP_2)
	v_cndmask_b32_e64 v70, 0, v70, s6
	v_cndmask_b32_e64 v141, 0x7f800000, v3, s10
	v_cvt_f16_f32_e64 v3, v138
	s_delay_alu instid0(VALU_DEP_3) | instskip(SKIP_1) | instid1(VALU_DEP_4)
	v_cndmask_b32_e64 v137, 0x7f800000, v70, s12
	v_add_f32_e32 v0, v0, v91
	v_cvt_f16_f32_e64 v69, v141
	s_delay_alu instid0(VALU_DEP_4) | instskip(NEXT) | instid1(VALU_DEP_4)
	v_pack_b32_f16 v2, v3, v2
	v_cvt_f16_f32_e64 v1, v137
	s_delay_alu instid0(VALU_DEP_4) | instskip(NEXT) | instid1(VALU_DEP_1)
	v_exp_f32_e32 v0, v0
	v_pack_b32_f16 v1, v1, v69
	ds_store_2addr_b32 v60, v2, v1 offset1:32
	s_waitcnt vmcnt(3)
	ds_store_b128 v52, v[4:7]
	s_waitcnt vmcnt(2)
	ds_store_b128 v54, v[8:11]
	;; [unrolled: 2-line block ×4, first 2 shown]
	v_ldexp_f32 v0, v0, v80
	s_waitcnt lgkmcnt(0)
	s_barrier
	buffer_gl0_inv
	ds_load_2addr_b64 v[1:4], v58 offset1:32
	ds_load_b128 v[5:8], v53
	ds_load_b128 v[9:12], v53 offset:16
	ds_load_b128 v[69:72], v53 offset:32
	;; [unrolled: 1-line block ×3, first 2 shown]
	ds_load_2addr_b64 v[77:80], v58 offset0:64 offset1:96
	ds_load_2addr_b64 v[81:84], v58 offset0:128 offset1:160
	;; [unrolled: 1-line block ×3, first 2 shown]
	ds_load_2addr_b64 v[89:92], v62 offset1:32
	ds_load_2addr_b64 v[93:96], v62 offset0:64 offset1:96
	ds_load_2addr_b64 v[97:100], v62 offset0:128 offset1:160
	;; [unrolled: 1-line block ×3, first 2 shown]
	ds_load_2addr_b64 v[105:108], v63 offset1:32
	ds_load_2addr_b64 v[109:112], v63 offset0:64 offset1:96
	ds_load_2addr_b64 v[113:116], v63 offset0:128 offset1:160
	ds_load_b128 v[117:120], v53 offset:64
	v_cndmask_b32_e64 v0, 0, v0, s5
	s_delay_alu instid0(VALU_DEP_1)
	v_cndmask_b32_e64 v0, 0x7f800000, v0, s11
	s_waitcnt lgkmcnt(14)
	v_pk_mul_f16 v13, v1, v5 op_sel_hi:[1,0]
	v_pk_mul_f16 v1, v1, v5 op_sel:[0,1]
	v_pk_mul_f16 v14, v2, v5 op_sel_hi:[1,0]
	v_cvt_f16_f32_e32 v122, v0
	s_delay_alu instid0(VALU_DEP_4) | instskip(SKIP_1) | instid1(VALU_DEP_4)
	v_pk_fma_f16 v13, v121, v66, v13 op_sel_hi:[0,1,1]
	v_dual_mov_b32 v66, v45 :: v_dual_add_f32 v45, v138, v137
	v_pk_fma_f16 v14, v121, v67, v14 op_sel_hi:[0,1,1]
	s_delay_alu instid0(VALU_DEP_4)
	v_pk_mul_f16 v55, v122, v55 op_sel_hi:[0,1]
	v_pk_fma_f16 v1, v122, v65, v1 op_sel_hi:[0,1,1]
	v_pk_fma_f16 v13, v3, v6, v13 op_sel_hi:[1,0,1]
	ds_load_b128 v[121:124], v53 offset:80
	v_fmac_f32_e32 v45, v66, v140
	v_pk_fma_f16 v2, v2, v5, v55 op_sel:[0,1,0]
	v_pk_fma_f16 v1, v3, v6, v1 op_sel:[0,1,0]
	s_waitcnt lgkmcnt(11)
	v_pk_fma_f16 v13, v77, v7, v13 op_sel_hi:[1,0,1]
	s_delay_alu instid0(VALU_DEP_3) | instskip(SKIP_2) | instid1(VALU_DEP_4)
	v_pk_fma_f16 v15, v4, v6, v2 op_sel:[0,1,0]
	v_pk_fma_f16 v6, v4, v6, v14 op_sel_hi:[1,0,1]
	v_pk_fma_f16 v1, v77, v7, v1 op_sel:[0,1,0]
	v_pk_fma_f16 v13, v79, v8, v13 op_sel_hi:[1,0,1]
	ds_load_2addr_b64 v[2:5], v63 offset0:192 offset1:224
	v_pk_fma_f16 v14, v78, v7, v15 op_sel:[0,1,0]
	v_pk_fma_f16 v6, v78, v7, v6 op_sel_hi:[1,0,1]
	v_pk_fma_f16 v1, v79, v8, v1 op_sel:[0,1,0]
	s_delay_alu instid0(VALU_DEP_3) | instskip(NEXT) | instid1(VALU_DEP_3)
	v_pk_fma_f16 v7, v80, v8, v14 op_sel:[0,1,0]
	v_pk_fma_f16 v6, v80, v8, v6 op_sel_hi:[1,0,1]
	s_waitcnt lgkmcnt(11)
	v_pk_fma_f16 v8, v81, v9, v13 op_sel_hi:[1,0,1]
	v_pk_fma_f16 v1, v81, v9, v1 op_sel:[0,1,0]
	ds_load_2addr_b64 v[77:80], v64 offset1:32
	ds_load_2addr_b64 v[125:128], v64 offset0:64 offset1:96
	v_pk_fma_f16 v7, v82, v9, v7 op_sel:[0,1,0]
	v_pk_fma_f16 v6, v82, v9, v6 op_sel_hi:[1,0,1]
	v_pk_fma_f16 v14, v83, v10, v8 op_sel_hi:[1,0,1]
	v_pk_fma_f16 v1, v83, v10, v1 op_sel:[0,1,0]
	s_delay_alu instid0(VALU_DEP_4) | instskip(NEXT) | instid1(VALU_DEP_4)
	v_pk_fma_f16 v13, v84, v10, v7 op_sel:[0,1,0]
	v_pk_fma_f16 v10, v84, v10, v6 op_sel_hi:[1,0,1]
	s_waitcnt lgkmcnt(12)
	v_pk_fma_f16 v14, v85, v11, v14 op_sel_hi:[1,0,1]
	v_pk_fma_f16 v1, v85, v11, v1 op_sel:[0,1,0]
	ds_load_2addr_b64 v[6:9], v64 offset0:128 offset1:160
	v_pk_fma_f16 v13, v86, v11, v13 op_sel:[0,1,0]
	v_pk_fma_f16 v10, v86, v11, v10 op_sel_hi:[1,0,1]
	v_pk_fma_f16 v14, v87, v12, v14 op_sel_hi:[1,0,1]
	v_pk_fma_f16 v1, v87, v12, v1 op_sel:[0,1,0]
	s_delay_alu instid0(VALU_DEP_4) | instskip(NEXT) | instid1(VALU_DEP_4)
	v_pk_fma_f16 v15, v88, v12, v13 op_sel:[0,1,0]
	v_pk_fma_f16 v55, v88, v12, v10 op_sel_hi:[1,0,1]
	s_waitcnt lgkmcnt(12)
	v_pk_fma_f16 v14, v89, v69, v14 op_sel_hi:[1,0,1]
	v_pk_fma_f16 v1, v89, v69, v1 op_sel:[0,1,0]
	ds_load_b128 v[10:13], v53 offset:96
	ds_load_b128 v[81:84], v53 offset:112
	v_pk_fma_f16 v15, v90, v69, v15 op_sel:[0,1,0]
	v_pk_fma_f16 v55, v90, v69, v55 op_sel_hi:[1,0,1]
	v_pk_fma_f16 v14, v91, v70, v14 op_sel_hi:[1,0,1]
	v_pk_fma_f16 v1, v91, v70, v1 op_sel:[0,1,0]
	ds_load_2addr_b64 v[85:88], v64 offset0:192 offset1:224
	v_pk_fma_f16 v15, v92, v70, v15 op_sel:[0,1,0]
	v_pk_fma_f16 v55, v92, v70, v55 op_sel_hi:[1,0,1]
	s_waitcnt lgkmcnt(14)
	v_pk_fma_f16 v14, v93, v71, v14 op_sel_hi:[1,0,1]
	v_pk_fma_f16 v1, v93, v71, v1 op_sel:[0,1,0]
	s_waitcnt lgkmcnt(0)
	v_pk_fma_f16 v15, v94, v71, v15 op_sel:[0,1,0]
	v_pk_fma_f16 v55, v94, v71, v55 op_sel_hi:[1,0,1]
	s_barrier
	buffer_gl0_inv
	v_pk_fma_f16 v14, v95, v72, v14 op_sel_hi:[1,0,1]
	v_pk_fma_f16 v15, v96, v72, v15 op_sel:[0,1,0]
	v_pk_fma_f16 v65, v95, v72, v1 op_sel:[0,1,0]
	v_pk_fma_f16 v55, v96, v72, v55 op_sel_hi:[1,0,1]
	s_clause 0x3
	global_load_b128 v[69:72], v[135:136], off
	global_load_b128 v[89:92], v[129:130], off
	;; [unrolled: 1-line block ×4, first 2 shown]
	v_pk_fma_f16 v14, v97, v73, v14 op_sel_hi:[1,0,1]
	v_pk_fma_f16 v15, v98, v73, v15 op_sel:[0,1,0]
	v_pk_fma_f16 v65, v97, v73, v65 op_sel:[0,1,0]
	v_pk_fma_f16 v55, v98, v73, v55 op_sel_hi:[1,0,1]
	v_mov_b32_e32 v1, v68
	v_pk_fma_f16 v14, v99, v74, v14 op_sel_hi:[1,0,1]
	v_pk_fma_f16 v15, v100, v74, v15 op_sel:[0,1,0]
	v_pk_fma_f16 v65, v99, v74, v65 op_sel:[0,1,0]
	v_pk_fma_f16 v55, v100, v74, v55 op_sel_hi:[1,0,1]
	v_add_f32_e32 v68, v139, v141
	v_pk_fma_f16 v14, v101, v75, v14 op_sel_hi:[1,0,1]
	v_pk_fma_f16 v15, v102, v75, v15 op_sel:[0,1,0]
	v_pk_fma_f16 v65, v101, v75, v65 op_sel:[0,1,0]
	v_pk_fma_f16 v55, v102, v75, v55 op_sel_hi:[1,0,1]
	v_fmac_f32_e32 v68, v1, v0
	v_pk_fma_f16 v14, v103, v76, v14 op_sel_hi:[1,0,1]
	v_pk_fma_f16 v15, v104, v76, v15 op_sel:[0,1,0]
	v_pk_fma_f16 v65, v103, v76, v65 op_sel:[0,1,0]
	v_pk_fma_f16 v55, v104, v76, v55 op_sel_hi:[1,0,1]
	s_waitcnt vmcnt(3)
	ds_store_b128 v52, v[69:72]
	s_waitcnt vmcnt(2)
	ds_store_b128 v54, v[89:92]
	;; [unrolled: 2-line block ×4, first 2 shown]
	v_pk_fma_f16 v15, v106, v117, v15 op_sel:[0,1,0]
	v_pk_fma_f16 v14, v105, v117, v14 op_sel_hi:[1,0,1]
	v_pk_fma_f16 v65, v105, v117, v65 op_sel:[0,1,0]
	v_pk_fma_f16 v55, v106, v117, v55 op_sel_hi:[1,0,1]
	s_waitcnt lgkmcnt(0)
	v_pk_fma_f16 v15, v108, v118, v15 op_sel:[0,1,0]
	v_pk_fma_f16 v14, v107, v118, v14 op_sel_hi:[1,0,1]
	v_pk_fma_f16 v65, v107, v118, v65 op_sel:[0,1,0]
	v_pk_fma_f16 v55, v108, v118, v55 op_sel_hi:[1,0,1]
	s_barrier
	v_pk_fma_f16 v15, v110, v119, v15 op_sel:[0,1,0]
	v_pk_fma_f16 v14, v109, v119, v14 op_sel_hi:[1,0,1]
	v_pk_fma_f16 v65, v109, v119, v65 op_sel:[0,1,0]
	v_pk_fma_f16 v55, v110, v119, v55 op_sel_hi:[1,0,1]
	buffer_gl0_inv
	v_pk_fma_f16 v15, v112, v120, v15 op_sel:[0,1,0]
	v_pk_fma_f16 v14, v111, v120, v14 op_sel_hi:[1,0,1]
	v_pk_fma_f16 v65, v111, v120, v65 op_sel:[0,1,0]
	v_pk_fma_f16 v55, v112, v120, v55 op_sel_hi:[1,0,1]
	s_delay_alu instid0(VALU_DEP_4) | instskip(NEXT) | instid1(VALU_DEP_4)
	v_pk_fma_f16 v15, v114, v121, v15 op_sel:[0,1,0]
	v_pk_fma_f16 v14, v113, v121, v14 op_sel_hi:[1,0,1]
	s_delay_alu instid0(VALU_DEP_4) | instskip(NEXT) | instid1(VALU_DEP_4)
	;; [unrolled: 3-line block ×24, first 2 shown]
	v_pk_fma_f16 v55, v87, v84, v2 op_sel:[0,1,0]
	v_pk_fma_f16 v65, v88, v84, v3 op_sel_hi:[1,0,1]
	ds_load_2addr_b64 v[2:5], v58 offset1:32
	ds_load_b128 v[6:9], v53 offset:128
	ds_load_b128 v[10:13], v53 offset:144
	;; [unrolled: 1-line block ×4, first 2 shown]
	ds_load_2addr_b64 v[77:80], v58 offset0:64 offset1:96
	ds_load_2addr_b64 v[81:84], v58 offset0:128 offset1:160
	;; [unrolled: 1-line block ×3, first 2 shown]
	ds_load_2addr_b64 v[89:92], v62 offset1:32
	ds_load_2addr_b64 v[93:96], v62 offset0:64 offset1:96
	ds_load_2addr_b64 v[97:100], v62 offset0:128 offset1:160
	;; [unrolled: 1-line block ×3, first 2 shown]
	ds_load_2addr_b64 v[105:108], v63 offset1:32
	ds_load_2addr_b64 v[109:112], v63 offset0:64 offset1:96
	ds_load_2addr_b64 v[113:116], v63 offset0:128 offset1:160
	ds_load_b128 v[117:120], v53 offset:192
	ds_load_b128 v[121:124], v53 offset:208
	ds_load_2addr_b64 v[125:128], v63 offset0:192 offset1:224
	ds_load_2addr_b64 v[129:132], v64 offset1:32
	ds_load_2addr_b64 v[133:136], v64 offset0:64 offset1:96
	s_waitcnt lgkmcnt(18)
	v_pk_fma_f16 v15, v2, v6, v15 op_sel_hi:[1,0,1]
	v_pk_fma_f16 v2, v2, v6, v55 op_sel:[0,1,0]
	v_pk_fma_f16 v55, v3, v6, v65 op_sel_hi:[1,0,1]
	v_pk_fma_f16 v3, v3, v6, v14 op_sel:[0,1,0]
	s_delay_alu instid0(VALU_DEP_4) | instskip(NEXT) | instid1(VALU_DEP_4)
	v_pk_fma_f16 v6, v4, v7, v15 op_sel_hi:[1,0,1]
	v_pk_fma_f16 v14, v4, v7, v2 op_sel:[0,1,0]
	s_delay_alu instid0(VALU_DEP_4) | instskip(NEXT) | instid1(VALU_DEP_4)
	v_pk_fma_f16 v15, v5, v7, v55 op_sel_hi:[1,0,1]
	v_pk_fma_f16 v7, v5, v7, v3 op_sel:[0,1,0]
	ds_load_2addr_b64 v[2:5], v64 offset0:128 offset1:160
	s_waitcnt lgkmcnt(15)
	v_pk_fma_f16 v6, v77, v8, v6 op_sel_hi:[1,0,1]
	v_pk_fma_f16 v14, v77, v8, v14 op_sel:[0,1,0]
	v_pk_fma_f16 v15, v78, v8, v15 op_sel_hi:[1,0,1]
	v_pk_fma_f16 v7, v78, v8, v7 op_sel:[0,1,0]
	s_delay_alu instid0(VALU_DEP_4) | instskip(NEXT) | instid1(VALU_DEP_4)
	v_pk_fma_f16 v55, v79, v9, v6 op_sel_hi:[1,0,1]
	v_pk_fma_f16 v14, v79, v9, v14 op_sel:[0,1,0]
	s_delay_alu instid0(VALU_DEP_4) | instskip(NEXT) | instid1(VALU_DEP_4)
	v_pk_fma_f16 v15, v80, v9, v15 op_sel_hi:[1,0,1]
	v_pk_fma_f16 v65, v80, v9, v7 op_sel:[0,1,0]
	ds_load_b128 v[6:9], v53 offset:224
	ds_load_b128 v[77:80], v53 offset:240
	s_waitcnt lgkmcnt(16)
	v_pk_fma_f16 v55, v81, v10, v55 op_sel_hi:[1,0,1]
	v_pk_fma_f16 v14, v81, v10, v14 op_sel:[0,1,0]
	v_pk_fma_f16 v15, v82, v10, v15 op_sel_hi:[1,0,1]
	v_pk_fma_f16 v10, v82, v10, v65 op_sel:[0,1,0]
	s_delay_alu instid0(VALU_DEP_4) | instskip(NEXT) | instid1(VALU_DEP_4)
	v_pk_fma_f16 v55, v83, v11, v55 op_sel_hi:[1,0,1]
	v_pk_fma_f16 v14, v83, v11, v14 op_sel:[0,1,0]
	s_delay_alu instid0(VALU_DEP_4) | instskip(NEXT) | instid1(VALU_DEP_4)
	v_pk_fma_f16 v15, v84, v11, v15 op_sel_hi:[1,0,1]
	v_pk_fma_f16 v10, v84, v11, v10 op_sel:[0,1,0]
	ds_load_2addr_b64 v[81:84], v64 offset0:192 offset1:224
	s_waitcnt lgkmcnt(16)
	v_pk_fma_f16 v11, v85, v12, v55 op_sel_hi:[1,0,1]
	v_pk_fma_f16 v14, v85, v12, v14 op_sel:[0,1,0]
	v_pk_fma_f16 v15, v86, v12, v15 op_sel_hi:[1,0,1]
	v_pk_fma_f16 v10, v86, v12, v10 op_sel:[0,1,0]
	s_waitcnt lgkmcnt(0)
	v_pk_fma_f16 v11, v87, v13, v11 op_sel_hi:[1,0,1]
	v_pk_fma_f16 v12, v87, v13, v14 op_sel:[0,1,0]
	v_pk_fma_f16 v14, v88, v13, v15 op_sel_hi:[1,0,1]
	v_pk_fma_f16 v10, v88, v13, v10 op_sel:[0,1,0]
	s_barrier
	v_pk_fma_f16 v11, v89, v69, v11 op_sel_hi:[1,0,1]
	v_pk_fma_f16 v12, v89, v69, v12 op_sel:[0,1,0]
	v_pk_fma_f16 v13, v90, v69, v14 op_sel_hi:[1,0,1]
	v_pk_fma_f16 v10, v90, v69, v10 op_sel:[0,1,0]
	buffer_gl0_inv
	v_pk_fma_f16 v11, v91, v70, v11 op_sel_hi:[1,0,1]
	v_pk_fma_f16 v12, v91, v70, v12 op_sel:[0,1,0]
	v_pk_fma_f16 v13, v92, v70, v13 op_sel_hi:[1,0,1]
	v_pk_fma_f16 v10, v92, v70, v10 op_sel:[0,1,0]
	s_load_b32 s2, s[16:17], 0x4
	v_pk_fma_f16 v11, v93, v71, v11 op_sel_hi:[1,0,1]
	v_pk_fma_f16 v12, v93, v71, v12 op_sel:[0,1,0]
	v_pk_fma_f16 v13, v94, v71, v13 op_sel_hi:[1,0,1]
	v_pk_fma_f16 v10, v94, v71, v10 op_sel:[0,1,0]
	s_delay_alu instid0(VALU_DEP_4) | instskip(NEXT) | instid1(VALU_DEP_4)
	v_pk_fma_f16 v11, v95, v72, v11 op_sel_hi:[1,0,1]
	v_pk_fma_f16 v12, v95, v72, v12 op_sel:[0,1,0]
	s_delay_alu instid0(VALU_DEP_4) | instskip(NEXT) | instid1(VALU_DEP_4)
	;; [unrolled: 3-line block ×6, first 2 shown]
	v_pk_fma_f16 v13, v100, v74, v13 op_sel_hi:[1,0,1]
	v_pk_fma_f16 v10, v100, v74, v10 op_sel:[0,1,0]
	s_waitcnt lgkmcnt(0)
	s_lshl_b32 s2, s2, 6
	v_pk_fma_f16 v11, v101, v75, v11 op_sel_hi:[1,0,1]
	v_pk_fma_f16 v12, v101, v75, v12 op_sel:[0,1,0]
	v_pk_fma_f16 v13, v102, v75, v13 op_sel_hi:[1,0,1]
	v_pk_fma_f16 v10, v102, v75, v10 op_sel:[0,1,0]
	s_add_i32 s13, s2, s13
	v_pk_fma_f16 v11, v103, v76, v11 op_sel_hi:[1,0,1]
	v_pk_fma_f16 v12, v103, v76, v12 op_sel:[0,1,0]
	v_pk_fma_f16 v13, v104, v76, v13 op_sel_hi:[1,0,1]
	v_pk_fma_f16 v10, v104, v76, v10 op_sel:[0,1,0]
	s_cmp_ge_i32 s13, s34
	v_pk_fma_f16 v11, v105, v117, v11 op_sel_hi:[1,0,1]
	v_pk_fma_f16 v12, v105, v117, v12 op_sel:[0,1,0]
	v_pk_fma_f16 v13, v106, v117, v13 op_sel_hi:[1,0,1]
	v_pk_fma_f16 v10, v106, v117, v10 op_sel:[0,1,0]
	s_delay_alu instid0(VALU_DEP_4) | instskip(NEXT) | instid1(VALU_DEP_4)
	v_pk_fma_f16 v11, v107, v118, v11 op_sel_hi:[1,0,1]
	v_pk_fma_f16 v12, v107, v118, v12 op_sel:[0,1,0]
	s_delay_alu instid0(VALU_DEP_4) | instskip(NEXT) | instid1(VALU_DEP_4)
	;; [unrolled: 3-line block ×30, first 2 shown]
	v_pk_fma_f16 v67, v84, v80, v2 op_sel_hi:[1,0,1]
	v_pk_fma_f16 v55, v84, v80, v3 op_sel:[0,1,0]
	s_cbranch_scc0 .LBB13_9
; %bb.10:
	v_mov_b32_e32 v0, 32
	v_mov_b32_e32 v4, v39
.LBB13_11:
	s_delay_alu instid0(VALU_DEP_2)
	v_cmp_lt_i32_e32 vcc_lo, v44, v0
	s_cmp_lg_u64 s[24:25], 0
	s_cselect_b32 s2, -1, 0
	s_cmp_eq_u32 s14, 0
	v_cndmask_b32_e32 v1, v4, v44, vcc_lo
	v_cmp_lt_i32_e32 vcc_lo, v43, v0
	s_cselect_b32 s3, -1, 0
	s_delay_alu instid0(SALU_CYCLE_1)
	s_and_b32 s2, s3, s2
	v_cndmask_b32_e32 v3, v4, v43, vcc_lo
	v_cmp_lt_i32_e32 vcc_lo, v42, v0
	v_dual_cndmask_b32 v6, v4, v42 :: v_dual_lshlrev_b32 v1, 2, v1
	ds_bpermute_b32 v2, v1, v45
	ds_bpermute_b32 v1, v1, v68
	v_cmp_lt_i32_e32 vcc_lo, v41, v0
	v_lshlrev_b32_e32 v6, 2, v6
	s_waitcnt lgkmcnt(1)
	v_dual_add_f32 v2, v45, v2 :: v_dual_lshlrev_b32 v3, 2, v3
	s_waitcnt lgkmcnt(0)
	v_add_f32_e32 v1, v68, v1
	ds_bpermute_b32 v5, v3, v2
	s_waitcnt lgkmcnt(0)
	v_add_f32_e32 v2, v2, v5
	ds_bpermute_b32 v3, v3, v1
	s_waitcnt lgkmcnt(0)
	v_add_f32_e32 v1, v1, v3
	ds_bpermute_b32 v3, v6, v2
	ds_bpermute_b32 v5, v6, v1
	v_cndmask_b32_e32 v6, v4, v41, vcc_lo
	v_cmp_lt_i32_e32 vcc_lo, v40, v0
	s_delay_alu instid0(VALU_DEP_2)
	v_lshlrev_b32_e32 v6, 2, v6
	s_waitcnt lgkmcnt(0)
	v_dual_add_f32 v2, v2, v3 :: v_dual_add_f32 v1, v1, v5
	ds_bpermute_b32 v3, v6, v2
	ds_bpermute_b32 v5, v6, v1
	v_cndmask_b32_e32 v0, v4, v40, vcc_lo
	s_and_b32 vcc_lo, exec_lo, s2
	s_mov_b32 s2, 0
	s_waitcnt lgkmcnt(0)
	s_delay_alu instid0(VALU_DEP_1)
	v_dual_add_f32 v1, v1, v5 :: v_dual_lshlrev_b32 v0, 2, v0
	ds_bpermute_b32 v4, v0, v1
	s_waitcnt lgkmcnt(0)
	v_dual_add_f32 v2, v2, v3 :: v_dual_add_f32 v1, v1, v4
	ds_bpermute_b32 v3, v0, v2
	v_add_nc_u32_e32 v4, s15, v38
	s_waitcnt lgkmcnt(0)
	v_add_f32_e32 v0, v2, v3
	s_cbranch_vccnz .LBB13_13
; %bb.12:
	v_mov_b32_e32 v3, v1
	s_delay_alu instid0(VALU_DEP_2)
	v_dual_mov_b32 v2, v0 :: v_dual_add_nc_u32 v5, s15, v38
	s_and_not1_b32 vcc_lo, exec_lo, s2
	s_cbranch_vccz .LBB13_14
	s_branch .LBB13_15
.LBB13_13:
                                        ; implicit-def: $vgpr5
                                        ; implicit-def: $vgpr2_vgpr3
.LBB13_14:
	s_delay_alu instid0(VALU_DEP_2) | instskip(NEXT) | instid1(VALU_DEP_1)
	v_ashrrev_i32_e32 v5, 31, v4
	v_lshlrev_b64 v[2:3], 2, v[4:5]
	s_delay_alu instid0(VALU_DEP_1) | instskip(NEXT) | instid1(VALU_DEP_2)
	v_add_co_u32 v2, vcc_lo, s24, v2
	v_add_co_ci_u32_e32 v3, vcc_lo, s25, v3, vcc_lo
	global_load_b64 v[2:3], v[2:3], off
	v_max_f32_e32 v5, v35, v35
	s_waitcnt vmcnt(0)
	v_dual_max_f32 v7, v36, v36 :: v_dual_max_f32 v8, v3, v3
	s_delay_alu instid0(VALU_DEP_1) | instskip(NEXT) | instid1(VALU_DEP_1)
	v_dual_max_f32 v6, v2, v2 :: v_dual_max_f32 v7, v7, v8
	v_dual_max_f32 v6, v5, v6 :: v_dual_sub_f32 v9, v36, v7
	s_delay_alu instid0(VALU_DEP_1) | instskip(SKIP_1) | instid1(VALU_DEP_3)
	v_sub_f32_e32 v8, v35, v6
	v_dual_sub_f32 v2, v2, v6 :: v_dual_sub_f32 v3, v3, v7
	v_dual_mov_b32 v36, v7 :: v_dual_mul_f32 v11, 0x3fb8aa3b, v9
	s_delay_alu instid0(VALU_DEP_2) | instskip(NEXT) | instid1(VALU_DEP_3)
	v_dual_mul_f32 v5, 0x3fb8aa3b, v8 :: v_dual_mul_f32 v10, 0x3fb8aa3b, v2
	v_mul_f32_e32 v12, 0x3fb8aa3b, v3
	v_cmp_ngt_f32_e32 vcc_lo, 0xc2ce8ed0, v8
	s_delay_alu instid0(VALU_DEP_4) | instskip(NEXT) | instid1(VALU_DEP_4)
	v_fma_f32 v19, 0x3fb8aa3b, v9, -v11
	v_fma_f32 v13, 0x3fb8aa3b, v8, -v5
	v_rndne_f32_e32 v14, v5
	v_fma_f32 v21, 0x3fb8aa3b, v3, -v12
	v_rndne_f32_e32 v22, v12
	v_fma_f32 v15, 0x3fb8aa3b, v2, -v10
	v_rndne_f32_e32 v18, v10
	v_fmac_f32_e32 v19, 0x32a5705f, v9
	s_delay_alu instid0(VALU_DEP_4) | instskip(NEXT) | instid1(VALU_DEP_3)
	v_dual_fmac_f32 v21, 0x32a5705f, v3 :: v_dual_sub_f32 v12, v12, v22
	v_dual_fmac_f32 v13, 0x32a5705f, v8 :: v_dual_sub_f32 v10, v10, v18
	v_fmac_f32_e32 v15, 0x32a5705f, v2
	v_rndne_f32_e32 v20, v11
	s_delay_alu instid0(VALU_DEP_4) | instskip(SKIP_1) | instid1(VALU_DEP_4)
	v_dual_add_f32 v12, v12, v21 :: v_dual_sub_f32 v5, v5, v14
	v_cvt_i32_f32_e32 v14, v14
	v_add_f32_e32 v10, v10, v15
	v_cvt_i32_f32_e32 v15, v18
	s_delay_alu instid0(VALU_DEP_4) | instskip(SKIP_4) | instid1(VALU_DEP_3)
	v_exp_f32_e32 v12, v12
	v_add_f32_e32 v5, v5, v13
	v_cvt_i32_f32_e32 v18, v20
	v_exp_f32_e32 v10, v10
	v_mov_b32_e32 v35, v6
	v_exp_f32_e32 v13, v5
	v_mov_b32_e32 v5, v4
	s_waitcnt_depctr 0xfff
	v_ldexp_f32 v10, v10, v15
	v_ldexp_f32 v4, v13, v14
	s_delay_alu instid0(VALU_DEP_1) | instskip(SKIP_1) | instid1(VALU_DEP_4)
	v_cndmask_b32_e32 v4, 0, v4, vcc_lo
	v_cmp_ngt_f32_e32 vcc_lo, 0xc2ce8ed0, v2
	v_dual_sub_f32 v11, v11, v20 :: v_dual_cndmask_b32 v10, 0, v10
	s_delay_alu instid0(VALU_DEP_1) | instskip(SKIP_2) | instid1(VALU_DEP_3)
	v_add_f32_e32 v11, v11, v19
	v_cvt_i32_f32_e32 v19, v22
	v_cmp_ngt_f32_e32 vcc_lo, 0xc2ce8ed0, v9
	v_exp_f32_e32 v11, v11
	s_delay_alu instid0(VALU_DEP_2) | instskip(SKIP_2) | instid1(VALU_DEP_1)
	v_ldexp_f32 v12, v12, v19
	s_waitcnt_depctr 0xfff
	v_ldexp_f32 v11, v11, v18
	v_cndmask_b32_e32 v11, 0, v11, vcc_lo
	v_cmp_ngt_f32_e32 vcc_lo, 0xc2ce8ed0, v3
	v_cndmask_b32_e32 v12, 0, v12, vcc_lo
	v_cmp_nlt_f32_e32 vcc_lo, 0x42b17218, v8
	v_cndmask_b32_e32 v4, 0x7f800000, v4, vcc_lo
	v_cmp_nlt_f32_e32 vcc_lo, 0x42b17218, v2
	;; [unrolled: 2-line block ×3, first 2 shown]
	s_delay_alu instid0(VALU_DEP_4) | instskip(NEXT) | instid1(VALU_DEP_3)
	v_cvt_f16_f32_e32 v9, v4
	v_fmac_f32_e32 v2, v0, v4
	v_cndmask_b32_e32 v8, 0x7f800000, v11, vcc_lo
	v_cmp_nlt_f32_e32 vcc_lo, 0x42b17218, v3
	s_delay_alu instid0(VALU_DEP_4) | instskip(SKIP_4) | instid1(VALU_DEP_2)
	v_pk_mul_f16 v66, v9, v66 op_sel_hi:[0,1]
	v_pk_mul_f16 v67, v9, v67 op_sel_hi:[0,1]
	v_mov_b32_e32 v0, v2
	v_cvt_f16_f32_e32 v6, v8
	v_cndmask_b32_e32 v3, 0x7f800000, v12, vcc_lo
	v_pk_mul_f16 v65, v6, v65 op_sel_hi:[0,1]
	s_delay_alu instid0(VALU_DEP_2) | instskip(SKIP_1) | instid1(VALU_DEP_2)
	v_fmac_f32_e32 v3, v1, v8
	v_pk_mul_f16 v55, v6, v55 op_sel_hi:[0,1]
	v_mov_b32_e32 v1, v3
.LBB13_15:
	s_load_b32 s1, s[0:1], 0xd4
	v_mov_b32_e32 v6, 1.0
	s_waitcnt lgkmcnt(0)
	s_cmp_lg_u32 s1, 1
	s_cselect_b32 s3, -1, 0
	s_cmp_eq_u32 s1, 1
	s_cselect_b32 s2, -1, 0
	s_and_b32 vcc_lo, exec_lo, s3
	s_cbranch_vccnz .LBB13_17
; %bb.16:
	v_div_scale_f32 v4, null, v0, v0, 1.0
	s_delay_alu instid0(VALU_DEP_1) | instskip(SKIP_2) | instid1(VALU_DEP_1)
	v_rcp_f32_e32 v6, v4
	s_waitcnt_depctr 0xfff
	v_fma_f32 v7, -v4, v6, 1.0
	v_fmac_f32_e32 v6, v7, v6
	v_div_scale_f32 v7, vcc_lo, 1.0, v0, 1.0
	s_delay_alu instid0(VALU_DEP_1) | instskip(NEXT) | instid1(VALU_DEP_1)
	v_mul_f32_e32 v8, v7, v6
	v_fma_f32 v9, -v4, v8, v7
	s_delay_alu instid0(VALU_DEP_1) | instskip(NEXT) | instid1(VALU_DEP_1)
	v_fmac_f32_e32 v8, v9, v6
	v_fma_f32 v4, -v4, v8, v7
	s_delay_alu instid0(VALU_DEP_1) | instskip(NEXT) | instid1(VALU_DEP_1)
	v_div_fmas_f32 v4, v4, v6, v8
	v_div_fixup_f32 v6, v4, v0, 1.0
.LBB13_17:
	v_mad_u64_u32 v[7:8], null, s33, s38, v[16:17]
	v_lshrrev_b32_e32 v0, 16, v66
	v_cvt_f32_f16_e32 v10, v67
	v_cmp_eq_u32_e32 vcc_lo, 0, v17
	s_delay_alu instid0(VALU_DEP_3) | instskip(SKIP_2) | instid1(VALU_DEP_2)
	v_cvt_f32_f16_e32 v0, v0
	v_mad_u64_u32 v[8:9], null, v7, s39, v[5:6]
	v_cvt_f32_f16_e32 v9, v66
	v_mad_u64_u32 v[4:5], null, s1, v8, s[14:15]
	v_mov_b32_e32 v8, 0
	v_lshrrev_b32_e32 v5, 16, v67
	s_delay_alu instid0(VALU_DEP_1) | instskip(NEXT) | instid1(VALU_DEP_4)
	v_cvt_f32_f16_e32 v5, v5
	v_lshl_add_u32 v7, v4, 7, v37
	s_delay_alu instid0(VALU_DEP_1)
	v_lshlrev_b64 v[11:12], 2, v[7:8]
	v_mul_f32_e32 v7, v6, v9
	v_mul_f32_e32 v9, v6, v10
	;; [unrolled: 1-line block ×4, first 2 shown]
	v_add_co_u32 v5, s0, s28, v11
	s_delay_alu instid0(VALU_DEP_1)
	v_add_co_ci_u32_e64 v6, s0, s29, v12, s0
	s_and_b32 s0, vcc_lo, s3
	global_store_b128 v[5:6], v[7:10], off
	s_and_saveexec_b32 s3, s0
	s_cbranch_execz .LBB13_19
; %bb.18:
	v_ashrrev_i32_e32 v5, 31, v4
	v_dual_mov_b32 v7, v35 :: v_dual_mov_b32 v8, v2
	s_delay_alu instid0(VALU_DEP_2) | instskip(NEXT) | instid1(VALU_DEP_1)
	v_lshlrev_b64 v[5:6], 3, v[4:5]
	v_add_co_u32 v5, vcc_lo, s30, v5
	s_delay_alu instid0(VALU_DEP_2)
	v_add_co_ci_u32_e32 v6, vcc_lo, s31, v6, vcc_lo
	global_store_b64 v[5:6], v[7:8], off
.LBB13_19:
	s_or_b32 exec_lo, exec_lo, s3
	v_mov_b32_e32 v2, 1.0
	s_and_not1_b32 vcc_lo, exec_lo, s2
	s_cbranch_vccnz .LBB13_21
; %bb.20:
	v_div_scale_f32 v0, null, v1, v1, 1.0
	s_delay_alu instid0(VALU_DEP_1) | instskip(SKIP_2) | instid1(VALU_DEP_1)
	v_rcp_f32_e32 v2, v0
	s_waitcnt_depctr 0xfff
	v_fma_f32 v5, -v0, v2, 1.0
	v_fmac_f32_e32 v2, v5, v2
	v_div_scale_f32 v5, vcc_lo, 1.0, v1, 1.0
	s_delay_alu instid0(VALU_DEP_1) | instskip(NEXT) | instid1(VALU_DEP_1)
	v_mul_f32_e32 v6, v5, v2
	v_fma_f32 v7, -v0, v6, v5
	s_delay_alu instid0(VALU_DEP_1) | instskip(NEXT) | instid1(VALU_DEP_1)
	v_fmac_f32_e32 v6, v7, v2
	v_fma_f32 v0, -v0, v6, v5
	s_delay_alu instid0(VALU_DEP_1) | instskip(NEXT) | instid1(VALU_DEP_1)
	v_div_fmas_f32 v0, v0, v2, v6
	v_div_fixup_f32 v2, v0, v1, 1.0
.LBB13_21:
	v_dual_mov_b32 v5, 0 :: v_dual_add_nc_u32 v0, s1, v4
	v_lshrrev_b32_e32 v1, 16, v65
	v_lshrrev_b32_e32 v6, 16, v55
	v_cvt_f32_f16_e32 v7, v65
	s_delay_alu instid0(VALU_DEP_4) | instskip(SKIP_3) | instid1(VALU_DEP_4)
	v_lshl_add_u32 v4, v0, 7, v37
	v_cvt_f32_f16_e32 v10, v55
	v_cvt_f32_f16_e32 v1, v1
	;; [unrolled: 1-line block ×3, first 2 shown]
	v_lshlrev_b64 v[8:9], 2, v[4:5]
	v_mul_f32_e32 v4, v2, v7
	s_delay_alu instid0(VALU_DEP_4)
	v_mul_f32_e32 v5, v2, v1
	v_mul_f32_e32 v6, v2, v10
	;; [unrolled: 1-line block ×3, first 2 shown]
	v_add_co_u32 v1, vcc_lo, s28, v8
	v_add_co_ci_u32_e32 v2, vcc_lo, s29, v9, vcc_lo
	global_store_b128 v[1:2], v[4:7], off
	s_and_saveexec_b32 s1, s0
	s_cbranch_execz .LBB13_23
; %bb.22:
	v_ashrrev_i32_e32 v1, 31, v0
	v_mov_b32_e32 v2, v36
	s_delay_alu instid0(VALU_DEP_2) | instskip(NEXT) | instid1(VALU_DEP_1)
	v_lshlrev_b64 v[0:1], 3, v[0:1]
	v_add_co_u32 v0, vcc_lo, s30, v0
	s_delay_alu instid0(VALU_DEP_2)
	v_add_co_ci_u32_e32 v1, vcc_lo, s31, v1, vcc_lo
	global_store_b64 v[0:1], v[2:3], off
.LBB13_23:
	s_nop 0
	s_sendmsg sendmsg(MSG_DEALLOC_VGPRS)
	s_endpgm
	.section	.rodata,"a",@progbits
	.p2align	6, 0x0
	.amdhsa_kernel _ZL15flash_attn_tileILi128ELi128ELi1ELi8ELb0EEvPKcS1_S1_S1_S1_PKiPfP15HIP_vector_typeIfLj2EEffffjfiS5_IjLj3EEiiiiiiiiiiiliiliiiiil
		.amdhsa_group_segment_fixed_size 12288
		.amdhsa_private_segment_fixed_size 0
		.amdhsa_kernarg_size 464
		.amdhsa_user_sgpr_count 13
		.amdhsa_user_sgpr_dispatch_ptr 0
		.amdhsa_user_sgpr_queue_ptr 0
		.amdhsa_user_sgpr_kernarg_segment_ptr 1
		.amdhsa_user_sgpr_dispatch_id 0
		.amdhsa_user_sgpr_private_segment_size 0
		.amdhsa_wavefront_size32 1
		.amdhsa_uses_dynamic_stack 0
		.amdhsa_enable_private_segment 0
		.amdhsa_system_sgpr_workgroup_id_x 1
		.amdhsa_system_sgpr_workgroup_id_y 1
		.amdhsa_system_sgpr_workgroup_id_z 1
		.amdhsa_system_sgpr_workgroup_info 0
		.amdhsa_system_vgpr_workitem_id 1
		.amdhsa_next_free_vgpr 142
		.amdhsa_next_free_sgpr 42
		.amdhsa_reserve_vcc 1
		.amdhsa_float_round_mode_32 0
		.amdhsa_float_round_mode_16_64 0
		.amdhsa_float_denorm_mode_32 3
		.amdhsa_float_denorm_mode_16_64 3
		.amdhsa_dx10_clamp 1
		.amdhsa_ieee_mode 1
		.amdhsa_fp16_overflow 0
		.amdhsa_workgroup_processor_mode 1
		.amdhsa_memory_ordered 1
		.amdhsa_forward_progress 0
		.amdhsa_shared_vgpr_count 0
		.amdhsa_exception_fp_ieee_invalid_op 0
		.amdhsa_exception_fp_denorm_src 0
		.amdhsa_exception_fp_ieee_div_zero 0
		.amdhsa_exception_fp_ieee_overflow 0
		.amdhsa_exception_fp_ieee_underflow 0
		.amdhsa_exception_fp_ieee_inexact 0
		.amdhsa_exception_int_div_zero 0
	.end_amdhsa_kernel
	.section	.text._ZL15flash_attn_tileILi128ELi128ELi1ELi8ELb0EEvPKcS1_S1_S1_S1_PKiPfP15HIP_vector_typeIfLj2EEffffjfiS5_IjLj3EEiiiiiiiiiiiliiliiiiil,"axG",@progbits,_ZL15flash_attn_tileILi128ELi128ELi1ELi8ELb0EEvPKcS1_S1_S1_S1_PKiPfP15HIP_vector_typeIfLj2EEffffjfiS5_IjLj3EEiiiiiiiiiiiliiliiiiil,comdat
.Lfunc_end13:
	.size	_ZL15flash_attn_tileILi128ELi128ELi1ELi8ELb0EEvPKcS1_S1_S1_S1_PKiPfP15HIP_vector_typeIfLj2EEffffjfiS5_IjLj3EEiiiiiiiiiiiliiliiiiil, .Lfunc_end13-_ZL15flash_attn_tileILi128ELi128ELi1ELi8ELb0EEvPKcS1_S1_S1_S1_PKiPfP15HIP_vector_typeIfLj2EEffffjfiS5_IjLj3EEiiiiiiiiiiiliiliiiiil
                                        ; -- End function
	.section	.AMDGPU.csdata,"",@progbits
; Kernel info:
; codeLenInByte = 14096
; NumSgprs: 44
; NumVgprs: 142
; ScratchSize: 0
; MemoryBound: 0
; FloatMode: 240
; IeeeMode: 1
; LDSByteSize: 12288 bytes/workgroup (compile time only)
; SGPRBlocks: 5
; VGPRBlocks: 17
; NumSGPRsForWavesPerEU: 44
; NumVGPRsForWavesPerEU: 142
; Occupancy: 10
; WaveLimiterHint : 1
; COMPUTE_PGM_RSRC2:SCRATCH_EN: 0
; COMPUTE_PGM_RSRC2:USER_SGPR: 13
; COMPUTE_PGM_RSRC2:TRAP_HANDLER: 0
; COMPUTE_PGM_RSRC2:TGID_X_EN: 1
; COMPUTE_PGM_RSRC2:TGID_Y_EN: 1
; COMPUTE_PGM_RSRC2:TGID_Z_EN: 1
; COMPUTE_PGM_RSRC2:TIDIG_COMP_CNT: 1
	.section	.text._ZL25flash_attn_mask_to_KV_maxILi1EEvPK7__half2Piiii,"axG",@progbits,_ZL25flash_attn_mask_to_KV_maxILi1EEvPK7__half2Piiii,comdat
	.globl	_ZL25flash_attn_mask_to_KV_maxILi1EEvPK7__half2Piiii ; -- Begin function _ZL25flash_attn_mask_to_KV_maxILi1EEvPK7__half2Piiii
	.p2align	8
	.type	_ZL25flash_attn_mask_to_KV_maxILi1EEvPK7__half2Piiii,@function
_ZL25flash_attn_mask_to_KV_maxILi1EEvPK7__half2Piiii: ; @_ZL25flash_attn_mask_to_KV_maxILi1EEvPK7__half2Piiii
; %bb.0:
	s_load_b128 s[4:7], s[0:1], 0x0
	s_mov_b32 s2, exec_lo
	v_cmpx_gt_u32_e32 32, v0
	s_cbranch_execz .LBB14_2
; %bb.1:
	v_dual_mov_b32 v2, 1 :: v_dual_lshlrev_b32 v1, 2, v0
	ds_store_b32 v1, v2
.LBB14_2:
	s_or_b32 exec_lo, exec_lo, s2
	s_clause 0x1
	s_load_b128 s[8:11], s[0:1], 0x10
	s_load_b32 s1, s[0:1], 0x20
	v_dual_mov_b32 v2, 0 :: v_dual_and_b32 v1, 31, v0
	v_lshrrev_b32_e32 v3, 3, v0
	s_waitcnt lgkmcnt(0)
	s_barrier
	s_delay_alu instid0(VALU_DEP_2) | instskip(SKIP_3) | instid1(SALU_CYCLE_1)
	v_lshlrev_b32_e32 v4, 2, v1
	buffer_gl0_inv
	s_mul_i32 s0, s15, s10
	s_mul_i32 s2, s14, s9
	s_add_i32 s2, s0, s2
	v_cmp_eq_u32_e64 s0, 0, v1
	s_ashr_i32 s3, s2, 31
	s_delay_alu instid0(SALU_CYCLE_1) | instskip(NEXT) | instid1(SALU_CYCLE_1)
	s_lshl_b64 s[10:11], s[2:3], 2
	s_add_u32 s3, s4, s10
	s_addc_u32 s4, s5, s11
	s_lshl_b32 s5, s8, 8
	s_branch .LBB14_4
	.p2align	6
.LBB14_3:                               ;   in Loop: Header=BB14_4 Depth=1
	s_or_b32 exec_lo, exec_lo, s9
	s_waitcnt lgkmcnt(0)
	s_barrier
	buffer_gl0_inv
	ds_load_b32 v1, v4
	s_waitcnt lgkmcnt(0)
	s_barrier
	buffer_gl0_inv
	;;#ASMSTART
	;;#ASMEND
	v_cmp_ne_u32_e32 vcc_lo, 0, v1
	s_cmp_lg_u32 vcc_lo, exec_lo
	s_cselect_b32 s8, -1, 0
	s_delay_alu instid0(SALU_CYCLE_1)
	s_and_b32 vcc_lo, exec_lo, s8
	s_cbranch_vccnz .LBB14_8
.LBB14_4:                               ; =>This Inner Loop Header: Depth=1
	s_mov_b32 s2, s5
	s_addk_i32 s5, 0xff00
	s_delay_alu instid0(SALU_CYCLE_1)
	s_cmp_lt_i32 s5, 0
	s_cbranch_scc1 .LBB14_7
; %bb.5:                                ;   in Loop: Header=BB14_4 Depth=1
	s_lshr_b32 s9, s5, 1
	s_mov_b32 s8, exec_lo
	v_add_nc_u32_e32 v1, s9, v0
	s_delay_alu instid0(VALU_DEP_1) | instskip(NEXT) | instid1(VALU_DEP_1)
	v_lshlrev_b64 v[5:6], 2, v[1:2]
	v_add_co_u32 v5, vcc_lo, s3, v5
	s_delay_alu instid0(VALU_DEP_2) | instskip(SKIP_4) | instid1(VALU_DEP_2)
	v_add_co_ci_u32_e32 v6, vcc_lo, s4, v6, vcc_lo
	global_load_b32 v1, v[5:6], off
	s_waitcnt vmcnt(0)
	v_lshrrev_b32_e32 v5, 16, v1
	v_cmp_class_f16_e64 s9, v1, 0x204
	v_and_b32_e32 v5, 0x7fff, v5
	s_delay_alu instid0(VALU_DEP_1) | instskip(NEXT) | instid1(VALU_DEP_3)
	v_cmp_eq_f16_e32 vcc_lo, 0x7c00, v5
	s_and_b32 s9, s9, vcc_lo
	s_delay_alu instid0(SALU_CYCLE_1) | instskip(SKIP_1) | instid1(VALU_DEP_1)
	v_cndmask_b32_e64 v1, 0, 1, s9
	;;#ASMSTART
	;;#ASMEND
	v_cmp_ne_u32_e32 vcc_lo, 0, v1
	s_and_saveexec_b32 s9, s0
	s_cbranch_execz .LBB14_3
; %bb.6:                                ;   in Loop: Header=BB14_4 Depth=1
	s_cmp_eq_u32 vcc_lo, s8
	s_cselect_b32 s8, -1, 0
	s_delay_alu instid0(SALU_CYCLE_1)
	v_cndmask_b32_e64 v1, 0, 1, s8
	ds_store_b32 v3, v1
	s_branch .LBB14_3
.LBB14_7:                               ;   in Loop: Header=BB14_4 Depth=1
                                        ; implicit-def: $sgpr5
	s_cbranch_execz .LBB14_4
.LBB14_8:
	s_mov_b32 s0, exec_lo
	v_cmpx_eq_u32_e32 0, v0
	s_cbranch_execz .LBB14_10
; %bb.9:
	s_mul_i32 s0, s1, s15
	v_dual_mov_b32 v0, 0 :: v_dual_mov_b32 v1, s2
	s_add_i32 s0, s0, s14
	s_delay_alu instid0(SALU_CYCLE_1) | instskip(NEXT) | instid1(SALU_CYCLE_1)
	s_ashr_i32 s1, s0, 31
	s_lshl_b64 s[0:1], s[0:1], 2
	s_delay_alu instid0(SALU_CYCLE_1)
	s_add_u32 s0, s6, s0
	s_addc_u32 s1, s7, s1
	global_store_b32 v0, v1, s[0:1]
.LBB14_10:
	s_nop 0
	s_sendmsg sendmsg(MSG_DEALLOC_VGPRS)
	s_endpgm
	.section	.rodata,"a",@progbits
	.p2align	6, 0x0
	.amdhsa_kernel _ZL25flash_attn_mask_to_KV_maxILi1EEvPK7__half2Piiii
		.amdhsa_group_segment_fixed_size 128
		.amdhsa_private_segment_fixed_size 0
		.amdhsa_kernarg_size 288
		.amdhsa_user_sgpr_count 14
		.amdhsa_user_sgpr_dispatch_ptr 0
		.amdhsa_user_sgpr_queue_ptr 0
		.amdhsa_user_sgpr_kernarg_segment_ptr 1
		.amdhsa_user_sgpr_dispatch_id 0
		.amdhsa_user_sgpr_private_segment_size 0
		.amdhsa_wavefront_size32 1
		.amdhsa_uses_dynamic_stack 0
		.amdhsa_enable_private_segment 0
		.amdhsa_system_sgpr_workgroup_id_x 1
		.amdhsa_system_sgpr_workgroup_id_y 1
		.amdhsa_system_sgpr_workgroup_id_z 0
		.amdhsa_system_sgpr_workgroup_info 0
		.amdhsa_system_vgpr_workitem_id 0
		.amdhsa_next_free_vgpr 7
		.amdhsa_next_free_sgpr 16
		.amdhsa_reserve_vcc 1
		.amdhsa_float_round_mode_32 0
		.amdhsa_float_round_mode_16_64 0
		.amdhsa_float_denorm_mode_32 3
		.amdhsa_float_denorm_mode_16_64 3
		.amdhsa_dx10_clamp 1
		.amdhsa_ieee_mode 1
		.amdhsa_fp16_overflow 0
		.amdhsa_workgroup_processor_mode 1
		.amdhsa_memory_ordered 1
		.amdhsa_forward_progress 0
		.amdhsa_shared_vgpr_count 0
		.amdhsa_exception_fp_ieee_invalid_op 0
		.amdhsa_exception_fp_denorm_src 0
		.amdhsa_exception_fp_ieee_div_zero 0
		.amdhsa_exception_fp_ieee_overflow 0
		.amdhsa_exception_fp_ieee_underflow 0
		.amdhsa_exception_fp_ieee_inexact 0
		.amdhsa_exception_int_div_zero 0
	.end_amdhsa_kernel
	.section	.text._ZL25flash_attn_mask_to_KV_maxILi1EEvPK7__half2Piiii,"axG",@progbits,_ZL25flash_attn_mask_to_KV_maxILi1EEvPK7__half2Piiii,comdat
.Lfunc_end14:
	.size	_ZL25flash_attn_mask_to_KV_maxILi1EEvPK7__half2Piiii, .Lfunc_end14-_ZL25flash_attn_mask_to_KV_maxILi1EEvPK7__half2Piiii
                                        ; -- End function
	.section	.AMDGPU.csdata,"",@progbits
; Kernel info:
; codeLenInByte = 456
; NumSgprs: 18
; NumVgprs: 7
; ScratchSize: 0
; MemoryBound: 0
; FloatMode: 240
; IeeeMode: 1
; LDSByteSize: 128 bytes/workgroup (compile time only)
; SGPRBlocks: 2
; VGPRBlocks: 0
; NumSGPRsForWavesPerEU: 18
; NumVGPRsForWavesPerEU: 7
; Occupancy: 16
; WaveLimiterHint : 0
; COMPUTE_PGM_RSRC2:SCRATCH_EN: 0
; COMPUTE_PGM_RSRC2:USER_SGPR: 14
; COMPUTE_PGM_RSRC2:TRAP_HANDLER: 0
; COMPUTE_PGM_RSRC2:TGID_X_EN: 1
; COMPUTE_PGM_RSRC2:TGID_Y_EN: 1
; COMPUTE_PGM_RSRC2:TGID_Z_EN: 0
; COMPUTE_PGM_RSRC2:TIDIG_COMP_CNT: 0
	.section	.text._ZL33flash_attn_stream_k_fixup_uniformILi128ELi1ELi8EEvPfPK15HIP_vector_typeIfLj2EEiiiiiiS1_IjLj3EES5_S5_,"axG",@progbits,_ZL33flash_attn_stream_k_fixup_uniformILi128ELi1ELi8EEvPfPK15HIP_vector_typeIfLj2EEiiiiiiS1_IjLj3EES5_S5_,comdat
	.globl	_ZL33flash_attn_stream_k_fixup_uniformILi128ELi1ELi8EEvPfPK15HIP_vector_typeIfLj2EEiiiiiiS1_IjLj3EES5_S5_ ; -- Begin function _ZL33flash_attn_stream_k_fixup_uniformILi128ELi1ELi8EEvPfPK15HIP_vector_typeIfLj2EEiiiiiiS1_IjLj3EES5_S5_
	.p2align	8
	.type	_ZL33flash_attn_stream_k_fixup_uniformILi128ELi1ELi8EEvPfPK15HIP_vector_typeIfLj2EEiiiiiiS1_IjLj3EES5_S5_,@function
_ZL33flash_attn_stream_k_fixup_uniformILi128ELi1ELi8EEvPfPK15HIP_vector_typeIfLj2EEiiiiiiS1_IjLj3EES5_S5_: ; @_ZL33flash_attn_stream_k_fixup_uniformILi128ELi1ELi8EEvPfPK15HIP_vector_typeIfLj2EEiiiiiiS1_IjLj3EES5_S5_
; %bb.0:
	s_clause 0x1
	s_load_b256 s[4:11], s[0:1], 0x1c
	s_load_b128 s[16:19], s[0:1], 0x3c
	s_waitcnt lgkmcnt(0)
	s_mul_hi_u32 s2, s7, s13
	s_delay_alu instid0(SALU_CYCLE_1) | instskip(NEXT) | instid1(SALU_CYCLE_1)
	s_add_i32 s2, s13, s2
	s_lshr_b32 s7, s2, s8
	s_delay_alu instid0(SALU_CYCLE_1) | instskip(SKIP_2) | instid1(SALU_CYCLE_1)
	s_mul_i32 s2, s7, s9
	s_load_b64 s[8:9], s[0:1], 0x10
	s_sub_i32 s2, s13, s2
	s_mul_hi_u32 s3, s2, s10
	s_delay_alu instid0(SALU_CYCLE_1) | instskip(NEXT) | instid1(SALU_CYCLE_1)
	s_add_i32 s3, s2, s3
	s_lshr_b32 s10, s3, s11
	s_delay_alu instid0(SALU_CYCLE_1) | instskip(NEXT) | instid1(SALU_CYCLE_1)
	s_mul_i32 s3, s10, s16
	s_sub_i32 s2, s2, s3
	s_delay_alu instid0(SALU_CYCLE_1) | instskip(NEXT) | instid1(SALU_CYCLE_1)
	s_mul_hi_u32 s3, s2, s17
	s_add_i32 s3, s2, s3
	s_delay_alu instid0(SALU_CYCLE_1) | instskip(NEXT) | instid1(SALU_CYCLE_1)
	s_lshr_b32 s3, s3, s18
	s_mul_i32 s11, s3, s19
	s_lshl_b32 s12, s3, 3
	s_sub_i32 s11, s2, s11
	s_delay_alu instid0(SALU_CYCLE_1) | instskip(SKIP_4) | instid1(SALU_CYCLE_1)
	s_add_i32 s11, s11, s14
	s_waitcnt lgkmcnt(0)
	s_cmp_lt_i32 s11, s8
	s_cselect_b32 s2, -1, 0
	s_add_i32 s12, s12, s15
	s_cmp_lt_i32 s12, s5
	s_cselect_b32 s3, -1, 0
	s_delay_alu instid0(SALU_CYCLE_1) | instskip(NEXT) | instid1(SALU_CYCLE_1)
	s_and_b32 s2, s2, s3
	s_and_not1_b32 vcc_lo, exec_lo, s2
	s_cbranch_vccnz .LBB15_6
; %bb.1:
	s_mul_i32 s7, s7, s8
	s_mul_i32 s10, s10, s5
	s_add_i32 s5, s11, s7
	s_load_b128 s[0:3], s[0:1], 0x0
	s_add_i32 s7, s12, s10
	s_mul_i32 s5, s5, s9
	s_delay_alu instid0(SALU_CYCLE_1) | instskip(SKIP_3) | instid1(VALU_DEP_1)
	s_add_i32 s7, s7, s5
	s_mul_i32 s5, s13, s6
	v_lshl_or_b32 v1, s7, 7, v0
	s_add_i32 s9, s5, s6
	v_ashrrev_i32_e32 v2, 31, v1
	s_delay_alu instid0(VALU_DEP_1) | instskip(SKIP_1) | instid1(VALU_DEP_1)
	v_lshlrev_b64 v[1:2], 2, v[1:2]
	s_waitcnt lgkmcnt(0)
	v_add_co_u32 v1, vcc_lo, s0, v1
	s_delay_alu instid0(VALU_DEP_2) | instskip(SKIP_1) | instid1(SALU_CYCLE_1)
	v_add_co_ci_u32_e32 v2, vcc_lo, s1, v2, vcc_lo
	s_add_i32 s0, s14, s9
	s_lshl_b32 s0, s0, 3
	global_load_b32 v5, v[1:2], off
	s_add_i32 s0, s0, s15
	s_delay_alu instid0(SALU_CYCLE_1) | instskip(NEXT) | instid1(SALU_CYCLE_1)
	s_add_i32 s0, s0, -8
	s_ashr_i32 s1, s0, 31
	s_delay_alu instid0(SALU_CYCLE_1) | instskip(NEXT) | instid1(SALU_CYCLE_1)
	s_lshl_b64 s[0:1], s[0:1], 3
	s_add_u32 s0, s2, s0
	s_addc_u32 s1, s3, s1
	s_add_i32 s7, s9, -2
	s_load_b32 s10, s[0:1], 0x4
	s_cmp_lt_i32 s7, s5
	s_cbranch_scc1 .LBB15_4
; %bb.2:
	s_lshl_b32 s16, s4, 5
	s_load_b32 s11, s[0:1], 0x0
	s_ashr_i32 s17, s16, 31
	s_delay_alu instid0(SALU_CYCLE_1) | instskip(NEXT) | instid1(SALU_CYCLE_1)
	s_lshl_b64 s[0:1], s[16:17], 2
	s_add_u32 s7, s2, s0
	s_addc_u32 s8, s3, s1
	s_add_i32 s13, s13, 1
	s_lshl_b32 s0, s15, 7
	s_lshl_b32 s1, s14, 10
	s_mul_i32 s6, s6, s13
	s_add_i32 s0, s0, s1
	s_lshl_b32 s1, s6, 10
	s_delay_alu instid0(SALU_CYCLE_1)
	s_add_i32 s0, s0, s1
	s_add_i32 s1, s14, s4
	v_or_b32_e32 v0, s0, v0
	s_add_i32 s1, s1, s9
	s_waitcnt lgkmcnt(0)
	v_mov_b32_e32 v6, s10
	s_lshl_b32 s0, s1, 3
	s_add_i32 s4, s9, -1
	v_dual_mov_b32 v0, s11 :: v_dual_add_nc_u32 v3, 0xfffff800, v0
	s_add_i32 s0, s15, s0
	s_delay_alu instid0(SALU_CYCLE_1)
	s_add_i32 s0, s0, -16
.LBB15_3:                               ; =>This Inner Loop Header: Depth=1
	s_delay_alu instid0(VALU_DEP_1) | instskip(SKIP_1) | instid1(SALU_CYCLE_1)
	v_ashrrev_i32_e32 v4, 31, v3
	s_ashr_i32 s1, s0, 31
	s_lshl_b64 s[10:11], s[0:1], 3
	s_delay_alu instid0(SALU_CYCLE_1) | instskip(NEXT) | instid1(VALU_DEP_1)
	s_add_u32 s10, s2, s10
	v_lshlrev_b64 v[7:8], 2, v[3:4]
	s_addc_u32 s11, s3, s11
	s_add_i32 s4, s4, -1
	s_add_i32 s0, s0, -8
	s_cmp_le_i32 s4, s5
	s_load_b64 s[10:11], s[10:11], 0x0
	v_add_co_u32 v7, vcc_lo, s7, v7
	v_add_co_ci_u32_e32 v8, vcc_lo, s8, v8, vcc_lo
	global_load_b32 v4, v[7:8], off
	v_max_f32_e32 v7, v0, v0
	s_waitcnt lgkmcnt(0)
	v_max_f32_e64 v8, s10, s10
	s_delay_alu instid0(VALU_DEP_1) | instskip(NEXT) | instid1(VALU_DEP_1)
	v_max_f32_e32 v7, v7, v8
	v_sub_f32_e32 v8, s10, v7
	s_delay_alu instid0(VALU_DEP_1) | instskip(NEXT) | instid1(VALU_DEP_1)
	v_dual_sub_f32 v0, v0, v7 :: v_dual_mul_f32 v9, 0x3fb8aa3b, v8
	v_fma_f32 v10, 0x3fb8aa3b, v8, -v9
	v_rndne_f32_e32 v11, v9
	s_delay_alu instid0(VALU_DEP_3) | instskip(NEXT) | instid1(VALU_DEP_2)
	v_mul_f32_e32 v12, 0x3fb8aa3b, v0
	v_dual_fmac_f32 v10, 0x32a5705f, v8 :: v_dual_sub_f32 v9, v9, v11
	v_cvt_i32_f32_e32 v11, v11
	s_delay_alu instid0(VALU_DEP_3) | instskip(SKIP_1) | instid1(VALU_DEP_4)
	v_fma_f32 v13, 0x3fb8aa3b, v0, -v12
	v_rndne_f32_e32 v14, v12
	v_add_f32_e32 v9, v9, v10
	v_cmp_ngt_f32_e32 vcc_lo, 0xc2ce8ed0, v8
	s_delay_alu instid0(VALU_DEP_3) | instskip(NEXT) | instid1(VALU_DEP_3)
	v_sub_f32_e32 v10, v12, v14
	v_exp_f32_e32 v9, v9
	s_waitcnt_depctr 0xfff
	v_ldexp_f32 v9, v9, v11
	v_cvt_i32_f32_e32 v11, v14
	s_delay_alu instid0(VALU_DEP_2) | instskip(SKIP_1) | instid1(VALU_DEP_2)
	v_cndmask_b32_e32 v9, 0, v9, vcc_lo
	v_cmp_nlt_f32_e32 vcc_lo, 0x42b17218, v8
	v_cndmask_b32_e32 v9, 0x7f800000, v9, vcc_lo
	v_cmp_ngt_f32_e32 vcc_lo, 0xc2ce8ed0, v0
	v_fmac_f32_e32 v13, 0x32a5705f, v0
	s_delay_alu instid0(VALU_DEP_1) | instskip(NEXT) | instid1(VALU_DEP_1)
	v_add_f32_e32 v10, v10, v13
	v_exp_f32_e32 v10, v10
	s_waitcnt_depctr 0xfff
	v_ldexp_f32 v10, v10, v11
	s_delay_alu instid0(VALU_DEP_1)
	v_dual_mov_b32 v11, v6 :: v_dual_cndmask_b32 v10, 0, v10
	v_cmp_le_f32_e32 vcc_lo, 0xc1a00000, v8
	s_waitcnt vmcnt(1)
	v_dual_cndmask_b32 v8, 0, v9 :: v_dual_mov_b32 v9, v5
	v_cmp_nlt_f32_e32 vcc_lo, 0x42b17218, v0
	v_cndmask_b32_e32 v5, 0x7f800000, v10, vcc_lo
	s_delay_alu instid0(VALU_DEP_3) | instskip(SKIP_2) | instid1(VALU_DEP_3)
	v_mul_f32_e32 v10, s11, v8
	v_cmp_le_f32_e32 vcc_lo, 0xc1a00000, v0
	v_mov_b32_e32 v0, v7
	v_mov_b32_e32 v6, v10
	s_waitcnt vmcnt(0)
	v_dual_cndmask_b32 v12, 0, v5 :: v_dual_mul_f32 v5, v4, v8
	s_delay_alu instid0(VALU_DEP_1) | instskip(NEXT) | instid1(VALU_DEP_2)
	v_dual_fmac_f32 v6, v11, v12 :: v_dual_add_nc_u32 v3, 0xfffffc00, v3
	v_fmac_f32_e32 v5, v9, v12
	s_cbranch_scc0 .LBB15_3
	s_branch .LBB15_5
.LBB15_4:
	s_waitcnt lgkmcnt(0)
	v_mov_b32_e32 v6, s10
.LBB15_5:
	s_waitcnt vmcnt(0)
	s_delay_alu instid0(VALU_DEP_1) | instskip(NEXT) | instid1(VALU_DEP_1)
	v_div_scale_f32 v0, null, v6, v6, v5
	v_rcp_f32_e32 v3, v0
	s_waitcnt_depctr 0xfff
	v_fma_f32 v4, -v0, v3, 1.0
	s_delay_alu instid0(VALU_DEP_1) | instskip(SKIP_1) | instid1(VALU_DEP_1)
	v_fmac_f32_e32 v3, v4, v3
	v_div_scale_f32 v4, vcc_lo, v5, v6, v5
	v_mul_f32_e32 v7, v4, v3
	s_delay_alu instid0(VALU_DEP_1) | instskip(NEXT) | instid1(VALU_DEP_1)
	v_fma_f32 v8, -v0, v7, v4
	v_fmac_f32_e32 v7, v8, v3
	s_delay_alu instid0(VALU_DEP_1) | instskip(NEXT) | instid1(VALU_DEP_1)
	v_fma_f32 v0, -v0, v7, v4
	v_div_fmas_f32 v0, v0, v3, v7
	s_delay_alu instid0(VALU_DEP_1)
	v_div_fixup_f32 v0, v0, v6, v5
	global_store_b32 v[1:2], v0, off
.LBB15_6:
	s_nop 0
	s_sendmsg sendmsg(MSG_DEALLOC_VGPRS)
	s_endpgm
	.section	.rodata,"a",@progbits
	.p2align	6, 0x0
	.amdhsa_kernel _ZL33flash_attn_stream_k_fixup_uniformILi128ELi1ELi8EEvPfPK15HIP_vector_typeIfLj2EEiiiiiiS1_IjLj3EES5_S5_
		.amdhsa_group_segment_fixed_size 0
		.amdhsa_private_segment_fixed_size 0
		.amdhsa_kernarg_size 76
		.amdhsa_user_sgpr_count 13
		.amdhsa_user_sgpr_dispatch_ptr 0
		.amdhsa_user_sgpr_queue_ptr 0
		.amdhsa_user_sgpr_kernarg_segment_ptr 1
		.amdhsa_user_sgpr_dispatch_id 0
		.amdhsa_user_sgpr_private_segment_size 0
		.amdhsa_wavefront_size32 1
		.amdhsa_uses_dynamic_stack 0
		.amdhsa_enable_private_segment 0
		.amdhsa_system_sgpr_workgroup_id_x 1
		.amdhsa_system_sgpr_workgroup_id_y 1
		.amdhsa_system_sgpr_workgroup_id_z 1
		.amdhsa_system_sgpr_workgroup_info 0
		.amdhsa_system_vgpr_workitem_id 0
		.amdhsa_next_free_vgpr 15
		.amdhsa_next_free_sgpr 20
		.amdhsa_reserve_vcc 1
		.amdhsa_float_round_mode_32 0
		.amdhsa_float_round_mode_16_64 0
		.amdhsa_float_denorm_mode_32 3
		.amdhsa_float_denorm_mode_16_64 3
		.amdhsa_dx10_clamp 1
		.amdhsa_ieee_mode 1
		.amdhsa_fp16_overflow 0
		.amdhsa_workgroup_processor_mode 1
		.amdhsa_memory_ordered 1
		.amdhsa_forward_progress 0
		.amdhsa_shared_vgpr_count 0
		.amdhsa_exception_fp_ieee_invalid_op 0
		.amdhsa_exception_fp_denorm_src 0
		.amdhsa_exception_fp_ieee_div_zero 0
		.amdhsa_exception_fp_ieee_overflow 0
		.amdhsa_exception_fp_ieee_underflow 0
		.amdhsa_exception_fp_ieee_inexact 0
		.amdhsa_exception_int_div_zero 0
	.end_amdhsa_kernel
	.section	.text._ZL33flash_attn_stream_k_fixup_uniformILi128ELi1ELi8EEvPfPK15HIP_vector_typeIfLj2EEiiiiiiS1_IjLj3EES5_S5_,"axG",@progbits,_ZL33flash_attn_stream_k_fixup_uniformILi128ELi1ELi8EEvPfPK15HIP_vector_typeIfLj2EEiiiiiiS1_IjLj3EES5_S5_,comdat
.Lfunc_end15:
	.size	_ZL33flash_attn_stream_k_fixup_uniformILi128ELi1ELi8EEvPfPK15HIP_vector_typeIfLj2EEiiiiiiS1_IjLj3EES5_S5_, .Lfunc_end15-_ZL33flash_attn_stream_k_fixup_uniformILi128ELi1ELi8EEvPfPK15HIP_vector_typeIfLj2EEiiiiiiS1_IjLj3EES5_S5_
                                        ; -- End function
	.section	.AMDGPU.csdata,"",@progbits
; Kernel info:
; codeLenInByte = 968
; NumSgprs: 22
; NumVgprs: 15
; ScratchSize: 0
; MemoryBound: 0
; FloatMode: 240
; IeeeMode: 1
; LDSByteSize: 0 bytes/workgroup (compile time only)
; SGPRBlocks: 2
; VGPRBlocks: 1
; NumSGPRsForWavesPerEU: 22
; NumVGPRsForWavesPerEU: 15
; Occupancy: 16
; WaveLimiterHint : 0
; COMPUTE_PGM_RSRC2:SCRATCH_EN: 0
; COMPUTE_PGM_RSRC2:USER_SGPR: 13
; COMPUTE_PGM_RSRC2:TRAP_HANDLER: 0
; COMPUTE_PGM_RSRC2:TGID_X_EN: 1
; COMPUTE_PGM_RSRC2:TGID_Y_EN: 1
; COMPUTE_PGM_RSRC2:TGID_Z_EN: 1
; COMPUTE_PGM_RSRC2:TIDIG_COMP_CNT: 0
	.section	.text._ZL33flash_attn_stream_k_fixup_generalILi128ELi1ELi8EEvPfPK15HIP_vector_typeIfLj2EEiiiiS1_IjLj3EES5_S5_S5_,"axG",@progbits,_ZL33flash_attn_stream_k_fixup_generalILi128ELi1ELi8EEvPfPK15HIP_vector_typeIfLj2EEiiiiS1_IjLj3EES5_S5_S5_,comdat
	.globl	_ZL33flash_attn_stream_k_fixup_generalILi128ELi1ELi8EEvPfPK15HIP_vector_typeIfLj2EEiiiiS1_IjLj3EES5_S5_S5_ ; -- Begin function _ZL33flash_attn_stream_k_fixup_generalILi128ELi1ELi8EEvPfPK15HIP_vector_typeIfLj2EEiiiiS1_IjLj3EES5_S5_S5_
	.p2align	8
	.type	_ZL33flash_attn_stream_k_fixup_generalILi128ELi1ELi8EEvPfPK15HIP_vector_typeIfLj2EEiiiiS1_IjLj3EES5_S5_S5_,@function
_ZL33flash_attn_stream_k_fixup_generalILi128ELi1ELi8EEvPfPK15HIP_vector_typeIfLj2EEiiiiS1_IjLj3EES5_S5_S5_: ; @_ZL33flash_attn_stream_k_fixup_generalILi128ELi1ELi8EEvPfPK15HIP_vector_typeIfLj2EEiiiiS1_IjLj3EES5_S5_S5_
; %bb.0:
	s_clause 0x1
	s_load_b128 s[4:7], s[0:1], 0x10
	s_load_b32 s20, s[0:1], 0x50
	s_mov_b32 s2, 0
	s_waitcnt lgkmcnt(0)
	s_mul_hi_i32 s3, s7, s13
	s_mul_i32 s12, s7, s13
	s_cmp_lg_u64 s[2:3], 0
	s_cbranch_scc0 .LBB16_21
; %bb.1:
	v_cvt_f32_ubyte0_e32 v1, 0
	v_cvt_f32_u32_e32 v2, s20
	s_sub_u32 s10, 0, s20
	s_subb_u32 s11, 0, 0
	s_delay_alu instid0(VALU_DEP_1) | instskip(NEXT) | instid1(VALU_DEP_1)
	v_fmamk_f32 v1, v1, 0x4f800000, v2
	v_rcp_f32_e32 v1, v1
	s_waitcnt_depctr 0xfff
	v_mul_f32_e32 v1, 0x5f7ffffc, v1
	s_delay_alu instid0(VALU_DEP_1) | instskip(NEXT) | instid1(VALU_DEP_1)
	v_mul_f32_e32 v2, 0x2f800000, v1
	v_trunc_f32_e32 v2, v2
	s_delay_alu instid0(VALU_DEP_1) | instskip(SKIP_1) | instid1(VALU_DEP_2)
	v_fmamk_f32 v1, v2, 0xcf800000, v1
	v_cvt_u32_f32_e32 v2, v2
	v_cvt_u32_f32_e32 v1, v1
	s_delay_alu instid0(VALU_DEP_2) | instskip(NEXT) | instid1(VALU_DEP_2)
	v_readfirstlane_b32 s8, v2
	v_readfirstlane_b32 s9, v1
	s_delay_alu instid0(VALU_DEP_2) | instskip(NEXT) | instid1(VALU_DEP_1)
	s_mul_i32 s16, s10, s8
	s_mul_hi_u32 s18, s10, s9
	s_mul_i32 s17, s11, s9
	s_add_i32 s16, s18, s16
	s_mul_i32 s19, s10, s9
	s_add_i32 s16, s16, s17
	s_mul_hi_u32 s18, s9, s19
	s_mul_hi_u32 s21, s8, s19
	s_mul_i32 s17, s8, s19
	s_mul_hi_u32 s19, s9, s16
	s_mul_i32 s9, s9, s16
	s_mul_hi_u32 s22, s8, s16
	s_add_u32 s9, s18, s9
	s_addc_u32 s18, 0, s19
	s_add_u32 s9, s9, s17
	s_mul_i32 s16, s8, s16
	s_addc_u32 s9, s18, s21
	s_addc_u32 s17, s22, 0
	s_add_u32 s9, s9, s16
	s_addc_u32 s16, 0, s17
	v_add_co_u32 v1, s9, v1, s9
	s_delay_alu instid0(VALU_DEP_1) | instskip(SKIP_1) | instid1(VALU_DEP_1)
	s_cmp_lg_u32 s9, 0
	s_addc_u32 s8, s8, s16
	v_readfirstlane_b32 s9, v1
	s_mul_i32 s16, s10, s8
	s_delay_alu instid0(VALU_DEP_1)
	s_mul_hi_u32 s17, s10, s9
	s_mul_i32 s11, s11, s9
	s_add_i32 s16, s17, s16
	s_mul_i32 s10, s10, s9
	s_add_i32 s16, s16, s11
	s_mul_hi_u32 s17, s8, s10
	s_mul_i32 s18, s8, s10
	s_mul_hi_u32 s10, s9, s10
	s_mul_hi_u32 s19, s9, s16
	s_mul_i32 s9, s9, s16
	s_mul_hi_u32 s11, s8, s16
	s_add_u32 s9, s10, s9
	s_addc_u32 s10, 0, s19
	s_add_u32 s9, s9, s18
	s_mul_i32 s16, s8, s16
	s_addc_u32 s9, s10, s17
	s_addc_u32 s10, s11, 0
	s_add_u32 s9, s9, s16
	s_addc_u32 s10, 0, s10
	v_add_co_u32 v1, s9, v1, s9
	s_delay_alu instid0(VALU_DEP_1) | instskip(SKIP_2) | instid1(SALU_CYCLE_1)
	s_cmp_lg_u32 s9, 0
	s_addc_u32 s16, s8, s10
	s_ashr_i32 s8, s3, 31
	s_add_u32 s10, s12, s8
	s_addc_u32 s11, s3, s8
	v_readfirstlane_b32 s3, v1
	s_mov_b32 s9, s8
	s_delay_alu instid0(SALU_CYCLE_1) | instskip(NEXT) | instid1(SALU_CYCLE_1)
	s_xor_b64 s[10:11], s[10:11], s[8:9]
	s_mul_i32 s18, s10, s16
	s_delay_alu instid0(VALU_DEP_1)
	s_mul_hi_u32 s19, s10, s3
	s_mul_hi_u32 s17, s10, s16
	;; [unrolled: 1-line block ×3, first 2 shown]
	s_mul_i32 s3, s11, s3
	s_add_u32 s18, s19, s18
	s_addc_u32 s17, 0, s17
	s_mul_hi_u32 s21, s11, s16
	s_add_u32 s3, s18, s3
	s_mul_i32 s16, s11, s16
	s_addc_u32 s3, s17, s22
	s_addc_u32 s17, s21, 0
	s_add_u32 s3, s3, s16
	s_addc_u32 s16, 0, s17
	s_mul_i32 s18, s20, s3
	s_add_u32 s17, s3, 1
	v_sub_co_u32 v1, s10, s10, s18
	s_mul_hi_u32 s18, s20, s3
	s_addc_u32 s19, s16, 0
	s_mul_i32 s21, s20, s16
	s_delay_alu instid0(VALU_DEP_1)
	v_sub_co_u32 v2, s22, v1, s20
	s_add_u32 s23, s3, 2
	s_addc_u32 s24, s16, 0
	s_add_i32 s18, s18, s21
	s_cmp_lg_u32 s10, 0
	v_readfirstlane_b32 s10, v2
	s_subb_u32 s11, s11, s18
	s_cmp_lg_u32 s22, 0
	s_subb_u32 s18, s11, 0
	s_delay_alu instid0(VALU_DEP_1) | instskip(SKIP_4) | instid1(SALU_CYCLE_1)
	s_cmp_ge_u32 s10, s20
	s_cselect_b32 s10, -1, 0
	s_cmp_eq_u32 s18, 0
	v_readfirstlane_b32 s18, v1
	s_cselect_b32 s10, s10, -1
	s_cmp_lg_u32 s10, 0
	s_cselect_b32 s10, s23, s17
	s_cselect_b32 s17, s24, s19
	s_cmp_ge_u32 s18, s20
	s_cselect_b32 s18, -1, 0
	s_cmp_eq_u32 s11, 0
	s_cselect_b32 s11, s18, -1
	s_delay_alu instid0(SALU_CYCLE_1) | instskip(SKIP_2) | instid1(SALU_CYCLE_1)
	s_cmp_lg_u32 s11, 0
	s_cselect_b32 s11, s17, s16
	s_cselect_b32 s10, s10, s3
	s_xor_b64 s[10:11], s[10:11], s[8:9]
	s_delay_alu instid0(SALU_CYCLE_1)
	s_sub_u32 s16, s10, s8
	s_load_b128 s[8:11], s[0:1], 0x44
	s_and_not1_b32 vcc_lo, exec_lo, s2
	s_cbranch_vccnz .LBB16_3
.LBB16_2:
	v_cvt_f32_u32_e32 v1, s20
	s_sub_i32 s3, 0, s20
	s_delay_alu instid0(VALU_DEP_1) | instskip(SKIP_2) | instid1(VALU_DEP_1)
	v_rcp_iflag_f32_e32 v1, v1
	s_waitcnt_depctr 0xfff
	v_mul_f32_e32 v1, 0x4f7ffffe, v1
	v_cvt_u32_f32_e32 v1, v1
	s_delay_alu instid0(VALU_DEP_1) | instskip(NEXT) | instid1(VALU_DEP_1)
	v_readfirstlane_b32 s2, v1
	s_mul_i32 s3, s3, s2
	s_delay_alu instid0(SALU_CYCLE_1) | instskip(NEXT) | instid1(SALU_CYCLE_1)
	s_mul_hi_u32 s3, s2, s3
	s_add_i32 s2, s2, s3
	s_delay_alu instid0(SALU_CYCLE_1) | instskip(NEXT) | instid1(SALU_CYCLE_1)
	s_mul_hi_u32 s2, s12, s2
	s_mul_i32 s3, s2, s20
	s_waitcnt lgkmcnt(0)
	s_add_i32 s11, s2, 1
	s_sub_i32 s3, s12, s3
	s_delay_alu instid0(SALU_CYCLE_1)
	s_sub_i32 s12, s3, s20
	s_cmp_ge_u32 s3, s20
	s_cselect_b32 s2, s11, s2
	s_cselect_b32 s3, s12, s3
	s_add_i32 s11, s2, 1
	s_cmp_ge_u32 s3, s20
	s_cselect_b32 s16, s11, s2
.LBB16_3:
	s_waitcnt lgkmcnt(0)
	s_add_i32 s11, s13, 1
	s_mov_b32 s2, 0
	s_mul_hi_i32 s3, s7, s11
	s_mul_i32 s11, s7, s11
	s_cmp_lg_u64 s[2:3], 0
	s_cbranch_scc0 .LBB16_22
; %bb.4:
	v_cvt_f32_ubyte0_e32 v1, 0
	v_cvt_f32_u32_e32 v2, s20
	s_sub_u32 s18, 0, s20
	s_subb_u32 s19, 0, 0
	s_delay_alu instid0(VALU_DEP_1) | instskip(NEXT) | instid1(VALU_DEP_1)
	v_fmamk_f32 v1, v1, 0x4f800000, v2
	v_rcp_f32_e32 v1, v1
	s_waitcnt_depctr 0xfff
	v_mul_f32_e32 v1, 0x5f7ffffc, v1
	s_delay_alu instid0(VALU_DEP_1) | instskip(NEXT) | instid1(VALU_DEP_1)
	v_mul_f32_e32 v2, 0x2f800000, v1
	v_trunc_f32_e32 v2, v2
	s_delay_alu instid0(VALU_DEP_1) | instskip(SKIP_1) | instid1(VALU_DEP_2)
	v_fmamk_f32 v1, v2, 0xcf800000, v1
	v_cvt_u32_f32_e32 v2, v2
	v_cvt_u32_f32_e32 v1, v1
	s_delay_alu instid0(VALU_DEP_2) | instskip(NEXT) | instid1(VALU_DEP_2)
	v_readfirstlane_b32 s12, v2
	v_readfirstlane_b32 s17, v1
	s_delay_alu instid0(VALU_DEP_2) | instskip(NEXT) | instid1(VALU_DEP_1)
	s_mul_i32 s21, s18, s12
	s_mul_hi_u32 s23, s18, s17
	s_mul_i32 s22, s19, s17
	s_add_i32 s21, s23, s21
	s_mul_i32 s24, s18, s17
	s_add_i32 s21, s21, s22
	s_mul_hi_u32 s23, s17, s24
	s_mul_hi_u32 s25, s12, s24
	s_mul_i32 s22, s12, s24
	s_mul_hi_u32 s24, s17, s21
	s_mul_i32 s17, s17, s21
	s_mul_hi_u32 s26, s12, s21
	s_add_u32 s17, s23, s17
	s_addc_u32 s23, 0, s24
	s_add_u32 s17, s17, s22
	s_mul_i32 s21, s12, s21
	s_addc_u32 s17, s23, s25
	s_addc_u32 s22, s26, 0
	s_add_u32 s17, s17, s21
	s_addc_u32 s21, 0, s22
	v_add_co_u32 v1, s17, v1, s17
	s_delay_alu instid0(VALU_DEP_1) | instskip(SKIP_1) | instid1(VALU_DEP_1)
	s_cmp_lg_u32 s17, 0
	s_addc_u32 s12, s12, s21
	v_readfirstlane_b32 s17, v1
	s_mul_i32 s21, s18, s12
	s_delay_alu instid0(VALU_DEP_1)
	s_mul_hi_u32 s22, s18, s17
	s_mul_i32 s19, s19, s17
	s_add_i32 s21, s22, s21
	s_mul_i32 s18, s18, s17
	s_add_i32 s21, s21, s19
	s_mul_hi_u32 s22, s12, s18
	s_mul_i32 s23, s12, s18
	s_mul_hi_u32 s18, s17, s18
	s_mul_hi_u32 s24, s17, s21
	s_mul_i32 s17, s17, s21
	s_mul_hi_u32 s19, s12, s21
	s_add_u32 s17, s18, s17
	s_addc_u32 s18, 0, s24
	s_add_u32 s17, s17, s23
	s_mul_i32 s21, s12, s21
	s_addc_u32 s17, s18, s22
	s_addc_u32 s18, s19, 0
	s_add_u32 s17, s17, s21
	s_addc_u32 s18, 0, s18
	v_add_co_u32 v1, s17, v1, s17
	s_delay_alu instid0(VALU_DEP_1) | instskip(SKIP_2) | instid1(SALU_CYCLE_1)
	s_cmp_lg_u32 s17, 0
	s_addc_u32 s12, s12, s18
	s_ashr_i32 s18, s3, 31
	s_add_u32 s22, s11, s18
	s_addc_u32 s23, s3, s18
	v_readfirstlane_b32 s3, v1
	s_mov_b32 s19, s18
	s_delay_alu instid0(SALU_CYCLE_1) | instskip(NEXT) | instid1(SALU_CYCLE_1)
	s_xor_b64 s[22:23], s[22:23], s[18:19]
	s_mul_i32 s21, s22, s12
	s_delay_alu instid0(VALU_DEP_1)
	s_mul_hi_u32 s24, s22, s3
	s_mul_hi_u32 s17, s22, s12
	s_mul_hi_u32 s26, s23, s3
	s_mul_i32 s3, s23, s3
	s_add_u32 s21, s24, s21
	s_addc_u32 s17, 0, s17
	s_mul_hi_u32 s25, s23, s12
	s_add_u32 s3, s21, s3
	s_mul_i32 s12, s23, s12
	s_addc_u32 s3, s17, s26
	s_addc_u32 s17, s25, 0
	s_add_u32 s3, s3, s12
	s_addc_u32 s12, 0, s17
	s_mul_i32 s21, s20, s3
	s_add_u32 s17, s3, 1
	v_sub_co_u32 v1, s21, s22, s21
	s_mul_hi_u32 s22, s20, s3
	s_addc_u32 s24, s12, 0
	s_mul_i32 s25, s20, s12
	s_delay_alu instid0(VALU_DEP_1)
	v_sub_co_u32 v2, s26, v1, s20
	s_add_u32 s27, s3, 2
	s_addc_u32 s28, s12, 0
	s_add_i32 s22, s22, s25
	s_cmp_lg_u32 s21, 0
	v_readfirstlane_b32 s21, v2
	s_subb_u32 s22, s23, s22
	s_cmp_lg_u32 s26, 0
	s_subb_u32 s23, s22, 0
	s_delay_alu instid0(VALU_DEP_1) | instskip(SKIP_4) | instid1(SALU_CYCLE_1)
	s_cmp_ge_u32 s21, s20
	s_cselect_b32 s21, -1, 0
	s_cmp_eq_u32 s23, 0
	v_readfirstlane_b32 s23, v1
	s_cselect_b32 s21, s21, -1
	s_cmp_lg_u32 s21, 0
	s_cselect_b32 s17, s27, s17
	s_cselect_b32 s21, s28, s24
	s_cmp_ge_u32 s23, s20
	s_cselect_b32 s23, -1, 0
	s_cmp_eq_u32 s22, 0
	s_cselect_b32 s22, s23, -1
	s_delay_alu instid0(SALU_CYCLE_1) | instskip(SKIP_2) | instid1(SALU_CYCLE_1)
	s_cmp_lg_u32 s22, 0
	s_cselect_b32 s23, s21, s12
	s_cselect_b32 s22, s17, s3
	s_xor_b64 s[22:23], s[22:23], s[18:19]
	s_delay_alu instid0(SALU_CYCLE_1)
	s_sub_u32 s18, s22, s18
	s_and_not1_b32 vcc_lo, exec_lo, s2
	s_cbranch_vccnz .LBB16_6
.LBB16_5:
	v_cvt_f32_u32_e32 v1, s20
	s_sub_i32 s3, 0, s20
	s_delay_alu instid0(VALU_DEP_1) | instskip(SKIP_2) | instid1(VALU_DEP_1)
	v_rcp_iflag_f32_e32 v1, v1
	s_waitcnt_depctr 0xfff
	v_mul_f32_e32 v1, 0x4f7ffffe, v1
	v_cvt_u32_f32_e32 v1, v1
	s_delay_alu instid0(VALU_DEP_1) | instskip(NEXT) | instid1(VALU_DEP_1)
	v_readfirstlane_b32 s2, v1
	s_mul_i32 s3, s3, s2
	s_delay_alu instid0(SALU_CYCLE_1) | instskip(NEXT) | instid1(SALU_CYCLE_1)
	s_mul_hi_u32 s3, s2, s3
	s_add_i32 s2, s2, s3
	s_delay_alu instid0(SALU_CYCLE_1) | instskip(NEXT) | instid1(SALU_CYCLE_1)
	s_mul_hi_u32 s2, s11, s2
	s_mul_i32 s3, s2, s20
	s_delay_alu instid0(SALU_CYCLE_1)
	s_sub_i32 s3, s11, s3
	s_add_i32 s11, s2, 1
	s_sub_i32 s12, s3, s20
	s_cmp_ge_u32 s3, s20
	s_cselect_b32 s2, s11, s2
	s_cselect_b32 s3, s12, s3
	s_add_i32 s11, s2, 1
	s_cmp_ge_u32 s3, s20
	s_cselect_b32 s18, s11, s2
.LBB16_6:
	s_delay_alu instid0(SALU_CYCLE_1) | instskip(SKIP_3) | instid1(SALU_CYCLE_1)
	s_cmp_eq_u32 s16, s18
	s_mul_hi_u32 s2, s16, s8
	s_cselect_b32 s3, -1, 0
	s_add_i32 s2, s2, s16
	s_lshr_b32 s11, s2, s9
	s_delay_alu instid0(SALU_CYCLE_1) | instskip(NEXT) | instid1(SALU_CYCLE_1)
	s_mul_i32 s2, s11, s10
	s_cmp_eq_u32 s2, s16
	s_mul_hi_u32 s2, s18, s8
	s_cselect_b32 s12, -1, 0
	s_add_i32 s2, s2, s18
	s_delay_alu instid0(SALU_CYCLE_1) | instskip(NEXT) | instid1(SALU_CYCLE_1)
	s_lshr_b32 s2, s2, s9
	s_cmp_eq_u32 s11, s2
	s_mul_i32 s2, s2, s10
	s_cselect_b32 s17, -1, 0
	s_cmp_lg_u32 s2, s18
	s_cselect_b32 s2, -1, 0
	s_or_b32 s3, s3, s12
	s_and_b32 s2, s17, s2
	s_delay_alu instid0(SALU_CYCLE_1) | instskip(NEXT) | instid1(SALU_CYCLE_1)
	s_or_b32 s2, s3, s2
	s_and_b32 vcc_lo, exec_lo, s2
	s_cbranch_vccnz .LBB16_24
; %bb.7:
	s_load_b256 s[24:31], s[0:1], 0x20
	s_waitcnt lgkmcnt(0)
	s_mul_hi_u32 s2, s16, s24
	s_delay_alu instid0(SALU_CYCLE_1) | instskip(NEXT) | instid1(SALU_CYCLE_1)
	s_add_i32 s2, s2, s16
	s_lshr_b32 s17, s2, s25
	s_load_b32 s2, s[0:1], 0x40
	s_mul_i32 s3, s17, s26
	s_delay_alu instid0(SALU_CYCLE_1) | instskip(NEXT) | instid1(SALU_CYCLE_1)
	s_sub_i32 s3, s16, s3
	s_mul_hi_u32 s12, s3, s27
	s_delay_alu instid0(SALU_CYCLE_1) | instskip(NEXT) | instid1(SALU_CYCLE_1)
	s_add_i32 s12, s3, s12
	s_lshr_b32 s18, s12, s28
	s_delay_alu instid0(SALU_CYCLE_1) | instskip(NEXT) | instid1(SALU_CYCLE_1)
	s_mul_i32 s12, s18, s29
	s_sub_i32 s3, s3, s12
	s_delay_alu instid0(SALU_CYCLE_1) | instskip(NEXT) | instid1(SALU_CYCLE_1)
	s_mul_hi_u32 s12, s3, s30
	s_add_i32 s12, s3, s12
	s_delay_alu instid0(SALU_CYCLE_1)
	s_lshr_b32 s12, s12, s31
	s_waitcnt lgkmcnt(0)
	s_mul_i32 s2, s12, s2
	s_lshl_b32 s21, s12, 3
	s_sub_i32 s2, s3, s2
	s_mov_b32 s12, 0
	s_mul_hi_u32 s3, s2, s8
	s_delay_alu instid0(SALU_CYCLE_1) | instskip(NEXT) | instid1(SALU_CYCLE_1)
	s_add_i32 s2, s2, s3
	s_lshr_b32 s19, s2, s9
	s_delay_alu instid0(SALU_CYCLE_1) | instskip(NEXT) | instid1(SALU_CYCLE_1)
	s_add_i32 s19, s19, s14
	s_cmp_lt_i32 s19, s4
	s_cselect_b32 s2, -1, 0
	s_add_i32 s21, s21, s15
	s_delay_alu instid0(SALU_CYCLE_1) | instskip(SKIP_1) | instid1(SALU_CYCLE_1)
	s_cmp_lt_i32 s21, s6
	s_cselect_b32 s3, -1, 0
	s_and_b32 s2, s2, s3
	s_delay_alu instid0(SALU_CYCLE_1)
	s_and_not1_b32 vcc_lo, exec_lo, s2
	s_cbranch_vccnz .LBB16_24
; %bb.8:
	s_load_b128 s[0:3], s[0:1], 0x0
	s_lshl_b32 s22, s20, 5
	s_mov_b32 s23, s12
	s_mul_i32 s4, s17, s4
	s_lshl_b64 s[22:23], s[22:23], 2
	s_mul_i32 s18, s18, s6
	v_cvt_f32_ubyte0_e32 v4, 0
	v_cvt_f32_u32_e32 v5, s20
	s_waitcnt lgkmcnt(0)
	s_add_u32 s6, s2, s22
	s_addc_u32 s17, s3, s23
	s_add_i32 s4, s19, s4
	s_add_i32 s18, s21, s18
	s_mul_i32 s4, s4, s5
	s_delay_alu instid0(SALU_CYCLE_1) | instskip(NEXT) | instid1(SALU_CYCLE_1)
	s_add_i32 s18, s18, s4
	v_lshl_or_b32 v1, s18, 7, v0
	v_lshl_or_b32 v0, s15, 7, v0
	s_delay_alu instid0(VALU_DEP_2) | instskip(NEXT) | instid1(VALU_DEP_1)
	v_ashrrev_i32_e32 v2, 31, v1
	v_lshlrev_b64 v[1:2], 2, v[1:2]
	s_delay_alu instid0(VALU_DEP_1) | instskip(NEXT) | instid1(VALU_DEP_2)
	v_add_co_u32 v1, vcc_lo, s0, v1
	v_add_co_ci_u32_e32 v2, vcc_lo, s1, v2, vcc_lo
	s_add_i32 s0, s14, s13
	s_delay_alu instid0(SALU_CYCLE_1) | instskip(SKIP_2) | instid1(SALU_CYCLE_1)
	s_lshl_b32 s0, s0, 3
	global_load_b32 v3, v[1:2], off
	s_add_i32 s0, s0, s15
	s_ashr_i32 s1, s0, 31
	s_delay_alu instid0(SALU_CYCLE_1) | instskip(NEXT) | instid1(SALU_CYCLE_1)
	s_lshl_b64 s[0:1], s[0:1], 3
	s_add_u32 s0, s2, s0
	s_addc_u32 s1, s3, s1
	s_add_i32 s19, s13, -1
	s_load_b64 s[0:1], s[0:1], 0x0
	v_fmac_f32_e32 v5, 0x4f800000, v4
	s_sub_i32 s18, 0, s20
	s_waitcnt lgkmcnt(0)
	v_mov_b32_e32 v8, s0
	s_delay_alu instid0(VALU_DEP_2) | instskip(SKIP_2) | instid1(VALU_DEP_2)
	v_rcp_f32_e32 v4, v5
	v_cvt_f32_u32_e32 v5, s20
	v_mov_b32_e32 v7, s1
	v_rcp_iflag_f32_e32 v5, v5
	s_waitcnt_depctr 0xfff
	v_mul_f32_e32 v4, 0x5f7ffffc, v4
	s_delay_alu instid0(VALU_DEP_1) | instskip(SKIP_1) | instid1(VALU_DEP_2)
	v_mul_f32_e32 v6, 0x2f800000, v4
	v_mul_f32_e32 v9, 0x4f7ffffe, v5
	v_trunc_f32_e32 v6, v6
	s_delay_alu instid0(VALU_DEP_1) | instskip(SKIP_1) | instid1(VALU_DEP_4)
	v_fmac_f32_e32 v4, 0xcf800000, v6
	v_cvt_u32_f32_e32 v5, v6
	v_cvt_u32_f32_e32 v6, v9
	s_delay_alu instid0(VALU_DEP_3)
	v_cvt_u32_f32_e32 v4, v4
.LBB16_9:                               ; =>This Inner Loop Header: Depth=1
	s_mul_hi_i32 s13, s19, s7
	s_mul_i32 s4, s19, s7
	s_cmp_lg_u64 s[12:13], 0
	s_mov_b32 s5, -1
                                        ; implicit-def: $sgpr0_sgpr1
	s_cbranch_scc0 .LBB16_11
; %bb.10:                               ;   in Loop: Header=BB16_9 Depth=1
	v_readfirstlane_b32 s0, v4
	v_readfirstlane_b32 s1, v5
	s_sub_u32 s5, 0, s20
	s_subb_u32 s21, 0, 0
	s_delay_alu instid0(VALU_DEP_2) | instskip(NEXT) | instid1(VALU_DEP_1)
	s_mul_hi_u32 s22, s5, s0
	s_mul_i32 s23, s5, s1
	s_mul_i32 s24, s21, s0
	s_add_i32 s22, s22, s23
	s_mul_i32 s23, s5, s0
	s_add_i32 s22, s22, s24
	s_mul_hi_u32 s24, s0, s23
	s_mul_i32 s25, s0, s22
	s_mul_hi_u32 s0, s0, s22
	s_add_u32 s24, s24, s25
	s_mul_i32 s26, s1, s23
	s_addc_u32 s0, 0, s0
	s_mul_hi_u32 s23, s1, s23
	s_mul_hi_u32 s25, s1, s22
	s_add_u32 s24, s24, s26
	s_addc_u32 s0, s0, s23
	s_mul_i32 s22, s1, s22
	s_addc_u32 s23, s25, 0
	s_add_u32 s0, s0, s22
	s_addc_u32 s22, 0, s23
	v_add_co_u32 v9, s0, v4, s0
	s_delay_alu instid0(VALU_DEP_1) | instskip(SKIP_1) | instid1(VALU_DEP_1)
	s_cmp_lg_u32 s0, 0
	s_addc_u32 s1, s1, s22
	v_readfirstlane_b32 s0, v9
	s_mul_i32 s22, s5, s1
	s_delay_alu instid0(VALU_DEP_1)
	s_mul_hi_u32 s23, s5, s0
	s_mul_i32 s21, s21, s0
	s_add_i32 s22, s23, s22
	s_mul_i32 s5, s5, s0
	s_add_i32 s22, s22, s21
	s_mul_hi_u32 s21, s1, s5
	s_mul_i32 s24, s1, s5
	s_mul_i32 s25, s0, s22
	s_mul_hi_u32 s5, s0, s5
	s_mul_hi_u32 s0, s0, s22
	s_add_u32 s5, s5, s25
	s_addc_u32 s0, 0, s0
	s_mul_hi_u32 s23, s1, s22
	s_add_u32 s5, s5, s24
	s_addc_u32 s0, s0, s21
	s_mul_i32 s5, s1, s22
	s_addc_u32 s21, s23, 0
	s_add_u32 s0, s0, s5
	s_addc_u32 s5, 0, s21
	v_add_co_u32 v9, s0, v9, s0
	s_delay_alu instid0(VALU_DEP_1) | instskip(SKIP_2) | instid1(SALU_CYCLE_1)
	s_cmp_lg_u32 s0, 0
	s_addc_u32 s5, s1, s5
	s_ashr_i32 s0, s13, 31
	s_add_u32 s22, s4, s0
	s_addc_u32 s23, s13, s0
	v_readfirstlane_b32 s13, v9
	s_mov_b32 s1, s0
	s_delay_alu instid0(SALU_CYCLE_1) | instskip(NEXT) | instid1(SALU_CYCLE_1)
	s_xor_b64 s[22:23], s[22:23], s[0:1]
	s_mul_i32 s21, s22, s5
	s_delay_alu instid0(VALU_DEP_1)
	s_mul_hi_u32 s24, s22, s13
	s_mul_hi_u32 s25, s22, s5
	s_add_u32 s21, s24, s21
	s_mul_i32 s26, s23, s13
	s_addc_u32 s24, 0, s25
	s_mul_hi_u32 s13, s23, s13
	s_mul_hi_u32 s25, s23, s5
	s_add_u32 s21, s21, s26
	s_addc_u32 s13, s24, s13
	s_mul_i32 s5, s23, s5
	s_addc_u32 s21, s25, 0
	s_add_u32 s5, s13, s5
	s_addc_u32 s13, 0, s21
	s_mul_i32 s24, s20, s5
	s_add_u32 s21, s5, 1
	v_sub_co_u32 v9, s22, s22, s24
	s_addc_u32 s24, s13, 0
	s_mul_i32 s26, s20, s13
	s_mul_hi_u32 s28, s20, s5
	s_delay_alu instid0(VALU_DEP_1)
	v_sub_co_u32 v10, s27, v9, s20
	s_add_u32 s25, s5, 2
	s_addc_u32 s29, s13, 0
	s_add_i32 s28, s28, s26
	s_cmp_lg_u32 s22, 0
	v_readfirstlane_b32 s22, v10
	s_subb_u32 s23, s23, s28
	s_cmp_lg_u32 s27, 0
	s_subb_u32 s26, s23, 0
	s_delay_alu instid0(VALU_DEP_1) | instskip(SKIP_4) | instid1(SALU_CYCLE_1)
	s_cmp_ge_u32 s22, s20
	s_cselect_b32 s22, -1, 0
	s_cmp_eq_u32 s26, 0
	v_readfirstlane_b32 s26, v9
	s_cselect_b32 s22, s22, -1
	s_cmp_lg_u32 s22, 0
	s_cselect_b32 s21, s25, s21
	s_cselect_b32 s22, s29, s24
	s_cmp_ge_u32 s26, s20
	s_cselect_b32 s24, -1, 0
	s_cmp_eq_u32 s23, 0
	s_cselect_b32 s23, s24, -1
	s_delay_alu instid0(SALU_CYCLE_1) | instskip(SKIP_4) | instid1(SALU_CYCLE_1)
	s_cmp_lg_u32 s23, 0
	s_cselect_b32 s23, s22, s13
	s_cselect_b32 s22, s21, s5
	s_mov_b32 s5, 0
	s_xor_b64 s[22:23], s[22:23], s[0:1]
	s_sub_u32 s0, s22, s0
.LBB16_11:                              ;   in Loop: Header=BB16_9 Depth=1
	s_and_not1_b32 vcc_lo, exec_lo, s5
	s_cbranch_vccnz .LBB16_13
; %bb.12:                               ;   in Loop: Header=BB16_9 Depth=1
	v_readfirstlane_b32 s0, v6
	s_delay_alu instid0(VALU_DEP_1) | instskip(NEXT) | instid1(SALU_CYCLE_1)
	s_mul_i32 s1, s18, s0
	s_mul_hi_u32 s1, s0, s1
	s_delay_alu instid0(SALU_CYCLE_1) | instskip(NEXT) | instid1(SALU_CYCLE_1)
	s_add_i32 s0, s0, s1
	s_mul_hi_u32 s0, s4, s0
	s_delay_alu instid0(SALU_CYCLE_1) | instskip(NEXT) | instid1(SALU_CYCLE_1)
	s_mul_i32 s1, s0, s20
	s_sub_i32 s1, s4, s1
	s_add_i32 s4, s0, 1
	s_sub_i32 s5, s1, s20
	s_cmp_ge_u32 s1, s20
	s_cselect_b32 s0, s4, s0
	s_cselect_b32 s1, s5, s1
	s_add_i32 s4, s0, 1
	s_cmp_ge_u32 s1, s20
	s_cselect_b32 s0, s4, s0
.LBB16_13:                              ;   in Loop: Header=BB16_9 Depth=1
	s_delay_alu instid0(SALU_CYCLE_1)
	s_cmp_lg_u32 s16, s0
	s_cbranch_scc0 .LBB16_17
; %bb.14:                               ;   in Loop: Header=BB16_9 Depth=1
	s_add_i32 s22, s19, s14
	s_mov_b32 s5, s12
	s_add_i32 s1, s22, s20
	s_mov_b32 s21, s16
	s_lshl_b32 s1, s1, 3
	s_delay_alu instid0(SALU_CYCLE_1) | instskip(SKIP_2) | instid1(SALU_CYCLE_1)
	s_add_i32 s4, s1, s15
	s_mul_hi_u32 s1, s0, s8
	s_lshl_b64 s[4:5], s[4:5], 3
	s_add_u32 s4, s2, s4
	s_addc_u32 s5, s3, s5
	s_add_i32 s1, s1, s0
	s_delay_alu instid0(SALU_CYCLE_1) | instskip(NEXT) | instid1(SALU_CYCLE_1)
	s_lshr_b32 s1, s1, s9
	s_mul_i32 s13, s1, s10
	s_delay_alu instid0(SALU_CYCLE_1) | instskip(SKIP_3) | instid1(SALU_CYCLE_1)
	s_cmp_eq_u32 s13, s0
	s_cselect_b32 s13, -1, 0
	s_cmp_lt_u32 s1, s11
	s_cselect_b32 s1, -1, 0
	s_or_b32 s1, s1, s13
	s_mov_b32 s13, -1
	s_and_b32 vcc_lo, exec_lo, s1
	s_mov_b32 s1, s19
	s_cbranch_vccnz .LBB16_16
; %bb.15:                               ;   in Loop: Header=BB16_9 Depth=1
	s_add_i32 s1, s19, -1
	s_mov_b32 s13, 0
	s_mov_b32 s21, s0
.LBB16_16:                              ;   in Loop: Header=BB16_9 Depth=1
	v_lshl_add_u32 v9, s22, 10, v0
	s_load_b64 s[4:5], s[4:5], 0x0
	s_delay_alu instid0(VALU_DEP_1) | instskip(NEXT) | instid1(VALU_DEP_1)
	v_ashrrev_i32_e32 v10, 31, v9
	v_lshlrev_b64 v[9:10], 2, v[9:10]
	s_delay_alu instid0(VALU_DEP_1) | instskip(NEXT) | instid1(VALU_DEP_2)
	v_add_co_u32 v9, vcc_lo, s6, v9
	v_add_co_ci_u32_e32 v10, vcc_lo, s17, v10, vcc_lo
	s_waitcnt lgkmcnt(0)
	v_max_f32_e64 v11, s4, s4
	global_load_b32 v10, v[9:10], off
	v_max_f32_e32 v9, v8, v8
	s_delay_alu instid0(VALU_DEP_1) | instskip(NEXT) | instid1(VALU_DEP_1)
	v_max_f32_e32 v9, v9, v11
	v_sub_f32_e32 v12, v8, v9
	s_delay_alu instid0(VALU_DEP_1) | instskip(NEXT) | instid1(VALU_DEP_1)
	v_dual_mul_f32 v14, 0x3fb8aa3b, v12 :: v_dual_sub_f32 v11, s4, v9
	v_rndne_f32_e32 v18, v14
	s_delay_alu instid0(VALU_DEP_2) | instskip(SKIP_2) | instid1(VALU_DEP_4)
	v_mul_f32_e32 v13, 0x3fb8aa3b, v11
	v_fma_f32 v17, 0x3fb8aa3b, v12, -v14
	v_cmp_ngt_f32_e32 vcc_lo, 0xc2ce8ed0, v11
	v_sub_f32_e32 v14, v14, v18
	s_delay_alu instid0(VALU_DEP_4) | instskip(SKIP_2) | instid1(VALU_DEP_3)
	v_fma_f32 v15, 0x3fb8aa3b, v11, -v13
	v_rndne_f32_e32 v16, v13
	v_fmac_f32_e32 v17, 0x32a5705f, v12
	v_fmac_f32_e32 v15, 0x32a5705f, v11
	s_delay_alu instid0(VALU_DEP_2) | instskip(NEXT) | instid1(VALU_DEP_1)
	v_dual_sub_f32 v13, v13, v16 :: v_dual_add_f32 v14, v14, v17
	v_add_f32_e32 v13, v13, v15
	s_delay_alu instid0(VALU_DEP_2) | instskip(SKIP_2) | instid1(VALU_DEP_3)
	v_exp_f32_e32 v14, v14
	v_cvt_i32_f32_e32 v15, v16
	v_cvt_i32_f32_e32 v16, v18
	v_exp_f32_e32 v13, v13
	s_waitcnt_depctr 0xfff
	v_ldexp_f32 v14, v14, v16
	v_ldexp_f32 v13, v13, v15
	s_delay_alu instid0(VALU_DEP_1) | instskip(SKIP_1) | instid1(VALU_DEP_4)
	v_cndmask_b32_e32 v13, 0, v13, vcc_lo
	v_cmp_ngt_f32_e32 vcc_lo, 0xc2ce8ed0, v12
	v_cndmask_b32_e32 v14, 0, v14, vcc_lo
	v_cmp_nlt_f32_e32 vcc_lo, 0x42b17218, v11
	s_delay_alu instid0(VALU_DEP_4) | instskip(SKIP_1) | instid1(VALU_DEP_4)
	v_cndmask_b32_e32 v13, 0x7f800000, v13, vcc_lo
	v_cmp_nlt_f32_e32 vcc_lo, 0x42b17218, v12
	v_cndmask_b32_e32 v14, 0x7f800000, v14, vcc_lo
	v_cmp_le_f32_e32 vcc_lo, 0xc1a00000, v11
	s_delay_alu instid0(VALU_DEP_4) | instskip(SKIP_1) | instid1(VALU_DEP_4)
	v_cndmask_b32_e32 v11, 0, v13, vcc_lo
	v_cmp_le_f32_e32 vcc_lo, 0xc1a00000, v12
	v_cndmask_b32_e32 v12, 0, v14, vcc_lo
	s_waitcnt vmcnt(0)
	s_delay_alu instid0(VALU_DEP_3) | instskip(NEXT) | instid1(VALU_DEP_1)
	v_mul_f32_e32 v10, v10, v11
	v_dual_mul_f32 v11, s5, v11 :: v_dual_fmac_f32 v10, v3, v12
	s_delay_alu instid0(VALU_DEP_1)
	v_fmac_f32_e32 v11, v7, v12
	s_cbranch_execz .LBB16_18
	s_branch .LBB16_19
.LBB16_17:                              ;   in Loop: Header=BB16_9 Depth=1
                                        ; implicit-def: $sgpr13
                                        ; implicit-def: $vgpr10
                                        ; implicit-def: $vgpr9
                                        ; implicit-def: $vgpr11
                                        ; implicit-def: $sgpr1
                                        ; implicit-def: $sgpr21
.LBB16_18:                              ;   in Loop: Header=BB16_9 Depth=1
	v_mov_b32_e32 v11, v7
	s_waitcnt vmcnt(0)
	v_dual_mov_b32 v9, v8 :: v_dual_mov_b32 v10, v3
	s_add_i32 s1, s19, -1
	s_mov_b32 s13, 0
	s_mov_b32 s21, s16
.LBB16_19:                              ;   in Loop: Header=BB16_9 Depth=1
	s_and_not1_b32 vcc_lo, exec_lo, s13
	s_cbranch_vccz .LBB16_23
; %bb.20:                               ;   in Loop: Header=BB16_9 Depth=1
	v_dual_mov_b32 v7, v11 :: v_dual_mov_b32 v8, v9
	s_waitcnt vmcnt(0)
	v_mov_b32_e32 v3, v10
	s_mov_b32 s16, s21
	s_mov_b32 s19, s1
	s_branch .LBB16_9
.LBB16_21:
                                        ; implicit-def: $sgpr16_sgpr17
	s_load_b128 s[8:11], s[0:1], 0x44
	s_branch .LBB16_2
.LBB16_22:
                                        ; implicit-def: $sgpr18_sgpr19
	s_branch .LBB16_5
.LBB16_23:
	v_div_scale_f32 v0, null, v11, v11, v10
	s_waitcnt vmcnt(0)
	s_delay_alu instid0(VALU_DEP_1) | instskip(SKIP_2) | instid1(VALU_DEP_1)
	v_rcp_f32_e32 v3, v0
	s_waitcnt_depctr 0xfff
	v_fma_f32 v4, -v0, v3, 1.0
	v_fmac_f32_e32 v3, v4, v3
	v_div_scale_f32 v4, vcc_lo, v10, v11, v10
	s_delay_alu instid0(VALU_DEP_1) | instskip(NEXT) | instid1(VALU_DEP_1)
	v_mul_f32_e32 v5, v4, v3
	v_fma_f32 v6, -v0, v5, v4
	s_delay_alu instid0(VALU_DEP_1) | instskip(NEXT) | instid1(VALU_DEP_1)
	v_fmac_f32_e32 v5, v6, v3
	v_fma_f32 v0, -v0, v5, v4
	s_delay_alu instid0(VALU_DEP_1) | instskip(NEXT) | instid1(VALU_DEP_1)
	v_div_fmas_f32 v0, v0, v3, v5
	v_div_fixup_f32 v0, v0, v11, v10
	global_store_b32 v[1:2], v0, off
.LBB16_24:
	s_nop 0
	s_sendmsg sendmsg(MSG_DEALLOC_VGPRS)
	s_endpgm
	.section	.rodata,"a",@progbits
	.p2align	6, 0x0
	.amdhsa_kernel _ZL33flash_attn_stream_k_fixup_generalILi128ELi1ELi8EEvPfPK15HIP_vector_typeIfLj2EEiiiiS1_IjLj3EES5_S5_S5_
		.amdhsa_group_segment_fixed_size 0
		.amdhsa_private_segment_fixed_size 0
		.amdhsa_kernarg_size 336
		.amdhsa_user_sgpr_count 13
		.amdhsa_user_sgpr_dispatch_ptr 0
		.amdhsa_user_sgpr_queue_ptr 0
		.amdhsa_user_sgpr_kernarg_segment_ptr 1
		.amdhsa_user_sgpr_dispatch_id 0
		.amdhsa_user_sgpr_private_segment_size 0
		.amdhsa_wavefront_size32 1
		.amdhsa_uses_dynamic_stack 0
		.amdhsa_enable_private_segment 0
		.amdhsa_system_sgpr_workgroup_id_x 1
		.amdhsa_system_sgpr_workgroup_id_y 1
		.amdhsa_system_sgpr_workgroup_id_z 1
		.amdhsa_system_sgpr_workgroup_info 0
		.amdhsa_system_vgpr_workitem_id 0
		.amdhsa_next_free_vgpr 19
		.amdhsa_next_free_sgpr 32
		.amdhsa_reserve_vcc 1
		.amdhsa_float_round_mode_32 0
		.amdhsa_float_round_mode_16_64 0
		.amdhsa_float_denorm_mode_32 3
		.amdhsa_float_denorm_mode_16_64 3
		.amdhsa_dx10_clamp 1
		.amdhsa_ieee_mode 1
		.amdhsa_fp16_overflow 0
		.amdhsa_workgroup_processor_mode 1
		.amdhsa_memory_ordered 1
		.amdhsa_forward_progress 0
		.amdhsa_shared_vgpr_count 0
		.amdhsa_exception_fp_ieee_invalid_op 0
		.amdhsa_exception_fp_denorm_src 0
		.amdhsa_exception_fp_ieee_div_zero 0
		.amdhsa_exception_fp_ieee_overflow 0
		.amdhsa_exception_fp_ieee_underflow 0
		.amdhsa_exception_fp_ieee_inexact 0
		.amdhsa_exception_int_div_zero 0
	.end_amdhsa_kernel
	.section	.text._ZL33flash_attn_stream_k_fixup_generalILi128ELi1ELi8EEvPfPK15HIP_vector_typeIfLj2EEiiiiS1_IjLj3EES5_S5_S5_,"axG",@progbits,_ZL33flash_attn_stream_k_fixup_generalILi128ELi1ELi8EEvPfPK15HIP_vector_typeIfLj2EEiiiiS1_IjLj3EES5_S5_S5_,comdat
.Lfunc_end16:
	.size	_ZL33flash_attn_stream_k_fixup_generalILi128ELi1ELi8EEvPfPK15HIP_vector_typeIfLj2EEiiiiS1_IjLj3EES5_S5_S5_, .Lfunc_end16-_ZL33flash_attn_stream_k_fixup_generalILi128ELi1ELi8EEvPfPK15HIP_vector_typeIfLj2EEiiiiS1_IjLj3EES5_S5_S5_
                                        ; -- End function
	.section	.AMDGPU.csdata,"",@progbits
; Kernel info:
; codeLenInByte = 3200
; NumSgprs: 34
; NumVgprs: 19
; ScratchSize: 0
; MemoryBound: 0
; FloatMode: 240
; IeeeMode: 1
; LDSByteSize: 0 bytes/workgroup (compile time only)
; SGPRBlocks: 4
; VGPRBlocks: 2
; NumSGPRsForWavesPerEU: 34
; NumVGPRsForWavesPerEU: 19
; Occupancy: 16
; WaveLimiterHint : 0
; COMPUTE_PGM_RSRC2:SCRATCH_EN: 0
; COMPUTE_PGM_RSRC2:USER_SGPR: 13
; COMPUTE_PGM_RSRC2:TRAP_HANDLER: 0
; COMPUTE_PGM_RSRC2:TGID_X_EN: 1
; COMPUTE_PGM_RSRC2:TGID_Y_EN: 1
; COMPUTE_PGM_RSRC2:TGID_Z_EN: 1
; COMPUTE_PGM_RSRC2:TIDIG_COMP_CNT: 0
	.section	.text._ZL15flash_attn_tileILi128ELi128ELi16ELi4ELb0EEvPKcS1_S1_S1_S1_PKiPfP15HIP_vector_typeIfLj2EEffffjfiS5_IjLj3EEiiiiiiiiiiiliiliiiiil,"axG",@progbits,_ZL15flash_attn_tileILi128ELi128ELi16ELi4ELb0EEvPKcS1_S1_S1_S1_PKiPfP15HIP_vector_typeIfLj2EEffffjfiS5_IjLj3EEiiiiiiiiiiiliiliiiiil,comdat
	.globl	_ZL15flash_attn_tileILi128ELi128ELi16ELi4ELb0EEvPKcS1_S1_S1_S1_PKiPfP15HIP_vector_typeIfLj2EEffffjfiS5_IjLj3EEiiiiiiiiiiiliiliiiiil ; -- Begin function _ZL15flash_attn_tileILi128ELi128ELi16ELi4ELb0EEvPKcS1_S1_S1_S1_PKiPfP15HIP_vector_typeIfLj2EEffffjfiS5_IjLj3EEiiiiiiiiiiiliiliiiiil
	.p2align	8
	.type	_ZL15flash_attn_tileILi128ELi128ELi16ELi4ELb0EEvPKcS1_S1_S1_S1_PKiPfP15HIP_vector_typeIfLj2EEffffjfiS5_IjLj3EEiiiiiiiiiiiliiliiiiil,@function
_ZL15flash_attn_tileILi128ELi128ELi16ELi4ELb0EEvPKcS1_S1_S1_S1_PKiPfP15HIP_vector_typeIfLj2EEffffjfiS5_IjLj3EEiiiiiiiiiiiliiliiiiil: ; @_ZL15flash_attn_tileILi128ELi128ELi16ELi4ELb0EEvPKcS1_S1_S1_S1_PKiPfP15HIP_vector_typeIfLj2EEffffjfiS5_IjLj3EEiiiiiiiiiiiliiliiiiil
; %bb.0:
	s_clause 0x1
	s_load_b128 s[60:63], s[0:1], 0x5c
	s_load_b64 s[66:67], s[0:1], 0x80
	s_mov_b64 s[68:69], 0
	s_waitcnt lgkmcnt(0)
	s_ashr_i32 s2, s63, 31
	s_delay_alu instid0(SALU_CYCLE_1) | instskip(NEXT) | instid1(SALU_CYCLE_1)
	s_lshr_b32 s2, s2, 30
	s_add_i32 s2, s63, s2
	s_delay_alu instid0(SALU_CYCLE_1) | instskip(NEXT) | instid1(SALU_CYCLE_1)
	s_ashr_i32 s2, s2, 2
	v_cvt_f32_u32_e32 v1, s2
	s_sub_i32 s4, 0, s2
	s_delay_alu instid0(VALU_DEP_1) | instskip(SKIP_2) | instid1(VALU_DEP_1)
	v_rcp_iflag_f32_e32 v1, v1
	s_waitcnt_depctr 0xfff
	v_mul_f32_e32 v1, 0x4f7ffffe, v1
	v_cvt_u32_f32_e32 v1, v1
	s_delay_alu instid0(VALU_DEP_1) | instskip(NEXT) | instid1(VALU_DEP_1)
	v_readfirstlane_b32 s3, v1
	s_mul_i32 s4, s4, s3
	s_delay_alu instid0(SALU_CYCLE_1) | instskip(NEXT) | instid1(SALU_CYCLE_1)
	s_mul_hi_u32 s4, s3, s4
	s_add_i32 s3, s3, s4
	s_delay_alu instid0(SALU_CYCLE_1) | instskip(NEXT) | instid1(SALU_CYCLE_1)
	s_mul_hi_u32 s3, s15, s3
	s_mul_i32 s4, s3, s2
	s_add_i32 s5, s3, 1
	s_sub_i32 s4, s15, s4
	s_delay_alu instid0(SALU_CYCLE_1)
	s_sub_i32 s6, s4, s2
	s_cmp_ge_u32 s4, s2
	s_cselect_b32 s3, s5, s3
	s_cselect_b32 s4, s6, s4
	s_add_i32 s5, s3, 1
	s_cmp_ge_u32 s4, s2
	s_cselect_b32 s70, s5, s3
	s_abs_i32 s2, s67
	s_abs_i32 s7, s63
	v_cvt_f32_u32_e32 v1, s2
	s_sub_i32 s4, 0, s2
	s_lshl_b32 s5, s15, 2
	s_mul_i32 s6, s70, s63
	s_delay_alu instid0(VALU_DEP_1) | instskip(SKIP_3) | instid1(VALU_DEP_1)
	v_rcp_iflag_f32_e32 v1, v1
	s_sub_i32 s64, s5, s6
	s_waitcnt_depctr 0xfff
	v_mul_f32_e32 v1, 0x4f7ffffe, v1
	v_cvt_u32_f32_e32 v1, v1
	s_delay_alu instid0(VALU_DEP_1) | instskip(NEXT) | instid1(VALU_DEP_1)
	v_readfirstlane_b32 s3, v1
	s_mul_i32 s4, s4, s3
	s_delay_alu instid0(SALU_CYCLE_1) | instskip(NEXT) | instid1(SALU_CYCLE_1)
	s_mul_hi_u32 s4, s3, s4
	s_add_i32 s3, s3, s4
	s_xor_b32 s4, s63, s67
	s_mul_hi_u32 s3, s7, s3
	s_ashr_i32 s4, s4, 31
	s_mul_i32 s5, s3, s2
	s_add_i32 s6, s3, 1
	s_sub_i32 s5, s7, s5
	s_delay_alu instid0(SALU_CYCLE_1)
	s_sub_i32 s7, s5, s2
	s_cmp_ge_u32 s5, s2
	s_cselect_b32 s3, s6, s3
	s_cselect_b32 s5, s7, s5
	s_add_i32 s6, s3, 1
	s_cmp_ge_u32 s5, s2
	s_cselect_b32 s2, s6, s3
	s_delay_alu instid0(SALU_CYCLE_1) | instskip(NEXT) | instid1(SALU_CYCLE_1)
	s_xor_b32 s2, s2, s4
	s_sub_i32 s9, s2, s4
	s_clause 0x1
	s_load_b512 s[44:59], s[0:1], 0x0
	s_load_b64 s[2:3], s[0:1], 0xb8
	s_abs_i32 s8, s9
	s_delay_alu instid0(SALU_CYCLE_1) | instskip(NEXT) | instid1(VALU_DEP_1)
	v_cvt_f32_u32_e32 v1, s8
	v_rcp_iflag_f32_e32 v1, v1
	s_waitcnt_depctr 0xfff
	v_mul_f32_e32 v1, 0x4f7ffffe, v1
	s_waitcnt lgkmcnt(0)
	s_cmp_eq_u64 s[50:51], 0
	s_delay_alu instid0(VALU_DEP_1) | instskip(NEXT) | instid1(VALU_DEP_1)
	v_cvt_u32_f32_e32 v1, v1
	v_readfirstlane_b32 s10, v1
	s_cbranch_scc1 .LBB17_2
; %bb.1:
	s_abs_i32 s2, s2
	s_abs_i32 s6, s70
	v_cvt_f32_u32_e32 v1, s2
	s_sub_i32 s5, 0, s2
	s_delay_alu instid0(VALU_DEP_1) | instskip(SKIP_2) | instid1(VALU_DEP_1)
	v_rcp_iflag_f32_e32 v1, v1
	s_waitcnt_depctr 0xfff
	v_mul_f32_e32 v1, 0x4f7ffffe, v1
	v_cvt_u32_f32_e32 v1, v1
	s_delay_alu instid0(VALU_DEP_1) | instskip(NEXT) | instid1(VALU_DEP_1)
	v_readfirstlane_b32 s4, v1
	s_mul_i32 s5, s5, s4
	s_delay_alu instid0(SALU_CYCLE_1) | instskip(NEXT) | instid1(SALU_CYCLE_1)
	s_mul_hi_u32 s5, s4, s5
	s_add_i32 s7, s4, s5
	s_load_b64 s[4:5], s[0:1], 0xc8
	s_mul_hi_u32 s7, s6, s7
	s_delay_alu instid0(SALU_CYCLE_1) | instskip(NEXT) | instid1(SALU_CYCLE_1)
	s_mul_i32 s7, s7, s2
	s_sub_i32 s6, s6, s7
	s_ashr_i32 s7, s70, 31
	s_sub_i32 s11, s6, s2
	s_cmp_ge_u32 s6, s2
	s_cselect_b32 s6, s11, s6
	s_delay_alu instid0(SALU_CYCLE_1) | instskip(SKIP_2) | instid1(SALU_CYCLE_1)
	s_sub_i32 s11, s6, s2
	s_cmp_ge_u32 s6, s2
	s_cselect_b32 s2, s11, s6
	s_xor_b32 s2, s2, s7
	s_delay_alu instid0(SALU_CYCLE_1)
	s_sub_i32 s2, s2, s7
	s_waitcnt lgkmcnt(0)
	s_mul_i32 s5, s2, s5
	s_mul_hi_u32 s6, s2, s4
	s_ashr_i32 s7, s2, 31
	s_add_i32 s5, s6, s5
	s_mul_i32 s7, s7, s4
	s_mul_i32 s2, s2, s4
	s_add_i32 s5, s5, s7
	s_add_u32 s68, s50, s2
	s_addc_u32 s69, s51, s5
.LBB17_2:
	v_bfe_u32 v8, v0, 10, 10
	s_lshl_b32 s51, s13, 4
	s_load_b128 s[4:7], s[0:1], 0x70
	v_and_b32_e32 v189, 0x3ff, v0
	s_delay_alu instid0(VALU_DEP_2) | instskip(SKIP_1) | instid1(VALU_DEP_3)
	v_lshlrev_b32_e32 v190, 1, v8
	v_lshlrev_b32_e32 v0, 3, v8
	;; [unrolled: 1-line block ×3, first 2 shown]
	s_delay_alu instid0(VALU_DEP_3) | instskip(NEXT) | instid1(VALU_DEP_3)
	v_add_nc_u32_e32 v191, s51, v190
	v_or_b32_e32 v35, 4, v0
	v_or_b32_e32 v36, 5, v0
	;; [unrolled: 1-line block ×4, first 2 shown]
	v_mul_hi_u32 v1, v191, s60
	v_lshrrev_b32_e32 v187, 2, v35
	v_lshrrev_b32_e32 v184, 2, v36
	;; [unrolled: 1-line block ×4, first 2 shown]
	v_lshlrev_b32_e32 v35, 6, v35
	v_add_nc_u32_e32 v188, s51, v187
	s_waitcnt lgkmcnt(0)
	s_mul_i32 s2, s70, s6
	v_add_nc_u32_e32 v1, v191, v1
	s_mul_i32 s6, s64, s5
	s_ashr_i32 s7, s2, 31
	s_add_u32 s2, s44, s2
	s_addc_u32 s7, s45, s7
	v_lshrrev_b32_e32 v0, s61, v1
	s_ashr_i32 s11, s6, 31
	s_add_u32 s2, s2, s6
	s_addc_u32 s11, s7, s11
	s_ashr_i32 s12, s4, 31
	v_mul_lo_u32 v0, v0, s62
	v_alignbit_b32 v21, s12, s4, 2
	v_mul_hi_u32 v2, v188, s60
	s_mov_b32 s6, s5
	s_ashr_i32 s7, s5, 31
	s_and_b32 s4, s5, -4
	s_lshr_b64 s[16:17], s[6:7], 2
	s_lshr_b32 s6, s12, 2
	v_sub_nc_u32_e32 v10, v191, v0
	v_alignbit_b32 v4, s7, s5, 2
	v_add_nc_u32_e32 v5, v188, v2
	v_add_nc_u32_e32 v185, s51, v184
	s_add_u32 s12, s2, s4
	v_mad_u64_u32 v[0:1], null, v21, v10, 0
	v_mul_hi_u32 v6, v4, 12
	s_addc_u32 s15, s11, s7
	s_lshl_b64 s[4:5], s[16:17], 3
	v_add_nc_u32_e32 v183, s51, v182
	s_add_u32 s4, s2, s4
	s_addc_u32 s5, s11, s5
	s_delay_alu instid0(VALU_DEP_3)
	v_mad_u64_u32 v[2:3], null, s6, v10, v[1:2]
	v_lshrrev_b32_e32 v3, s61, v5
	v_mul_hi_u32 v5, v185, s60
	s_lshr_b32 s7, s7, 2
	v_mul_lo_u32 v17, v4, 12
	s_mul_i32 s7, s7, 12
	v_add_nc_u32_e32 v181, s51, v180
	v_mov_b32_e32 v1, v2
	v_mul_lo_u32 v2, v3, s62
	v_add_nc_u32_e32 v19, s7, v6
	v_add_nc_u32_e32 v18, v185, v5
	v_mul_hi_u32 v22, v183, s60
	v_lshlrev_b64 v[11:12], 2, v[0:1]
	v_mul_hi_u32 v23, v181, s60
	v_lshlrev_b32_e32 v36, 6, v36
	v_lshrrev_b32_e32 v18, s61, v18
	v_sub_nc_u32_e32 v20, v188, v2
	v_lshlrev_b32_e32 v37, 6, v37
	v_add_co_u32 v0, vcc_lo, s2, v11
	v_add_co_ci_u32_e32 v1, vcc_lo, s11, v12, vcc_lo
	v_add_co_u32 v2, vcc_lo, s12, v11
	v_add_co_ci_u32_e32 v3, vcc_lo, s15, v12, vcc_lo
	;; [unrolled: 2-line block ×4, first 2 shown]
	v_add_co_u32 v4, vcc_lo, v2, v9
	v_mad_u64_u32 v[15:16], null, v21, v20, 0
	v_add_co_ci_u32_e32 v5, vcc_lo, 0, v3, vcc_lo
	v_add_co_u32 v13, vcc_lo, v6, v9
	v_add_co_ci_u32_e32 v14, vcc_lo, 0, v7, vcc_lo
	v_add_co_u32 v32, vcc_lo, s2, v17
	v_add_co_ci_u32_e32 v33, vcc_lo, s11, v19, vcc_lo
	v_add_nc_u32_e32 v19, v183, v22
	v_mul_lo_u32 v22, v18, s62
	v_mad_u64_u32 v[17:18], null, s6, v20, v[16:17]
	v_add_nc_u32_e32 v23, v181, v23
	s_delay_alu instid0(VALU_DEP_4)
	v_lshrrev_b32_e32 v18, s61, v19
	v_add_co_u32 v11, vcc_lo, v32, v11
	v_add_co_ci_u32_e32 v12, vcc_lo, v33, v12, vcc_lo
	v_mov_b32_e32 v16, v17
	v_lshrrev_b32_e32 v23, s61, v23
	v_sub_nc_u32_e32 v22, v185, v22
	v_mul_lo_u32 v24, v18, s62
	v_add_co_u32 v17, vcc_lo, v11, v9
	v_add_co_ci_u32_e32 v18, vcc_lo, 0, v12, vcc_lo
	v_lshlrev_b64 v[11:12], 2, v[15:16]
	v_mul_lo_u32 v16, v23, s62
	v_mad_u64_u32 v[19:20], null, v21, v22, 0
	v_sub_nc_u32_e32 v29, v183, v24
	s_clause 0x1
	global_load_b128 v[0:3], v[0:1], off
	global_load_b128 v[4:7], v[4:5], off
	v_lshlrev_b32_e32 v38, 6, v38
	s_cmp_eq_u64 s[54:55], 0
	v_sub_nc_u32_e32 v34, v181, v16
	v_mov_b32_e32 v15, v20
	v_mad_u64_u32 v[23:24], null, v21, v29, 0
	v_add_co_u32 v20, vcc_lo, s2, v11
	s_delay_alu instid0(VALU_DEP_4)
	v_mad_u64_u32 v[25:26], null, v21, v34, 0
	v_add_co_ci_u32_e32 v27, vcc_lo, s11, v12, vcc_lo
	v_mad_u64_u32 v[11:12], null, s6, v22, v[15:16]
	v_mov_b32_e32 v12, v24
	v_add_co_u32 v21, vcc_lo, v20, v9
	v_mov_b32_e32 v24, v26
	v_add_co_ci_u32_e32 v22, vcc_lo, 0, v27, vcc_lo
	v_mov_b32_e32 v20, v11
	v_mad_u64_u32 v[27:28], null, s6, v29, v[12:13]
	s_delay_alu instid0(VALU_DEP_4) | instskip(NEXT) | instid1(VALU_DEP_3)
	v_mad_u64_u32 v[30:31], null, s6, v34, v[24:25]
	v_lshlrev_b64 v[28:29], 2, v[19:20]
	s_clause 0x2
	global_load_b128 v[11:14], v[13:14], off
	global_load_b128 v[15:18], v[17:18], off
	;; [unrolled: 1-line block ×3, first 2 shown]
	s_load_b32 s2, s[0:1], 0x40
	v_dual_mov_b32 v24, v27 :: v_dual_lshlrev_b32 v39, 1, v189
	v_mov_b32_e32 v26, v30
	v_add_co_u32 v27, vcc_lo, s12, v28
	v_add_co_ci_u32_e32 v28, vcc_lo, s15, v29, vcc_lo
	s_delay_alu instid0(VALU_DEP_4) | instskip(NEXT) | instid1(VALU_DEP_3)
	v_lshlrev_b64 v[23:24], 2, v[23:24]
	v_add_co_u32 v27, vcc_lo, v27, v9
	v_lshlrev_b64 v[25:26], 2, v[25:26]
	s_delay_alu instid0(VALU_DEP_4) | instskip(NEXT) | instid1(VALU_DEP_4)
	v_add_co_ci_u32_e32 v28, vcc_lo, 0, v28, vcc_lo
	v_add_co_u32 v23, vcc_lo, s4, v23
	v_add_co_ci_u32_e32 v24, vcc_lo, s5, v24, vcc_lo
	s_delay_alu instid0(VALU_DEP_4) | instskip(SKIP_1) | instid1(VALU_DEP_4)
	v_add_co_u32 v25, vcc_lo, v32, v25
	v_add_co_ci_u32_e32 v26, vcc_lo, v33, v26, vcc_lo
	v_add_co_u32 v29, vcc_lo, v23, v9
	s_delay_alu instid0(VALU_DEP_4) | instskip(NEXT) | instid1(VALU_DEP_4)
	v_add_co_ci_u32_e32 v30, vcc_lo, 0, v24, vcc_lo
	v_add_co_u32 v31, vcc_lo, v25, v9
	s_delay_alu instid0(VALU_DEP_4)
	v_add_co_ci_u32_e32 v32, vcc_lo, 0, v26, vcc_lo
	s_clause 0x2
	global_load_b128 v[23:26], v[27:28], off
	global_load_b128 v[27:30], v[29:30], off
	;; [unrolled: 1-line block ×3, first 2 shown]
	v_lshlrev_b32_e32 v40, 3, v189
	v_add_lshl_u32 v44, v35, v39, 2
	v_add_lshl_u32 v45, v36, v39, 2
	;; [unrolled: 1-line block ×4, first 2 shown]
	v_lshl_or_b32 v43, v8, 11, v40
	s_waitcnt vmcnt(7) lgkmcnt(0)
	v_fma_mixlo_f16 v35, v0, s2, 0
	v_fma_mixlo_f16 v36, v2, s2, 0
	s_waitcnt vmcnt(6)
	v_fma_mixlo_f16 v37, v4, s2, 0
	v_fma_mixlo_f16 v38, v6, s2, 0
	v_fma_mixhi_f16 v35, v1, s2, 0
	v_fma_mixhi_f16 v36, v3, s2, 0
	s_delay_alu instid0(VALU_DEP_4) | instskip(NEXT) | instid1(VALU_DEP_4)
	v_fma_mixhi_f16 v37, v5, s2, 0
	v_fma_mixhi_f16 v38, v7, s2, 0
	ds_store_2addr_b64 v43, v[35:36], v[37:38] offset1:32
	s_waitcnt vmcnt(5)
	v_fma_mixlo_f16 v39, v11, s2, 0
	v_fma_mixlo_f16 v40, v13, s2, 0
	s_waitcnt vmcnt(4)
	v_fma_mixlo_f16 v41, v15, s2, 0
	v_fma_mixlo_f16 v42, v17, s2, 0
	s_waitcnt vmcnt(3)
	v_fma_mixlo_f16 v0, v19, s2, 0
	v_fma_mixlo_f16 v1, v21, s2, 0
	v_fma_mixhi_f16 v40, v14, s2, 0
	v_fma_mixhi_f16 v39, v12, s2, 0
	;; [unrolled: 1-line block ×6, first 2 shown]
	s_waitcnt vmcnt(2)
	v_fma_mixlo_f16 v2, v23, s2, 0
	v_fma_mixlo_f16 v3, v25, s2, 0
	s_waitcnt vmcnt(1)
	v_fma_mixlo_f16 v4, v27, s2, 0
	v_fma_mixlo_f16 v5, v29, s2, 0
	;; [unrolled: 3-line block ×3, first 2 shown]
	v_fma_mixhi_f16 v3, v26, s2, 0
	v_fma_mixhi_f16 v2, v24, s2, 0
	;; [unrolled: 1-line block ×6, first 2 shown]
	ds_store_2addr_b64 v43, v[39:40], v[41:42] offset0:64 offset1:96
	ds_store_b64 v44, v[0:1]
	ds_store_b64 v45, v[2:3]
	;; [unrolled: 1-line block ×4, first 2 shown]
	s_waitcnt lgkmcnt(0)
	s_barrier
	buffer_gl0_inv
	s_cbranch_scc1 .LBB17_4
; %bb.3:
	s_load_b32 s2, s[0:1], 0xd0
	s_mov_b32 s5, 0
	s_waitcnt lgkmcnt(0)
	s_mul_i32 s2, s2, s70
	s_delay_alu instid0(SALU_CYCLE_1) | instskip(NEXT) | instid1(SALU_CYCLE_1)
	s_add_i32 s4, s2, s13
	s_lshl_b64 s[4:5], s[4:5], 2
	s_delay_alu instid0(SALU_CYCLE_1)
	s_add_u32 s4, s54, s4
	s_addc_u32 s5, s55, s5
	s_load_b32 s66, s[4:5], 0x0
.LBB17_4:
	v_mbcnt_lo_u32_b32 v192, -1, 0
	s_lshl_b32 s65, s14, 6
	s_waitcnt lgkmcnt(0)
	s_cmp_lt_i32 s65, s66
	s_cbranch_scc1 .LBB17_6
; %bb.5:
	v_mbcnt_lo_u32_b32 v12, -1, 0
	v_mov_b32_e32 v11, 32
	s_mov_b32 s2, 0
	s_mov_b32 s4, 0xfeffffff
	s_delay_alu instid0(VALU_DEP_2)
	v_xor_b32_e32 v197, 16, v12
	v_xor_b32_e32 v196, 8, v12
	;; [unrolled: 1-line block ×5, first 2 shown]
	s_branch .LBB17_7
.LBB17_6:
	s_mov_b32 s2, -1
                                        ; implicit-def: $sgpr4
                                        ; implicit-def: $vgpr12
                                        ; implicit-def: $vgpr11
                                        ; implicit-def: $vgpr197
                                        ; implicit-def: $vgpr196
                                        ; implicit-def: $vgpr195
                                        ; implicit-def: $vgpr194
                                        ; implicit-def: $vgpr193
.LBB17_7:
	s_delay_alu instid0(SALU_CYCLE_1) | instskip(SKIP_2) | instid1(VALU_DEP_3)
	v_cndmask_b32_e64 v0, 0, 1, s2
	v_dual_mov_b32 v7, s4 :: v_dual_lshlrev_b32 v186, 2, v189
	v_dual_mov_b32 v214, s2 :: v_dual_mov_b32 v5, s4
	v_cmp_ne_u32_e32 vcc_lo, 1, v0
	v_dual_mov_b32 v40, s2 :: v_dual_mov_b32 v3, s4
	v_dual_mov_b32 v6, s4 :: v_dual_mov_b32 v1, s4
	;; [unrolled: 1-line block ×14, first 2 shown]
	v_mov_b32_e32 v26, s2
	s_cbranch_vccnz .LBB17_11
; %bb.8:
	v_add3_u32 v0, s51, v190, 1
	s_clause 0x1
	s_load_b128 s[4:7], s[0:1], 0x98
	s_load_b64 s[12:13], s[0:1], 0x8c
	s_sub_i32 s2, 0, s8
	v_lshrrev_b32_e32 v1, 3, v189
	v_dual_mov_b32 v26, 0 :: v_dual_and_b32 v11, 28, v186
	v_mul_hi_u32 v2, s60, v0
	s_mul_i32 s2, s2, s10
	s_delay_alu instid0(VALU_DEP_3) | instskip(SKIP_4) | instid1(VALU_DEP_3)
	v_lshl_add_u32 v1, v8, 2, v1
	s_mul_hi_u32 s2, s10, s2
	v_lshlrev_b32_e32 v3, 2, v11
	s_abs_i32 s11, s64
	s_add_i32 s10, s10, s2
	v_dual_mov_b32 v27, 0 :: v_dual_add_nc_u32 v2, v0, v2
	s_ashr_i32 s2, s3, 1
	s_mul_hi_u32 s3, s11, s10
	s_ashr_i32 s10, s70, 31
	s_ashr_i32 s15, s64, 31
	v_lshrrev_b32_e32 v2, s61, v2
	s_waitcnt lgkmcnt(0)
	s_ashr_i32 s67, s6, 2
	s_mul_i32 s5, s70, s5
	s_mul_hi_u32 s6, s70, s4
	s_ashr_i32 s71, s12, 2
	v_mul_lo_u32 v6, v2, s62
	s_mul_i32 s12, s10, s4
	s_add_i32 s5, s6, s5
	s_mul_i32 s4, s70, s4
	s_ashr_i32 s9, s9, 31
	s_load_b64 s[16:17], s[0:1], 0xa8
	s_mul_i32 s18, s3, s8
	s_add_i32 s5, s5, s12
	v_sub_nc_u32_e32 v0, v0, v6
	s_add_u32 s4, s46, s4
	s_addc_u32 s5, s47, s5
	s_xor_b32 s6, s15, s9
	s_sub_i32 s9, s11, s18
	v_mul_lo_u32 v203, v0, s2
	v_mov_b32_e32 v0, 0xfeffffff
	v_mad_u32_u24 v4, 0x90, v1, v3
	v_lshrrev_b32_e32 v3, 4, v189
	s_add_i32 s11, s3, 1
	s_sub_i32 s12, s9, s8
	s_cmp_ge_u32 s9, s8
	v_dual_mov_b32 v31, 0 :: v_dual_and_b32 v12, 60, v186
	v_dual_mov_b32 v28, 0 :: v_dual_add_nc_u32 v7, v3, v190
	s_cselect_b32 s3, s11, s3
	s_cselect_b32 s9, s12, s9
	v_mul_lo_u32 v1, s71, v1
	s_delay_alu instid0(VALU_DEP_2)
	v_mul_lo_u32 v5, s67, v7
	s_add_i32 s11, s3, 1
	s_cmp_ge_u32 s9, s8
	v_dual_mov_b32 v32, 0 :: v_dual_lshlrev_b32 v13, 2, v12
	s_cselect_b32 s3, s11, s3
	s_waitcnt lgkmcnt(0)
	s_mul_i32 s8, s70, s17
	s_xor_b32 s3, s3, s6
	v_lshl_add_u32 v3, s71, 5, v1
	s_sub_i32 s3, s3, s6
	v_lshl_or_b32 v13, v7, 8, v13
	v_lshl_add_u32 v7, s67, 4, v5
	s_mul_i32 s9, s3, s13
	s_mul_hi_u32 s6, s70, s16
	s_ashr_i32 s11, s9, 31
	s_add_u32 s60, s4, s9
	v_dual_mov_b32 v29, 0 :: v_dual_add_nc_u32 v198, 0x4000, v4
	v_ashrrev_i32_e32 v2, 31, v1
	v_dual_mov_b32 v30, 0 :: v_dual_add_nc_u32 v199, 0x5200, v4
	v_ashrrev_i32_e32 v4, 31, v3
	v_dual_mov_b32 v34, 0 :: v_dual_lshlrev_b32 v201, 11, v8
	v_lshl_add_u32 v204, v8, 10, 0x6400
	v_ashrrev_i32_e32 v6, 31, v5
	v_ashrrev_i32_e32 v8, 31, v7
	s_mul_i32 s10, s10, s16
	s_addc_u32 s72, s5, s11
	s_add_i32 s4, s6, s8
	v_lshl_or_b32 v207, v189, 3, 0x4000
	s_mul_i32 s5, s70, s16
	s_add_i32 s4, s4, s10
	s_mul_i32 s3, s3, s7
	v_mul_lo_u32 v202, v10, s2
	s_add_u32 s5, s48, s5
	s_addc_u32 s4, s49, s4
	s_ashr_i32 s6, s3, 31
	v_lshlrev_b64 v[172:173], 2, v[1:2]
	v_lshlrev_b64 v[174:175], 2, v[3:4]
	;; [unrolled: 1-line block ×4, first 2 shown]
	s_add_u32 s61, s5, s3
	v_mul_u32_u24_e32 v200, 0x90, v189
	v_dual_mov_b32 v36, 0 :: v_dual_add_nc_u32 v205, 0x4000, v13
	v_dual_mov_b32 v33, 0 :: v_dual_add_nc_u32 v206, 0x5000, v13
	v_dual_mov_b32 v35, 0 :: v_dual_lshlrev_b32 v208, 2, v11
	v_xor_b32_e32 v197, 16, v192
	v_xor_b32_e32 v196, 8, v192
	;; [unrolled: 1-line block ×5, first 2 shown]
	v_dual_mov_b32 v38, 0 :: v_dual_add_nc_u32 v209, v204, v9
	v_dual_mov_b32 v37, 0 :: v_dual_lshlrev_b32 v210, 2, v12
	v_dual_mov_b32 v40, 0 :: v_dual_add_nc_u32 v211, 0x800, v207
	v_dual_mov_b32 v39, 0 :: v_dual_add_nc_u32 v212, 0x1000, v207
	;; [unrolled: 1-line block ×3, first 2 shown]
	v_dual_mov_b32 v41, 0 :: v_dual_mov_b32 v2, 0xfeffffff
	v_dual_mov_b32 v1, 0xfeffffff :: v_dual_mov_b32 v4, 0xfeffffff
	;; [unrolled: 1-line block ×6, first 2 shown]
	v_mov_b32_e32 v217, 0
	v_mov_b32_e32 v219, 0
	;; [unrolled: 1-line block ×3, first 2 shown]
	s_addc_u32 s73, s4, s6
	s_add_u32 s54, s0, 0xd0
	s_addc_u32 s55, s1, 0
.LBB17_9:                               ; =>This Inner Loop Header: Depth=1
	s_mul_hi_i32 s7, s65, s71
	s_mul_i32 s6, s65, s71
	v_cmp_gt_i32_e64 s3, 32, v195
	v_cmp_gt_i32_e64 s4, 32, v194
	;; [unrolled: 1-line block ×3, first 2 shown]
	v_cmp_gt_i32_e32 vcc_lo, 32, v197
	v_cmp_gt_i32_e64 s2, 32, v196
	s_lshl_b64 s[6:7], s[6:7], 2
	v_dual_mov_b32 v50, v0 :: v_dual_mov_b32 v51, 0
	v_add_nc_u32_e32 v0, s65, v189
	s_mul_hi_i32 s9, s65, s67
	s_mul_i32 s8, s65, s67
	s_add_u32 s6, s60, s6
	v_dual_mov_b32 v43, v7 :: v_dual_mov_b32 v44, v6
	v_dual_mov_b32 v46, v4 :: v_dual_mov_b32 v47, v3
	v_cndmask_b32_e64 v4, v192, v195, s3
	v_cndmask_b32_e64 v6, v192, v194, s4
	;; [unrolled: 1-line block ×3, first 2 shown]
	s_addc_u32 s3, s72, s7
	s_lshl_b64 s[4:5], s[8:9], 2
	v_dual_mov_b32 v48, v2 :: v_dual_mov_b32 v49, v1
	v_dual_cndmask_b32 v1, v192, v197 :: v_dual_lshlrev_b32 v70, 2, v4
	v_cndmask_b32_e64 v2, v192, v196, s2
	v_add_co_u32 v10, s2, s6, v172
	v_add_co_u32 v8, vcc_lo, s6, v174
	s_add_u32 s4, s61, s4
	v_dual_mov_b32 v42, v215 :: v_dual_mov_b32 v45, v5
	v_add_nc_u32_e32 v3, v0, v202
	v_add_nc_u32_e32 v5, v0, v203
	v_add_co_ci_u32_e64 v0, s2, s3, v173, s2
	v_add_co_ci_u32_e32 v9, vcc_lo, s3, v175, vcc_lo
	s_addc_u32 s3, s73, s5
	v_add_co_u32 v13, s2, s4, v176
	v_add_co_u32 v12, vcc_lo, s4, v178
	v_lshlrev_b32_e32 v72, 2, v1
	v_add_co_ci_u32_e64 v1, s2, s3, v177, s2
	v_add_co_ci_u32_e32 v14, vcc_lo, s3, v179, vcc_lo
	v_add_co_u32 v10, s2, v10, v208
	v_add_co_u32 v8, vcc_lo, v8, v208
	v_ashrrev_i32_e32 v4, 31, v3
	v_add_co_ci_u32_e64 v11, s2, 0, v0, s2
	v_add_co_ci_u32_e32 v9, vcc_lo, 0, v9, vcc_lo
	v_lshlrev_b32_e32 v71, 2, v2
	v_add_co_u32 v0, vcc_lo, v12, v210
	v_add_co_u32 v2, s2, v13, v210
	v_lshlrev_b64 v[16:17], 1, v[3:4]
	v_add_co_ci_u32_e64 v3, s2, 0, v1, s2
	v_add_co_ci_u32_e32 v1, vcc_lo, 0, v14, vcc_lo
	s_clause 0x1
	global_load_b128 v[12:15], v[10:11], off
	global_load_b128 v[73:76], v[8:9], off
	s_or_b32 s6, s65, 32
	v_lshlrev_b32_e32 v69, 2, v6
	s_mul_hi_i32 s5, s6, s67
	s_mul_i32 s4, s6, s67
	v_ashrrev_i32_e32 v6, 31, v5
	s_lshl_b64 s[4:5], s[4:5], 2
	v_lshlrev_b32_e32 v68, 2, v7
	s_add_u32 s3, s61, s4
	s_addc_u32 s4, s73, s5
	v_lshlrev_b64 v[6:7], 1, v[5:6]
	v_add_co_u32 v5, vcc_lo, s3, v176
	v_add_co_u32 v18, s2, s3, v178
	v_add_co_ci_u32_e32 v19, vcc_lo, s4, v177, vcc_lo
	v_add_co_ci_u32_e64 v77, vcc_lo, s4, v179, s2
	v_add_co_u32 v4, vcc_lo, s68, v16
	s_delay_alu instid0(VALU_DEP_4)
	v_add_co_u32 v16, s3, v18, v210
	v_add_co_u32 v18, s4, v5, v210
	v_add_co_ci_u32_e32 v5, vcc_lo, s69, v17, vcc_lo
	v_add_co_ci_u32_e64 v17, vcc_lo, 0, v77, s3
	v_dual_mov_b32 v52, 0 :: v_dual_mov_b32 v53, 0
	v_dual_mov_b32 v54, 0 :: v_dual_mov_b32 v55, 0
	;; [unrolled: 1-line block ×8, first 2 shown]
	v_add_co_u32 v6, s2, s68, v6
	s_delay_alu instid0(VALU_DEP_1)
	v_add_co_ci_u32_e64 v7, vcc_lo, s69, v7, s2
	v_add_co_ci_u32_e64 v19, vcc_lo, 0, v19, s4
	v_dual_mov_b32 v24, v217 :: v_dual_mov_b32 v25, v216
	v_dual_mov_b32 v22, v219 :: v_dual_mov_b32 v23, v218
	;; [unrolled: 1-line block ×3, first 2 shown]
	s_waitcnt vmcnt(1)
	ds_store_b128 v198, v[12:15]
	s_waitcnt vmcnt(0)
	ds_store_b128 v199, v[73:76]
	s_waitcnt lgkmcnt(0)
	s_barrier
	buffer_gl0_inv
	ds_load_b128 v[12:15], v200 offset:16384
	ds_load_b128 v[73:76], v201
	ds_load_b128 v[77:80], v201 offset:256
	ds_load_b128 v[81:84], v201 offset:512
	;; [unrolled: 1-line block ×8, first 2 shown]
	s_waitcnt lgkmcnt(8)
	;;#ASMSTART
	v_dot2_f32_f16 v51, v12, v73, v51
	;;#ASMEND
	;;#ASMSTART
	v_dot2_f32_f16 v51, v13, v74, v51
	;;#ASMEND
	;;#ASMSTART
	v_dot2_f32_f16 v51, v14, v75, v51
	;;#ASMEND
	;;#ASMSTART
	v_dot2_f32_f16 v51, v15, v76, v51
	;;#ASMEND
	s_waitcnt lgkmcnt(7)
	;;#ASMSTART
	v_dot2_f32_f16 v52, v12, v77, v52
	;;#ASMEND
	;;#ASMSTART
	v_dot2_f32_f16 v52, v13, v78, v52
	;;#ASMEND
	;;#ASMSTART
	v_dot2_f32_f16 v52, v14, v79, v52
	;;#ASMEND
	;;#ASMSTART
	v_dot2_f32_f16 v52, v15, v80, v52
	;;#ASMEND
	;; [unrolled: 13-line block ×8, first 2 shown]
	;;#ASMSTART
	v_dot2_f32_f16 v59, v89, v73, v59
	;;#ASMEND
	;;#ASMSTART
	v_dot2_f32_f16 v59, v90, v74, v59
	;;#ASMEND
	;; [unrolled: 3-line block ×32, first 2 shown]
	ds_load_b128 v[12:15], v200 offset:16400
	ds_load_b128 v[73:76], v201 offset:16
	;; [unrolled: 1-line block ×10, first 2 shown]
	s_waitcnt lgkmcnt(8)
	;;#ASMSTART
	v_dot2_f32_f16 v51, v12, v73, v51
	;;#ASMEND
	;;#ASMSTART
	v_dot2_f32_f16 v51, v13, v74, v51
	;;#ASMEND
	;;#ASMSTART
	v_dot2_f32_f16 v51, v14, v75, v51
	;;#ASMEND
	;;#ASMSTART
	v_dot2_f32_f16 v51, v15, v76, v51
	;;#ASMEND
	s_waitcnt lgkmcnt(7)
	;;#ASMSTART
	v_dot2_f32_f16 v52, v12, v77, v52
	;;#ASMEND
	;;#ASMSTART
	v_dot2_f32_f16 v52, v13, v78, v52
	;;#ASMEND
	;;#ASMSTART
	v_dot2_f32_f16 v52, v14, v79, v52
	;;#ASMEND
	;;#ASMSTART
	v_dot2_f32_f16 v52, v15, v80, v52
	;;#ASMEND
	;; [unrolled: 13-line block ×8, first 2 shown]
	;;#ASMSTART
	v_dot2_f32_f16 v59, v89, v73, v59
	;;#ASMEND
	;;#ASMSTART
	v_dot2_f32_f16 v59, v90, v74, v59
	;;#ASMEND
	;; [unrolled: 3-line block ×32, first 2 shown]
	ds_load_b128 v[12:15], v200 offset:16416
	ds_load_b128 v[73:76], v201 offset:32
	;; [unrolled: 1-line block ×10, first 2 shown]
	s_waitcnt lgkmcnt(8)
	;;#ASMSTART
	v_dot2_f32_f16 v51, v12, v73, v51
	;;#ASMEND
	;;#ASMSTART
	v_dot2_f32_f16 v51, v13, v74, v51
	;;#ASMEND
	;;#ASMSTART
	v_dot2_f32_f16 v51, v14, v75, v51
	;;#ASMEND
	;;#ASMSTART
	v_dot2_f32_f16 v51, v15, v76, v51
	;;#ASMEND
	s_waitcnt lgkmcnt(7)
	;;#ASMSTART
	v_dot2_f32_f16 v52, v12, v77, v52
	;;#ASMEND
	;;#ASMSTART
	v_dot2_f32_f16 v52, v13, v78, v52
	;;#ASMEND
	;;#ASMSTART
	v_dot2_f32_f16 v52, v14, v79, v52
	;;#ASMEND
	;;#ASMSTART
	v_dot2_f32_f16 v52, v15, v80, v52
	;;#ASMEND
	;; [unrolled: 13-line block ×8, first 2 shown]
	;;#ASMSTART
	v_dot2_f32_f16 v59, v89, v73, v59
	;;#ASMEND
	;;#ASMSTART
	v_dot2_f32_f16 v59, v90, v74, v59
	;;#ASMEND
	;; [unrolled: 3-line block ×32, first 2 shown]
	ds_load_b128 v[12:15], v200 offset:16432
	ds_load_b128 v[73:76], v201 offset:48
	;; [unrolled: 1-line block ×10, first 2 shown]
	s_waitcnt lgkmcnt(8)
	;;#ASMSTART
	v_dot2_f32_f16 v51, v12, v73, v51
	;;#ASMEND
	;;#ASMSTART
	v_dot2_f32_f16 v51, v13, v74, v51
	;;#ASMEND
	;;#ASMSTART
	v_dot2_f32_f16 v51, v14, v75, v51
	;;#ASMEND
	;;#ASMSTART
	v_dot2_f32_f16 v51, v15, v76, v51
	;;#ASMEND
	s_waitcnt lgkmcnt(7)
	;;#ASMSTART
	v_dot2_f32_f16 v52, v12, v77, v52
	;;#ASMEND
	;;#ASMSTART
	v_dot2_f32_f16 v52, v13, v78, v52
	;;#ASMEND
	;;#ASMSTART
	v_dot2_f32_f16 v52, v14, v79, v52
	;;#ASMEND
	;;#ASMSTART
	v_dot2_f32_f16 v52, v15, v80, v52
	;;#ASMEND
	;; [unrolled: 13-line block ×8, first 2 shown]
	;;#ASMSTART
	v_dot2_f32_f16 v59, v89, v73, v59
	;;#ASMEND
	;;#ASMSTART
	v_dot2_f32_f16 v59, v90, v74, v59
	;;#ASMEND
	;; [unrolled: 3-line block ×32, first 2 shown]
	ds_load_b128 v[12:15], v200 offset:16448
	ds_load_b128 v[73:76], v201 offset:64
	;; [unrolled: 1-line block ×10, first 2 shown]
	s_waitcnt lgkmcnt(8)
	;;#ASMSTART
	v_dot2_f32_f16 v51, v12, v73, v51
	;;#ASMEND
	;;#ASMSTART
	v_dot2_f32_f16 v51, v13, v74, v51
	;;#ASMEND
	;;#ASMSTART
	v_dot2_f32_f16 v51, v14, v75, v51
	;;#ASMEND
	;;#ASMSTART
	v_dot2_f32_f16 v51, v15, v76, v51
	;;#ASMEND
	s_waitcnt lgkmcnt(7)
	;;#ASMSTART
	v_dot2_f32_f16 v52, v12, v77, v52
	;;#ASMEND
	;;#ASMSTART
	v_dot2_f32_f16 v52, v13, v78, v52
	;;#ASMEND
	;;#ASMSTART
	v_dot2_f32_f16 v52, v14, v79, v52
	;;#ASMEND
	;;#ASMSTART
	v_dot2_f32_f16 v52, v15, v80, v52
	;;#ASMEND
	;; [unrolled: 13-line block ×8, first 2 shown]
	;;#ASMSTART
	v_dot2_f32_f16 v59, v89, v73, v59
	;;#ASMEND
	;;#ASMSTART
	v_dot2_f32_f16 v59, v90, v74, v59
	;;#ASMEND
	;; [unrolled: 3-line block ×32, first 2 shown]
	ds_load_b128 v[12:15], v200 offset:16464
	ds_load_b128 v[73:76], v201 offset:80
	;; [unrolled: 1-line block ×10, first 2 shown]
	s_waitcnt lgkmcnt(8)
	;;#ASMSTART
	v_dot2_f32_f16 v51, v12, v73, v51
	;;#ASMEND
	;;#ASMSTART
	v_dot2_f32_f16 v51, v13, v74, v51
	;;#ASMEND
	;;#ASMSTART
	v_dot2_f32_f16 v51, v14, v75, v51
	;;#ASMEND
	;;#ASMSTART
	v_dot2_f32_f16 v51, v15, v76, v51
	;;#ASMEND
	s_waitcnt lgkmcnt(7)
	;;#ASMSTART
	v_dot2_f32_f16 v52, v12, v77, v52
	;;#ASMEND
	;;#ASMSTART
	v_dot2_f32_f16 v52, v13, v78, v52
	;;#ASMEND
	;;#ASMSTART
	v_dot2_f32_f16 v52, v14, v79, v52
	;;#ASMEND
	;;#ASMSTART
	v_dot2_f32_f16 v52, v15, v80, v52
	;;#ASMEND
	;; [unrolled: 13-line block ×8, first 2 shown]
	;;#ASMSTART
	v_dot2_f32_f16 v59, v89, v73, v59
	;;#ASMEND
	;;#ASMSTART
	v_dot2_f32_f16 v59, v90, v74, v59
	;;#ASMEND
	;;#ASMSTART
	v_dot2_f32_f16 v59, v91, v75, v59
	;;#ASMEND
	;;#ASMSTART
	v_dot2_f32_f16 v59, v92, v76, v59
	;;#ASMEND
	;;#ASMSTART
	v_dot2_f32_f16 v60, v89, v77, v60
	;;#ASMEND
	;;#ASMSTART
	v_dot2_f32_f16 v60, v90, v78, v60
	;;#ASMEND
	;;#ASMSTART
	v_dot2_f32_f16 v60, v91, v79, v60
	;;#ASMEND
	;;#ASMSTART
	v_dot2_f32_f16 v60, v92, v80, v60
	;;#ASMEND
	;;#ASMSTART
	v_dot2_f32_f16 v61, v89, v81, v61
	;;#ASMEND
	;;#ASMSTART
	v_dot2_f32_f16 v61, v90, v82, v61
	;;#ASMEND
	;;#ASMSTART
	v_dot2_f32_f16 v61, v91, v83, v61
	;;#ASMEND
	;;#ASMSTART
	v_dot2_f32_f16 v61, v92, v84, v61
	;;#ASMEND
	;;#ASMSTART
	v_dot2_f32_f16 v62, v89, v85, v62
	;;#ASMEND
	;;#ASMSTART
	v_dot2_f32_f16 v62, v90, v86, v62
	;;#ASMEND
	;;#ASMSTART
	v_dot2_f32_f16 v62, v91, v87, v62
	;;#ASMEND
	;;#ASMSTART
	v_dot2_f32_f16 v62, v92, v88, v62
	;;#ASMEND
	;;#ASMSTART
	v_dot2_f32_f16 v63, v89, v93, v63
	;;#ASMEND
	;;#ASMSTART
	v_dot2_f32_f16 v63, v90, v94, v63
	;;#ASMEND
	;;#ASMSTART
	v_dot2_f32_f16 v63, v91, v95, v63
	;;#ASMEND
	;;#ASMSTART
	v_dot2_f32_f16 v63, v92, v96, v63
	;;#ASMEND
	;;#ASMSTART
	v_dot2_f32_f16 v64, v89, v97, v64
	;;#ASMEND
	;;#ASMSTART
	v_dot2_f32_f16 v64, v90, v98, v64
	;;#ASMEND
	;;#ASMSTART
	v_dot2_f32_f16 v64, v91, v99, v64
	;;#ASMEND
	;;#ASMSTART
	v_dot2_f32_f16 v64, v92, v100, v64
	;;#ASMEND
	;;#ASMSTART
	v_dot2_f32_f16 v65, v89, v101, v65
	;;#ASMEND
	;;#ASMSTART
	v_dot2_f32_f16 v65, v90, v102, v65
	;;#ASMEND
	;;#ASMSTART
	v_dot2_f32_f16 v65, v91, v103, v65
	;;#ASMEND
	;;#ASMSTART
	v_dot2_f32_f16 v65, v92, v104, v65
	;;#ASMEND
	;;#ASMSTART
	v_dot2_f32_f16 v66, v89, v105, v66
	;;#ASMEND
	;;#ASMSTART
	v_dot2_f32_f16 v66, v90, v106, v66
	;;#ASMEND
	;;#ASMSTART
	v_dot2_f32_f16 v66, v91, v107, v66
	;;#ASMEND
	;;#ASMSTART
	v_dot2_f32_f16 v66, v92, v108, v66
	;;#ASMEND
	ds_load_b128 v[12:15], v200 offset:16480
	ds_load_b128 v[73:76], v201 offset:96
	;; [unrolled: 1-line block ×10, first 2 shown]
	s_waitcnt lgkmcnt(8)
	;;#ASMSTART
	v_dot2_f32_f16 v51, v12, v73, v51
	;;#ASMEND
	;;#ASMSTART
	v_dot2_f32_f16 v51, v13, v74, v51
	;;#ASMEND
	;;#ASMSTART
	v_dot2_f32_f16 v51, v14, v75, v51
	;;#ASMEND
	;;#ASMSTART
	v_dot2_f32_f16 v51, v15, v76, v51
	;;#ASMEND
	s_waitcnt lgkmcnt(7)
	;;#ASMSTART
	v_dot2_f32_f16 v52, v12, v77, v52
	;;#ASMEND
	;;#ASMSTART
	v_dot2_f32_f16 v52, v13, v78, v52
	;;#ASMEND
	;;#ASMSTART
	v_dot2_f32_f16 v52, v14, v79, v52
	;;#ASMEND
	;;#ASMSTART
	v_dot2_f32_f16 v52, v15, v80, v52
	;;#ASMEND
	;; [unrolled: 13-line block ×8, first 2 shown]
	;;#ASMSTART
	v_dot2_f32_f16 v59, v89, v73, v59
	;;#ASMEND
	;;#ASMSTART
	v_dot2_f32_f16 v59, v90, v74, v59
	;;#ASMEND
	;; [unrolled: 3-line block ×32, first 2 shown]
	ds_load_b128 v[12:15], v200 offset:16496
	ds_load_b128 v[73:76], v201 offset:112
	;; [unrolled: 1-line block ×10, first 2 shown]
	s_waitcnt lgkmcnt(8)
	;;#ASMSTART
	v_dot2_f32_f16 v51, v12, v73, v51
	;;#ASMEND
	;;#ASMSTART
	v_dot2_f32_f16 v51, v13, v74, v51
	;;#ASMEND
	;;#ASMSTART
	v_dot2_f32_f16 v51, v14, v75, v51
	;;#ASMEND
	;;#ASMSTART
	v_dot2_f32_f16 v51, v15, v76, v51
	;;#ASMEND
	s_waitcnt lgkmcnt(7)
	;;#ASMSTART
	v_dot2_f32_f16 v52, v12, v77, v52
	;;#ASMEND
	;;#ASMSTART
	v_dot2_f32_f16 v52, v13, v78, v52
	;;#ASMEND
	;;#ASMSTART
	v_dot2_f32_f16 v52, v14, v79, v52
	;;#ASMEND
	;;#ASMSTART
	v_dot2_f32_f16 v52, v15, v80, v52
	;;#ASMEND
	;; [unrolled: 13-line block ×8, first 2 shown]
	;;#ASMSTART
	v_dot2_f32_f16 v59, v89, v73, v59
	;;#ASMEND
	;;#ASMSTART
	v_dot2_f32_f16 v59, v90, v74, v59
	;;#ASMEND
	;; [unrolled: 3-line block ×32, first 2 shown]
	s_barrier
	buffer_gl0_inv
	s_clause 0x1
	global_load_b128 v[10:13], v[10:11], off offset:128
	global_load_b128 v[73:76], v[8:9], off offset:128
	s_waitcnt vmcnt(1)
	ds_store_b128 v198, v[10:13]
	s_waitcnt vmcnt(0)
	ds_store_b128 v199, v[73:76]
	s_waitcnt lgkmcnt(0)
	s_barrier
	buffer_gl0_inv
	ds_load_b128 v[8:11], v200 offset:16384
	ds_load_b128 v[12:15], v201 offset:128
	;; [unrolled: 1-line block ×10, first 2 shown]
	s_waitcnt lgkmcnt(8)
	;;#ASMSTART
	v_dot2_f32_f16 v51, v8, v12, v51
	;;#ASMEND
	;;#ASMSTART
	v_dot2_f32_f16 v51, v9, v13, v51
	;;#ASMEND
	;;#ASMSTART
	v_dot2_f32_f16 v51, v10, v14, v51
	;;#ASMEND
	;;#ASMSTART
	v_dot2_f32_f16 v51, v11, v15, v51
	;;#ASMEND
	s_waitcnt lgkmcnt(7)
	;;#ASMSTART
	v_dot2_f32_f16 v52, v8, v73, v52
	;;#ASMEND
	;;#ASMSTART
	v_dot2_f32_f16 v52, v9, v74, v52
	;;#ASMEND
	;;#ASMSTART
	v_dot2_f32_f16 v52, v10, v75, v52
	;;#ASMEND
	;;#ASMSTART
	v_dot2_f32_f16 v52, v11, v76, v52
	;;#ASMEND
	;; [unrolled: 13-line block ×8, first 2 shown]
	;;#ASMSTART
	v_dot2_f32_f16 v59, v85, v12, v59
	;;#ASMEND
	;;#ASMSTART
	v_dot2_f32_f16 v59, v86, v13, v59
	;;#ASMEND
	;; [unrolled: 3-line block ×32, first 2 shown]
	ds_load_b128 v[8:11], v200 offset:16400
	ds_load_b128 v[12:15], v201 offset:144
	;; [unrolled: 1-line block ×10, first 2 shown]
	s_waitcnt lgkmcnt(8)
	;;#ASMSTART
	v_dot2_f32_f16 v51, v8, v12, v51
	;;#ASMEND
	;;#ASMSTART
	v_dot2_f32_f16 v51, v9, v13, v51
	;;#ASMEND
	;;#ASMSTART
	v_dot2_f32_f16 v51, v10, v14, v51
	;;#ASMEND
	;;#ASMSTART
	v_dot2_f32_f16 v51, v11, v15, v51
	;;#ASMEND
	s_waitcnt lgkmcnt(7)
	;;#ASMSTART
	v_dot2_f32_f16 v52, v8, v73, v52
	;;#ASMEND
	;;#ASMSTART
	v_dot2_f32_f16 v52, v9, v74, v52
	;;#ASMEND
	;;#ASMSTART
	v_dot2_f32_f16 v52, v10, v75, v52
	;;#ASMEND
	;;#ASMSTART
	v_dot2_f32_f16 v52, v11, v76, v52
	;;#ASMEND
	;; [unrolled: 13-line block ×8, first 2 shown]
	;;#ASMSTART
	v_dot2_f32_f16 v59, v85, v12, v59
	;;#ASMEND
	;;#ASMSTART
	v_dot2_f32_f16 v59, v86, v13, v59
	;;#ASMEND
	;;#ASMSTART
	v_dot2_f32_f16 v59, v87, v14, v59
	;;#ASMEND
	;;#ASMSTART
	v_dot2_f32_f16 v59, v88, v15, v59
	;;#ASMEND
	;;#ASMSTART
	v_dot2_f32_f16 v60, v85, v73, v60
	;;#ASMEND
	;;#ASMSTART
	v_dot2_f32_f16 v60, v86, v74, v60
	;;#ASMEND
	;;#ASMSTART
	v_dot2_f32_f16 v60, v87, v75, v60
	;;#ASMEND
	;;#ASMSTART
	v_dot2_f32_f16 v60, v88, v76, v60
	;;#ASMEND
	;;#ASMSTART
	v_dot2_f32_f16 v61, v85, v77, v61
	;;#ASMEND
	;;#ASMSTART
	v_dot2_f32_f16 v61, v86, v78, v61
	;;#ASMEND
	;;#ASMSTART
	v_dot2_f32_f16 v61, v87, v79, v61
	;;#ASMEND
	;;#ASMSTART
	v_dot2_f32_f16 v61, v88, v80, v61
	;;#ASMEND
	;;#ASMSTART
	v_dot2_f32_f16 v62, v85, v81, v62
	;;#ASMEND
	;;#ASMSTART
	v_dot2_f32_f16 v62, v86, v82, v62
	;;#ASMEND
	;;#ASMSTART
	v_dot2_f32_f16 v62, v87, v83, v62
	;;#ASMEND
	;;#ASMSTART
	v_dot2_f32_f16 v62, v88, v84, v62
	;;#ASMEND
	;;#ASMSTART
	v_dot2_f32_f16 v63, v85, v89, v63
	;;#ASMEND
	;;#ASMSTART
	v_dot2_f32_f16 v63, v86, v90, v63
	;;#ASMEND
	;;#ASMSTART
	v_dot2_f32_f16 v63, v87, v91, v63
	;;#ASMEND
	;;#ASMSTART
	v_dot2_f32_f16 v63, v88, v92, v63
	;;#ASMEND
	;;#ASMSTART
	v_dot2_f32_f16 v64, v85, v93, v64
	;;#ASMEND
	;;#ASMSTART
	v_dot2_f32_f16 v64, v86, v94, v64
	;;#ASMEND
	;;#ASMSTART
	v_dot2_f32_f16 v64, v87, v95, v64
	;;#ASMEND
	;;#ASMSTART
	v_dot2_f32_f16 v64, v88, v96, v64
	;;#ASMEND
	;;#ASMSTART
	v_dot2_f32_f16 v65, v85, v97, v65
	;;#ASMEND
	;;#ASMSTART
	v_dot2_f32_f16 v65, v86, v98, v65
	;;#ASMEND
	;;#ASMSTART
	v_dot2_f32_f16 v65, v87, v99, v65
	;;#ASMEND
	;;#ASMSTART
	v_dot2_f32_f16 v65, v88, v100, v65
	;;#ASMEND
	;;#ASMSTART
	v_dot2_f32_f16 v66, v85, v101, v66
	;;#ASMEND
	;;#ASMSTART
	v_dot2_f32_f16 v66, v86, v102, v66
	;;#ASMEND
	;;#ASMSTART
	v_dot2_f32_f16 v66, v87, v103, v66
	;;#ASMEND
	;;#ASMSTART
	v_dot2_f32_f16 v66, v88, v104, v66
	;;#ASMEND
	ds_load_b128 v[8:11], v200 offset:16416
	ds_load_b128 v[12:15], v201 offset:160
	;; [unrolled: 1-line block ×10, first 2 shown]
	s_waitcnt lgkmcnt(8)
	;;#ASMSTART
	v_dot2_f32_f16 v51, v8, v12, v51
	;;#ASMEND
	;;#ASMSTART
	v_dot2_f32_f16 v51, v9, v13, v51
	;;#ASMEND
	;;#ASMSTART
	v_dot2_f32_f16 v51, v10, v14, v51
	;;#ASMEND
	;;#ASMSTART
	v_dot2_f32_f16 v51, v11, v15, v51
	;;#ASMEND
	s_waitcnt lgkmcnt(7)
	;;#ASMSTART
	v_dot2_f32_f16 v52, v8, v73, v52
	;;#ASMEND
	;;#ASMSTART
	v_dot2_f32_f16 v52, v9, v74, v52
	;;#ASMEND
	;;#ASMSTART
	v_dot2_f32_f16 v52, v10, v75, v52
	;;#ASMEND
	;;#ASMSTART
	v_dot2_f32_f16 v52, v11, v76, v52
	;;#ASMEND
	;; [unrolled: 13-line block ×8, first 2 shown]
	;;#ASMSTART
	v_dot2_f32_f16 v59, v85, v12, v59
	;;#ASMEND
	;;#ASMSTART
	v_dot2_f32_f16 v59, v86, v13, v59
	;;#ASMEND
	;; [unrolled: 3-line block ×32, first 2 shown]
	ds_load_b128 v[8:11], v200 offset:16432
	ds_load_b128 v[12:15], v201 offset:176
	;; [unrolled: 1-line block ×10, first 2 shown]
	s_waitcnt lgkmcnt(8)
	;;#ASMSTART
	v_dot2_f32_f16 v51, v8, v12, v51
	;;#ASMEND
	;;#ASMSTART
	v_dot2_f32_f16 v51, v9, v13, v51
	;;#ASMEND
	;;#ASMSTART
	v_dot2_f32_f16 v51, v10, v14, v51
	;;#ASMEND
	;;#ASMSTART
	v_dot2_f32_f16 v51, v11, v15, v51
	;;#ASMEND
	s_waitcnt lgkmcnt(7)
	;;#ASMSTART
	v_dot2_f32_f16 v52, v8, v73, v52
	;;#ASMEND
	;;#ASMSTART
	v_dot2_f32_f16 v52, v9, v74, v52
	;;#ASMEND
	;;#ASMSTART
	v_dot2_f32_f16 v52, v10, v75, v52
	;;#ASMEND
	;;#ASMSTART
	v_dot2_f32_f16 v52, v11, v76, v52
	;;#ASMEND
	;; [unrolled: 13-line block ×8, first 2 shown]
	;;#ASMSTART
	v_dot2_f32_f16 v59, v85, v12, v59
	;;#ASMEND
	;;#ASMSTART
	v_dot2_f32_f16 v59, v86, v13, v59
	;;#ASMEND
	;; [unrolled: 3-line block ×32, first 2 shown]
	ds_load_b128 v[8:11], v200 offset:16448
	ds_load_b128 v[12:15], v201 offset:192
	;; [unrolled: 1-line block ×10, first 2 shown]
	s_waitcnt lgkmcnt(8)
	;;#ASMSTART
	v_dot2_f32_f16 v51, v8, v12, v51
	;;#ASMEND
	;;#ASMSTART
	v_dot2_f32_f16 v51, v9, v13, v51
	;;#ASMEND
	;;#ASMSTART
	v_dot2_f32_f16 v51, v10, v14, v51
	;;#ASMEND
	;;#ASMSTART
	v_dot2_f32_f16 v51, v11, v15, v51
	;;#ASMEND
	s_waitcnt lgkmcnt(7)
	;;#ASMSTART
	v_dot2_f32_f16 v52, v8, v73, v52
	;;#ASMEND
	;;#ASMSTART
	v_dot2_f32_f16 v52, v9, v74, v52
	;;#ASMEND
	;;#ASMSTART
	v_dot2_f32_f16 v52, v10, v75, v52
	;;#ASMEND
	;;#ASMSTART
	v_dot2_f32_f16 v52, v11, v76, v52
	;;#ASMEND
	;; [unrolled: 13-line block ×8, first 2 shown]
	;;#ASMSTART
	v_dot2_f32_f16 v59, v85, v12, v59
	;;#ASMEND
	;;#ASMSTART
	v_dot2_f32_f16 v59, v86, v13, v59
	;;#ASMEND
	;; [unrolled: 3-line block ×32, first 2 shown]
	ds_load_b128 v[8:11], v200 offset:16464
	ds_load_b128 v[12:15], v201 offset:208
	;; [unrolled: 1-line block ×10, first 2 shown]
	s_waitcnt lgkmcnt(8)
	;;#ASMSTART
	v_dot2_f32_f16 v51, v8, v12, v51
	;;#ASMEND
	;;#ASMSTART
	v_dot2_f32_f16 v51, v9, v13, v51
	;;#ASMEND
	;;#ASMSTART
	v_dot2_f32_f16 v51, v10, v14, v51
	;;#ASMEND
	;;#ASMSTART
	v_dot2_f32_f16 v51, v11, v15, v51
	;;#ASMEND
	s_waitcnt lgkmcnt(7)
	;;#ASMSTART
	v_dot2_f32_f16 v52, v8, v73, v52
	;;#ASMEND
	;;#ASMSTART
	v_dot2_f32_f16 v52, v9, v74, v52
	;;#ASMEND
	;;#ASMSTART
	v_dot2_f32_f16 v52, v10, v75, v52
	;;#ASMEND
	;;#ASMSTART
	v_dot2_f32_f16 v52, v11, v76, v52
	;;#ASMEND
	;; [unrolled: 13-line block ×8, first 2 shown]
	;;#ASMSTART
	v_dot2_f32_f16 v59, v85, v12, v59
	;;#ASMEND
	;;#ASMSTART
	v_dot2_f32_f16 v59, v86, v13, v59
	;;#ASMEND
	;; [unrolled: 3-line block ×32, first 2 shown]
	ds_load_b128 v[8:11], v200 offset:16480
	ds_load_b128 v[12:15], v201 offset:224
	;; [unrolled: 1-line block ×10, first 2 shown]
	s_waitcnt lgkmcnt(8)
	;;#ASMSTART
	v_dot2_f32_f16 v51, v8, v12, v51
	;;#ASMEND
	;;#ASMSTART
	v_dot2_f32_f16 v51, v9, v13, v51
	;;#ASMEND
	;;#ASMSTART
	v_dot2_f32_f16 v51, v10, v14, v51
	;;#ASMEND
	;;#ASMSTART
	v_dot2_f32_f16 v51, v11, v15, v51
	;;#ASMEND
	s_waitcnt lgkmcnt(7)
	;;#ASMSTART
	v_dot2_f32_f16 v52, v8, v73, v52
	;;#ASMEND
	;;#ASMSTART
	v_dot2_f32_f16 v52, v9, v74, v52
	;;#ASMEND
	;;#ASMSTART
	v_dot2_f32_f16 v52, v10, v75, v52
	;;#ASMEND
	;;#ASMSTART
	v_dot2_f32_f16 v52, v11, v76, v52
	;;#ASMEND
	;; [unrolled: 13-line block ×8, first 2 shown]
	;;#ASMSTART
	v_dot2_f32_f16 v59, v85, v12, v59
	;;#ASMEND
	;;#ASMSTART
	v_dot2_f32_f16 v59, v86, v13, v59
	;;#ASMEND
	;; [unrolled: 3-line block ×32, first 2 shown]
	ds_load_b128 v[8:11], v200 offset:16496
	ds_load_b128 v[12:15], v201 offset:240
	;; [unrolled: 1-line block ×10, first 2 shown]
	s_waitcnt lgkmcnt(8)
	;;#ASMSTART
	v_dot2_f32_f16 v51, v8, v12, v51
	;;#ASMEND
	;;#ASMSTART
	v_dot2_f32_f16 v51, v9, v13, v51
	;;#ASMEND
	;;#ASMSTART
	v_dot2_f32_f16 v51, v10, v14, v51
	;;#ASMEND
	;;#ASMSTART
	v_dot2_f32_f16 v51, v11, v15, v51
	;;#ASMEND
	s_waitcnt lgkmcnt(7)
	;;#ASMSTART
	v_dot2_f32_f16 v52, v8, v73, v52
	;;#ASMEND
	;;#ASMSTART
	v_dot2_f32_f16 v52, v9, v74, v52
	;;#ASMEND
	;;#ASMSTART
	v_dot2_f32_f16 v52, v10, v75, v52
	;;#ASMEND
	;;#ASMSTART
	v_dot2_f32_f16 v52, v11, v76, v52
	;;#ASMEND
	;; [unrolled: 13-line block ×8, first 2 shown]
	;;#ASMSTART
	v_dot2_f32_f16 v59, v85, v12, v59
	;;#ASMEND
	;;#ASMSTART
	v_dot2_f32_f16 v59, v86, v13, v59
	;;#ASMEND
	;; [unrolled: 3-line block ×32, first 2 shown]
	s_clause 0x3
	flat_load_u16 v73, v[4:5]
	flat_load_u16 v4, v[4:5] offset:64
	flat_load_u16 v5, v[6:7]
	flat_load_u16 v6, v[6:7] offset:64
	s_waitcnt vmcnt(0) lgkmcnt(0)
	s_barrier
	buffer_gl0_inv
	s_clause 0x1
	global_load_b128 v[8:11], v[2:3], off
	global_load_b128 v[12:15], v[0:1], off
	v_cvt_f32_f16_e32 v0, v73
	v_cvt_f32_f16_e32 v1, v4
	v_cvt_f32_f16_e32 v2, v5
	v_cvt_f32_f16_e32 v3, v6
	s_delay_alu instid0(VALU_DEP_4) | instskip(NEXT) | instid1(VALU_DEP_4)
	v_add_f32_e32 v51, v51, v0
	v_dual_add_f32 v59, v59, v1 :: v_dual_add_f32 v52, v52, v0
	v_add_f32_e32 v60, v60, v1
	v_add_f32_e32 v54, v54, v0
	v_dual_add_f32 v53, v53, v0 :: v_dual_add_f32 v56, v56, v2
	v_add_f32_e32 v62, v62, v1
	v_dual_add_f32 v61, v61, v1 :: v_dual_add_f32 v64, v64, v3
	;; [unrolled: 2-line block ×3, first 2 shown]
	v_dual_add_f32 v57, v57, v2 :: v_dual_add_f32 v66, v66, v3
	v_dual_add_f32 v0, 0x40051340, v51 :: v_dual_add_f32 v1, 0x40051340, v52
	v_add_f32_e32 v2, 0x40051340, v59
	v_dual_add_f32 v65, v65, v3 :: v_dual_add_f32 v4, 0x40051340, v53
	v_add_f32_e32 v3, 0x40051340, v60
	v_dual_add_f32 v5, 0x40051340, v54 :: v_dual_add_f32 v6, 0x40051340, v61
	v_dual_add_f32 v7, 0x40051340, v62 :: v_dual_add_f32 v74, 0x40051340, v56
	;; [unrolled: 1-line block ×3, first 2 shown]
	v_max3_f32 v0, v50, v0, v2
	v_max3_f32 v1, v49, v1, v3
	;; [unrolled: 1-line block ×3, first 2 shown]
	v_dual_add_f32 v75, 0x40051340, v63 :: v_dual_add_f32 v78, 0x40051340, v58
	v_max3_f32 v4, v45, v74, v76
	ds_bpermute_b32 v74, v72, v0
	v_max3_f32 v2, v47, v5, v7
	v_dual_add_f32 v77, 0x40051340, v57 :: v_dual_add_f32 v80, 0x40051340, v66
	v_max3_f32 v5, v46, v73, v75
	ds_bpermute_b32 v73, v72, v1
	ds_bpermute_b32 v75, v72, v2
	v_add_f32_e32 v79, 0x40051340, v65
	v_max3_f32 v6, v43, v78, v80
	ds_bpermute_b32 v76, v72, v3
	ds_bpermute_b32 v78, v72, v5
	s_waitcnt lgkmcnt(4)
	v_max_f32_e32 v74, v74, v74
	v_max3_f32 v7, v44, v77, v79
	ds_bpermute_b32 v79, v72, v6
	ds_bpermute_b32 v77, v72, v4
	s_waitcnt lgkmcnt(5)
	v_max_f32_e32 v73, v73, v73
	ds_bpermute_b32 v72, v72, v7
	s_waitcnt lgkmcnt(5)
	v_dual_max_f32 v75, v75, v75 :: v_dual_max_f32 v0, v0, v74
	s_waitcnt lgkmcnt(4)
	v_max_f32_e32 v76, v76, v76
	s_waitcnt lgkmcnt(3)
	v_dual_max_f32 v78, v78, v78 :: v_dual_max_f32 v1, v1, v73
	v_max_f32_e32 v2, v2, v75
	ds_bpermute_b32 v73, v71, v0
	ds_bpermute_b32 v74, v71, v2
	s_waitcnt lgkmcnt(4)
	v_max_f32_e32 v79, v79, v79
	s_waitcnt lgkmcnt(3)
	v_max_f32_e32 v77, v77, v77
	s_waitcnt lgkmcnt(2)
	v_dual_max_f32 v5, v5, v78 :: v_dual_max_f32 v72, v72, v72
	v_dual_max_f32 v6, v6, v79 :: v_dual_max_f32 v3, v3, v76
	s_delay_alu instid0(VALU_DEP_3)
	v_max_f32_e32 v4, v4, v77
	ds_bpermute_b32 v77, v71, v5
	v_max_f32_e32 v7, v7, v72
	ds_bpermute_b32 v72, v71, v1
	ds_bpermute_b32 v75, v71, v3
	;; [unrolled: 1-line block ×4, first 2 shown]
	s_waitcnt lgkmcnt(5)
	v_dual_max_f32 v73, v73, v73 :: v_dual_max_f32 v74, v74, v74
	ds_bpermute_b32 v71, v71, v7
	v_max_f32_e32 v0, v0, v73
	v_max_f32_e32 v2, v2, v74
	ds_bpermute_b32 v73, v70, v2
	s_waitcnt lgkmcnt(5)
	v_dual_max_f32 v77, v77, v77 :: v_dual_max_f32 v72, v72, v72
	s_waitcnt lgkmcnt(3)
	v_dual_max_f32 v75, v75, v75 :: v_dual_max_f32 v76, v76, v76
	s_waitcnt lgkmcnt(2)
	s_delay_alu instid0(VALU_DEP_2)
	v_dual_max_f32 v78, v78, v78 :: v_dual_max_f32 v5, v5, v77
	v_max_f32_e32 v1, v1, v72
	s_waitcnt lgkmcnt(1)
	v_max_f32_e32 v71, v71, v71
	ds_bpermute_b32 v72, v70, v0
	v_dual_max_f32 v3, v3, v75 :: v_dual_max_f32 v4, v4, v76
	v_dual_max_f32 v6, v6, v78 :: v_dual_max_f32 v7, v7, v71
	ds_bpermute_b32 v71, v70, v1
	ds_bpermute_b32 v74, v70, v3
	;; [unrolled: 1-line block ×5, first 2 shown]
	s_waitcnt lgkmcnt(5)
	v_dual_max_f32 v73, v73, v73 :: v_dual_max_f32 v72, v72, v72
	ds_bpermute_b32 v70, v70, v7
	s_waitcnt lgkmcnt(4)
	v_dual_max_f32 v71, v71, v71 :: v_dual_max_f32 v74, v74, v74
	s_waitcnt lgkmcnt(2)
	v_dual_max_f32 v75, v75, v75 :: v_dual_max_f32 v76, v76, v76
	s_delay_alu instid0(VALU_DEP_2) | instskip(SKIP_2) | instid1(VALU_DEP_3)
	v_dual_max_f32 v2, v2, v73 :: v_dual_max_f32 v1, v1, v71
	s_waitcnt lgkmcnt(1)
	v_dual_max_f32 v77, v77, v77 :: v_dual_max_f32 v0, v0, v72
	v_max_f32_e32 v5, v5, v76
	ds_bpermute_b32 v72, v69, v2
	v_max_f32_e32 v6, v6, v77
	ds_bpermute_b32 v71, v69, v0
	s_waitcnt lgkmcnt(2)
	v_max_f32_e32 v70, v70, v70
	v_dual_max_f32 v3, v3, v74 :: v_dual_max_f32 v4, v4, v75
	ds_bpermute_b32 v75, v69, v5
	ds_bpermute_b32 v76, v69, v6
	v_max_f32_e32 v7, v7, v70
	ds_bpermute_b32 v70, v69, v1
	ds_bpermute_b32 v73, v69, v3
	;; [unrolled: 1-line block ×3, first 2 shown]
	s_waitcnt lgkmcnt(6)
	v_max_f32_e32 v72, v72, v72
	ds_bpermute_b32 v69, v69, v7
	s_waitcnt lgkmcnt(6)
	v_dual_max_f32 v71, v71, v71 :: v_dual_max_f32 v2, v2, v72
	s_delay_alu instid0(VALU_DEP_1)
	v_max_f32_e32 v0, v0, v71
	s_waitcnt lgkmcnt(4)
	v_dual_max_f32 v75, v75, v75 :: v_dual_max_f32 v76, v76, v76
	s_waitcnt lgkmcnt(2)
	v_dual_max_f32 v70, v70, v70 :: v_dual_max_f32 v73, v73, v73
	s_waitcnt lgkmcnt(1)
	s_delay_alu instid0(VALU_DEP_2)
	v_dual_max_f32 v74, v74, v74 :: v_dual_max_f32 v71, v5, v75
	ds_bpermute_b32 v5, v68, v0
	v_dual_max_f32 v1, v1, v70 :: v_dual_max_f32 v70, v3, v73
	s_waitcnt lgkmcnt(1)
	v_dual_max_f32 v69, v69, v69 :: v_dual_max_f32 v4, v4, v74
	ds_bpermute_b32 v3, v68, v1
	v_max_f32_e32 v6, v6, v76
	ds_bpermute_b32 v72, v68, v70
	v_max_f32_e32 v69, v7, v69
	ds_bpermute_b32 v7, v68, v2
	ds_bpermute_b32 v73, v68, v4
	;; [unrolled: 1-line block ×3, first 2 shown]
	s_waitcnt lgkmcnt(5)
	v_max_f32_e32 v5, v5, v5
	s_waitcnt lgkmcnt(4)
	v_max_f32_e32 v3, v3, v3
	ds_bpermute_b32 v75, v68, v6
	s_waitcnt lgkmcnt(4)
	v_max_f32_e32 v72, v72, v72
	ds_bpermute_b32 v68, v68, v69
	s_waitcnt lgkmcnt(4)
	v_max_f32_e32 v7, v7, v7
	v_dual_max_f32 v1, v1, v3 :: v_dual_max_f32 v0, v0, v5
	s_waitcnt lgkmcnt(2)
	v_dual_max_f32 v73, v73, v73 :: v_dual_max_f32 v74, v74, v74
	s_delay_alu instid0(VALU_DEP_3) | instskip(SKIP_3) | instid1(VALU_DEP_3)
	v_max_f32_e32 v3, v2, v7
	v_max_f32_e32 v2, v70, v72
	v_dual_sub_f32 v59, v59, v0 :: v_dual_sub_f32 v60, v60, v1
	v_dual_sub_f32 v51, v51, v0 :: v_dual_sub_f32 v52, v52, v1
	v_sub_f32_e32 v48, v48, v2
	v_dual_sub_f32 v50, v50, v0 :: v_dual_sub_f32 v49, v49, v1
	s_delay_alu instid0(VALU_DEP_3) | instskip(SKIP_1) | instid1(VALU_DEP_4)
	v_mul_f32_e32 v70, 0x3fb8aa3b, v51
	v_mul_f32_e32 v72, 0x3fb8aa3b, v60
	;; [unrolled: 1-line block ×3, first 2 shown]
	s_waitcnt lgkmcnt(1)
	v_max_f32_e32 v75, v75, v75
	v_cmp_ngt_f32_e64 s2, 0xc2ce8ed0, v51
	s_waitcnt lgkmcnt(0)
	v_max_f32_e32 v68, v68, v68
	v_dual_max_f32 v5, v4, v73 :: v_dual_max_f32 v4, v71, v74
	v_max_f32_e32 v7, v6, v75
	v_dual_sub_f32 v61, v61, v2 :: v_dual_sub_f32 v54, v54, v3
	s_delay_alu instid0(VALU_DEP_4)
	v_max_f32_e32 v6, v69, v68
	v_dual_sub_f32 v53, v53, v2 :: v_dual_sub_f32 v62, v62, v3
	v_dual_mul_f32 v68, 0x3fb8aa3b, v59 :: v_dual_mul_f32 v69, 0x3fb8aa3b, v52
	v_dual_sub_f32 v47, v47, v3 :: v_dual_sub_f32 v46, v46, v4
	v_dual_sub_f32 v63, v63, v4 :: v_dual_sub_f32 v56, v56, v5
	;; [unrolled: 1-line block ×3, first 2 shown]
	v_sub_f32_e32 v43, v43, v7
	v_dual_mul_f32 v71, 0x3fb8aa3b, v50 :: v_dual_mul_f32 v74, 0x3fb8aa3b, v61
	v_dual_mul_f32 v75, 0x3fb8aa3b, v54 :: v_dual_mul_f32 v76, 0x3fb8aa3b, v53
	v_fma_f32 v92, 0x3fb8aa3b, v59, -v68
	v_rndne_f32_e32 v93, v68
	v_fma_f32 v94, 0x3fb8aa3b, v52, -v69
	v_fma_f32 v96, 0x3fb8aa3b, v51, -v70
	v_rndne_f32_e32 v97, v70
	v_dual_sub_f32 v55, v55, v4 :: v_dual_sub_f32 v64, v64, v5
	v_dual_sub_f32 v45, v45, v5 :: v_dual_sub_f32 v44, v44, v6
	v_dual_mul_f32 v73, 0x3fb8aa3b, v49 :: v_dual_mul_f32 v78, 0x3fb8aa3b, v62
	s_delay_alu instid0(VALU_DEP_3) | instskip(SKIP_1) | instid1(VALU_DEP_4)
	v_dual_mul_f32 v79, 0x3fb8aa3b, v47 :: v_dual_mul_f32 v84, 0x3fb8aa3b, v64
	v_dual_mul_f32 v80, 0x3fb8aa3b, v63 :: v_dual_mul_f32 v81, 0x3fb8aa3b, v56
	;; [unrolled: 1-line block ×3, first 2 shown]
	v_cmp_ngt_f32_e64 s48, 0xc2ce8ed0, v59
	v_cmp_nlt_f32_e64 s26, 0x42b17218, v51
	v_cmp_nlt_f32_e64 s50, 0x42b17218, v59
	v_rndne_f32_e32 v95, v69
	v_fma_f32 v98, 0x3fb8aa3b, v50, -v71
	v_rndne_f32_e32 v99, v71
	v_fma_f32 v100, 0x3fb8aa3b, v60, -v72
	v_rndne_f32_e32 v101, v72
	v_mul_f32_e32 v91, 0x3fb8aa3b, v43
	v_fma_f32 v104, 0x3fb8aa3b, v61, -v74
	v_rndne_f32_e32 v105, v74
	v_fma_f32 v108, 0x3fb8aa3b, v53, -v76
	v_rndne_f32_e32 v109, v76
	;; [unrolled: 2-line block ×3, first 2 shown]
	v_dual_fmac_f32 v92, 0x32a5705f, v59 :: v_dual_sub_f32 v59, v68, v93
	v_fmac_f32_e32 v94, 0x32a5705f, v52
	v_dual_fmac_f32 v96, 0x32a5705f, v51 :: v_dual_sub_f32 v51, v70, v97
	v_dual_mul_f32 v85, 0x3fb8aa3b, v45 :: v_dual_mul_f32 v90, 0x3fb8aa3b, v66
	v_cmp_ngt_f32_e32 vcc_lo, 0xc2ce8ed0, v52
	v_cmp_ngt_f32_e64 s3, 0xc2ce8ed0, v50
	v_cmp_ngt_f32_e64 s4, 0xc2ce8ed0, v60
	;; [unrolled: 1-line block ×5, first 2 shown]
	v_cmp_nlt_f32_e64 s25, 0x42b17218, v52
	v_cmp_nlt_f32_e64 s27, 0x42b17218, v50
	;; [unrolled: 1-line block ×6, first 2 shown]
	v_fma_f32 v102, 0x3fb8aa3b, v49, -v73
	v_rndne_f32_e32 v103, v73
	v_fma_f32 v112, 0x3fb8aa3b, v62, -v78
	v_fma_f32 v114, 0x3fb8aa3b, v47, -v79
	v_rndne_f32_e32 v115, v79
	v_fma_f32 v116, 0x3fb8aa3b, v63, -v80
	v_rndne_f32_e32 v117, v80
	v_rndne_f32_e32 v133, v88
	v_sub_f32_e32 v52, v69, v95
	v_fmac_f32_e32 v98, 0x32a5705f, v50
	v_sub_f32_e32 v50, v71, v99
	v_fmac_f32_e32 v100, 0x32a5705f, v60
	v_sub_f32_e32 v60, v72, v101
	v_fma_f32 v138, 0x3fb8aa3b, v43, -v91
	v_rndne_f32_e32 v139, v91
	v_fmac_f32_e32 v104, 0x32a5705f, v61
	v_sub_f32_e32 v61, v74, v105
	v_dual_fmac_f32 v108, 0x32a5705f, v53 :: v_dual_add_f32 v59, v59, v92
	v_dual_sub_f32 v53, v76, v109 :: v_dual_fmac_f32 v110, 0x32a5705f, v48
	v_dual_sub_f32 v48, v77, v111 :: v_dual_add_f32 v51, v51, v96
	v_cmp_ngt_f32_e64 s5, 0xc2ce8ed0, v49
	v_cmp_ngt_f32_e64 s11, 0xc2ce8ed0, v47
	;; [unrolled: 1-line block ×4, first 2 shown]
	v_cmp_nlt_f32_e64 s29, 0x42b17218, v49
	v_cmp_nlt_f32_e64 s36, 0x42b17218, v47
	;; [unrolled: 1-line block ×4, first 2 shown]
	v_rndne_f32_e32 v127, v85
	v_dual_fmac_f32 v102, 0x32a5705f, v49 :: v_dual_sub_f32 v49, v73, v103
	v_dual_fmac_f32 v114, 0x32a5705f, v47 :: v_dual_add_f32 v53, v53, v108
	v_sub_f32_e32 v47, v79, v115
	v_dual_fmac_f32 v116, 0x32a5705f, v63 :: v_dual_sub_f32 v63, v80, v117
	v_fmac_f32_e32 v138, 0x32a5705f, v43
	v_sub_f32_e32 v43, v91, v139
	s_delay_alu instid0(VALU_DEP_4)
	v_add_f32_e32 v47, v47, v114
	v_dual_fmac_f32 v112, 0x32a5705f, v62 :: v_dual_add_f32 v61, v61, v104
	v_add_f32_e32 v50, v50, v98
	v_exp_f32_e32 v59, v59
	v_exp_f32_e32 v51, v51
	v_cvt_i32_f32_e32 v68, v93
	v_cvt_i32_f32_e32 v70, v97
	v_exp_f32_e32 v50, v50
	v_exp_f32_e32 v61, v61
	;; [unrolled: 1-line block ×3, first 2 shown]
	v_cvt_i32_f32_e32 v71, v99
	v_cvt_i32_f32_e32 v74, v105
	;; [unrolled: 1-line block ×3, first 2 shown]
	v_ldexp_f32 v59, v59, v68
	v_ldexp_f32 v51, v51, v70
	v_dual_sub_f32 v65, v65, v6 :: v_dual_sub_f32 v58, v58, v7
	s_delay_alu instid0(TRANS32_DEP_3) | instskip(NEXT) | instid1(TRANS32_DEP_2)
	v_ldexp_f32 v50, v50, v71
	v_ldexp_f32 v61, v61, v74
	s_delay_alu instid0(TRANS32_DEP_1)
	v_ldexp_f32 v53, v53, v76
	v_cndmask_b32_e64 v59, 0, v59, s48
	v_cndmask_b32_e64 v51, 0, v51, s2
	v_dual_mul_f32 v82, 0x3fb8aa3b, v55 :: v_dual_mul_f32 v83, 0x3fb8aa3b, v46
	v_dual_mul_f32 v86, 0x3fb8aa3b, v65 :: v_dual_mul_f32 v87, 0x3fb8aa3b, v58
	v_fma_f32 v124, 0x3fb8aa3b, v64, -v84
	v_rndne_f32_e32 v125, v84
	v_cndmask_b32_e64 v50, 0, v50, s3
	v_cndmask_b32_e64 v61, 0, v61, s6
	;; [unrolled: 1-line block ×5, first 2 shown]
	v_cmp_ngt_f32_e64 s17, 0xc2ce8ed0, v64
	v_cmp_nlt_f32_e64 s41, 0x42b17218, v64
	v_fma_f32 v106, 0x3fb8aa3b, v54, -v75
	v_rndne_f32_e32 v107, v75
	v_fma_f32 v120, 0x3fb8aa3b, v55, -v82
	v_rndne_f32_e32 v121, v82
	;; [unrolled: 2-line block ×3, first 2 shown]
	v_fma_f32 v130, 0x3fb8aa3b, v58, -v87
	v_fma_f32 v132, 0x3fb8aa3b, v57, -v88
	v_dual_fmac_f32 v124, 0x32a5705f, v64 :: v_dual_add_f32 v43, v43, v138
	v_dual_sub_f32 v64, v84, v125 :: v_dual_add_f32 v215, v51, v59
	v_cndmask_b32_e64 v50, 0x7f800000, v50, s27
	v_cndmask_b32_e64 v61, 0x7f800000, v61, s30
	;; [unrolled: 1-line block ×3, first 2 shown]
	v_cmp_ngt_f32_e64 s7, 0xc2ce8ed0, v54
	v_cmp_ngt_f32_e64 s15, 0xc2ce8ed0, v55
	;; [unrolled: 1-line block ×4, first 2 shown]
	v_cmp_nlt_f32_e64 s31, 0x42b17218, v54
	v_cmp_nlt_f32_e64 s39, 0x42b17218, v55
	;; [unrolled: 1-line block ×4, first 2 shown]
	v_fma_f32 v122, 0x3fb8aa3b, v46, -v83
	v_fmac_f32_e32 v106, 0x32a5705f, v54
	v_sub_f32_e32 v54, v75, v107
	v_dual_fmac_f32 v128, 0x32a5705f, v65 :: v_dual_fmac_f32 v215, v42, v50
	v_dual_sub_f32 v65, v86, v129 :: v_dual_fmac_f32 v120, 0x32a5705f, v55
	v_dual_sub_f32 v55, v82, v121 :: v_dual_fmac_f32 v130, 0x32a5705f, v58
	v_add_f32_e32 v217, v53, v61
	v_fmac_f32_e32 v132, 0x32a5705f, v57
	v_sub_f32_e32 v57, v88, v133
	v_dual_add_f32 v48, v48, v110 :: v_dual_add_f32 v65, v65, v128
	v_dual_fmac_f32 v122, 0x32a5705f, v46 :: v_dual_add_f32 v55, v55, v120
	v_cvt_i32_f32_e32 v77, v111
	s_delay_alu instid0(VALU_DEP_3)
	v_exp_f32_e32 v48, v48
	v_cvt_i32_f32_e32 v82, v121
	v_fma_f32 v118, 0x3fb8aa3b, v56, -v81
	v_exp_f32_e32 v55, v55
	v_rndne_f32_e32 v119, v81
	v_rndne_f32_e32 v123, v83
	v_fma_f32 v126, 0x3fb8aa3b, v45, -v85
	v_cmp_ngt_f32_e64 s13, 0xc2ce8ed0, v56
	v_cmp_ngt_f32_e64 s16, 0xc2ce8ed0, v46
	;; [unrolled: 1-line block ×3, first 2 shown]
	v_ldexp_f32 v48, v48, v77
	v_cmp_nlt_f32_e64 s38, 0x42b17218, v56
	v_cmp_nlt_f32_e64 s40, 0x42b17218, v46
	v_ldexp_f32 v55, v55, v82
	v_cmp_nlt_f32_e64 s42, 0x42b17218, v45
	v_cndmask_b32_e64 v48, 0, v48, s9
	v_add_f32_e32 v63, v63, v116
	v_cvt_i32_f32_e32 v80, v117
	v_cndmask_b32_e64 v55, 0, v55, s15
	v_fma_f32 v134, 0x3fb8aa3b, v44, -v89
	v_cndmask_b32_e64 v48, 0x7f800000, v48, s34
	v_exp_f32_e32 v63, v63
	v_rndne_f32_e32 v135, v89
	v_cndmask_b32_e64 v55, 0x7f800000, v55, s39
	v_dual_fmac_f32 v126, 0x32a5705f, v45 :: v_dual_sub_f32 v45, v85, v127
	v_fmac_f32_e32 v118, 0x32a5705f, v56
	v_dual_sub_f32 v56, v81, v119 :: v_dual_fmac_f32 v217, v24, v48
	v_dual_sub_f32 v46, v83, v123 :: v_dual_add_f32 v57, v57, v132
	v_cvt_i32_f32_e32 v83, v123
	s_delay_alu instid0(TRANS32_DEP_1) | instskip(SKIP_1) | instid1(VALU_DEP_4)
	v_ldexp_f32 v63, v63, v80
	v_cmp_ngt_f32_e64 s22, 0xc2ce8ed0, v44
	v_add_f32_e32 v46, v46, v122
	v_cmp_nlt_f32_e64 s46, 0x42b17218, v44
	v_exp_f32_e32 v65, v65
	v_cndmask_b32_e64 v63, 0, v63, s12
	v_exp_f32_e32 v57, v57
	v_exp_f32_e32 v46, v46
	v_cvt_i32_f32_e32 v86, v129
	v_cvt_i32_f32_e32 v88, v133
	v_cndmask_b32_e64 v63, 0x7f800000, v63, s37
	v_rndne_f32_e32 v113, v78
	v_rndne_f32_e32 v131, v87
	v_fma_f32 v136, 0x3fb8aa3b, v66, -v90
	v_ldexp_f32 v65, v65, v86
	v_add_f32_e32 v219, v55, v63
	v_ldexp_f32 v57, v57, v88
	v_ldexp_f32 v46, v46, v83
	v_rndne_f32_e32 v137, v90
	v_cndmask_b32_e64 v65, 0, v65, s19
	v_cmp_ngt_f32_e64 s10, 0xc2ce8ed0, v62
	v_cndmask_b32_e64 v57, 0, v57, s21
	v_cndmask_b32_e64 v46, 0, v46, s16
	v_cmp_ngt_f32_e64 s20, 0xc2ce8ed0, v58
	v_cndmask_b32_e64 v65, 0x7f800000, v65, s43
	v_cmp_nlt_f32_e64 s35, 0x42b17218, v62
	v_cndmask_b32_e64 v57, 0x7f800000, v57, s45
	v_cndmask_b32_e64 v46, 0x7f800000, v46, s40
	v_fmac_f32_e32 v134, 0x32a5705f, v44
	v_sub_f32_e32 v44, v89, v135
	v_cvt_i32_f32_e32 v89, v135
	v_cmp_nlt_f32_e64 s44, 0x42b17218, v58
	v_fmac_f32_e32 v219, v22, v46
	v_dual_sub_f32 v62, v78, v113 :: v_dual_add_f32 v49, v49, v102
	v_add_f32_e32 v44, v44, v134
	v_dual_sub_f32 v58, v87, v131 :: v_dual_add_f32 v221, v57, v65
	v_cmp_ngt_f32_e64 s23, 0xc2ce8ed0, v66
	v_cmp_nlt_f32_e64 s47, 0x42b17218, v66
	s_delay_alu instid0(VALU_DEP_4)
	v_exp_f32_e32 v44, v44
	v_add_f32_e32 v52, v52, v94
	v_add_f32_e32 v54, v54, v106
	;; [unrolled: 1-line block ×3, first 2 shown]
	v_dual_add_f32 v64, v64, v124 :: v_dual_add_f32 v45, v45, v126
	v_add_f32_e32 v56, v56, v118
	v_add_f32_e32 v58, v58, v130
	;; [unrolled: 1-line block ×3, first 2 shown]
	v_exp_f32_e32 v52, v52
	s_delay_alu instid0(TRANS32_DEP_2)
	v_ldexp_f32 v44, v44, v89
	v_exp_f32_e32 v54, v54
	v_exp_f32_e32 v62, v62
	;; [unrolled: 1-line block ×4, first 2 shown]
	v_cndmask_b32_e64 v44, 0, v44, s22
	v_exp_f32_e32 v58, v58
	v_exp_f32_e32 v60, v60
	;; [unrolled: 1-line block ×4, first 2 shown]
	v_cndmask_b32_e64 v44, 0x7f800000, v44, s46
	v_fmac_f32_e32 v136, 0x32a5705f, v66
	v_sub_f32_e32 v66, v90, v137
	v_exp_f32_e32 v45, v45
	v_exp_f32_e32 v43, v43
	v_fmac_f32_e32 v221, v20, v44
	v_cvt_i32_f32_e32 v69, v95
	v_add_f32_e32 v66, v66, v136
	v_cvt_i32_f32_e32 v75, v107
	v_cvt_i32_f32_e32 v78, v113
	;; [unrolled: 1-line block ×4, first 2 shown]
	v_exp_f32_e32 v66, v66
	v_cvt_i32_f32_e32 v87, v131
	v_cvt_i32_f32_e32 v72, v101
	;; [unrolled: 1-line block ×7, first 2 shown]
	v_ldexp_f32 v52, v52, v69
	v_ldexp_f32 v54, v54, v75
	;; [unrolled: 1-line block ×12, first 2 shown]
	v_cndmask_b32_e32 v52, 0, v52, vcc_lo
	v_cndmask_b32_e64 v54, 0, v54, s7
	v_cndmask_b32_e64 v62, 0, v62, s10
	;; [unrolled: 1-line block ×23, first 2 shown]
	v_cvt_f16_f32_e32 v69, v52
	v_cvt_f16_f32_e32 v51, v51
	;; [unrolled: 1-line block ×4, first 2 shown]
	v_add_f32_e32 v218, v54, v62
	v_cvt_f16_f32_e32 v73, v56
	v_cvt_f16_f32_e32 v55, v55
	v_add_f32_e32 v220, v56, v64
	v_cvt_f16_f32_e32 v75, v58
	v_cvt_f16_f32_e32 v57, v57
	;; [unrolled: 1-line block ×4, first 2 shown]
	v_add_f32_e32 v216, v52, v60
	v_cvt_f16_f32_e32 v52, v60
	v_cvt_f16_f32_e32 v60, v49
	;; [unrolled: 1-line block ×12, first 2 shown]
	v_add_f32_e32 v214, v58, v66
	v_cvt_f16_f32_e32 v58, v66
	v_cvt_f16_f32_e32 v66, v43
	v_fmac_f32_e32 v218, v23, v47
	v_fmac_f32_e32 v220, v21, v45
	v_pack_b32_f16 v23, v57, v75
	v_pack_b32_f16 v22, v55, v73
	;; [unrolled: 1-line block ×4, first 2 shown]
	v_pk_mul_f16 v222, v68, v40 op_sel_hi:[0,1]
	v_pk_mul_f16 v223, v68, v41 op_sel_hi:[0,1]
	;; [unrolled: 1-line block ×14, first 2 shown]
	v_pack_b32_f16 v31, v65, v58
	v_pack_b32_f16 v30, v63, v56
	;; [unrolled: 1-line block ×4, first 2 shown]
	v_pk_mul_f16 v236, v66, v27 op_sel_hi:[0,1]
	v_pk_mul_f16 v237, v66, v26 op_sel_hi:[0,1]
	v_fmac_f32_e32 v216, v25, v49
	v_fmac_f32_e32 v214, v67, v43
	ds_store_b128 v209, v[20:23]
	ds_store_b128 v209, v[28:31] offset:512
	s_waitcnt vmcnt(1)
	ds_store_b128 v205, v[8:11]
	s_waitcnt vmcnt(0)
	ds_store_b128 v206, v[12:15]
	s_waitcnt lgkmcnt(0)
	s_barrier
	buffer_gl0_inv
	ds_load_2addr_b64 v[8:11], v207 offset1:32
	ds_load_b128 v[12:15], v204
	ds_load_b128 v[20:23], v204 offset:16
	ds_load_b128 v[24:27], v204 offset:32
	;; [unrolled: 1-line block ×3, first 2 shown]
	ds_load_2addr_b64 v[32:35], v207 offset0:64 offset1:96
	ds_load_2addr_b64 v[36:39], v207 offset0:128 offset1:160
	ds_load_b128 v[40:43], v204 offset:64
	ds_load_b128 v[44:47], v204 offset:80
	ds_load_2addr_b64 v[48:51], v207 offset0:192 offset1:224
	ds_load_b128 v[52:55], v204 offset:96
	ds_load_b128 v[56:59], v204 offset:112
	ds_load_2addr_b64 v[60:63], v211 offset1:32
	ds_load_b128 v[64:67], v204 offset:128
	ds_load_b128 v[68:71], v204 offset:144
	ds_load_2addr_b64 v[72:75], v211 offset0:64 offset1:96
	ds_load_b128 v[76:79], v204 offset:160
	ds_load_b128 v[80:83], v204 offset:176
	ds_load_2addr_b64 v[84:87], v211 offset0:128 offset1:160
	;; [unrolled: 3-line block ×3, first 2 shown]
	ds_load_b128 v[100:103], v204 offset:224
	ds_load_b128 v[104:107], v204 offset:240
	ds_load_2addr_b64 v[108:111], v212 offset1:32
	ds_load_b128 v[112:115], v204 offset:256
	ds_load_b128 v[116:119], v204 offset:272
	ds_load_2addr_b64 v[120:123], v212 offset0:64 offset1:96
	ds_load_b128 v[124:127], v204 offset:288
	ds_load_b128 v[128:131], v204 offset:304
	ds_load_2addr_b64 v[132:135], v212 offset0:128 offset1:160
	;; [unrolled: 3-line block ×3, first 2 shown]
	ds_load_b128 v[148:151], v204 offset:352
	ds_load_b128 v[152:155], v204 offset:368
	ds_load_2addr_b64 v[156:159], v213 offset1:32
	ds_load_b128 v[160:163], v204 offset:384
	ds_load_b128 v[164:167], v204 offset:400
	ds_load_2addr_b64 v[168:171], v213 offset0:64 offset1:96
	s_waitcnt lgkmcnt(38)
	v_pk_fma_f16 v222, v8, v12, v222 op_sel_hi:[1,0,1]
	v_pk_fma_f16 v224, v8, v12, v224 op_sel:[0,1,0]
	v_pk_fma_f16 v226, v8, v13, v226 op_sel_hi:[1,0,1]
	v_pk_fma_f16 v228, v8, v13, v228 op_sel:[0,1,0]
	v_pk_fma_f16 v230, v8, v14, v230 op_sel_hi:[1,0,1]
	v_pk_fma_f16 v232, v8, v14, v232 op_sel:[0,1,0]
	v_pk_fma_f16 v234, v8, v15, v234 op_sel_hi:[1,0,1]
	v_pk_fma_f16 v8, v8, v15, v236 op_sel:[0,1,0]
	v_pk_fma_f16 v223, v9, v12, v223 op_sel_hi:[1,0,1]
	v_pk_fma_f16 v225, v9, v12, v225 op_sel:[0,1,0]
	v_pk_fma_f16 v227, v9, v13, v227 op_sel_hi:[1,0,1]
	v_pk_fma_f16 v229, v9, v13, v229 op_sel:[0,1,0]
	v_pk_fma_f16 v231, v9, v14, v231 op_sel_hi:[1,0,1]
	v_pk_fma_f16 v233, v9, v14, v233 op_sel:[0,1,0]
	v_pk_fma_f16 v235, v9, v15, v235 op_sel_hi:[1,0,1]
	v_pk_fma_f16 v9, v9, v15, v237 op_sel:[0,1,0]
	s_waitcnt lgkmcnt(37)
	v_pk_fma_f16 v222, v10, v20, v222 op_sel_hi:[1,0,1]
	v_pk_fma_f16 v224, v10, v20, v224 op_sel:[0,1,0]
	v_pk_fma_f16 v226, v10, v21, v226 op_sel_hi:[1,0,1]
	v_pk_fma_f16 v228, v10, v21, v228 op_sel:[0,1,0]
	v_pk_fma_f16 v230, v10, v22, v230 op_sel_hi:[1,0,1]
	v_pk_fma_f16 v232, v10, v22, v232 op_sel:[0,1,0]
	v_pk_fma_f16 v234, v10, v23, v234 op_sel_hi:[1,0,1]
	v_pk_fma_f16 v236, v10, v23, v8 op_sel:[0,1,0]
	v_pk_fma_f16 v223, v11, v20, v223 op_sel_hi:[1,0,1]
	v_pk_fma_f16 v225, v11, v20, v225 op_sel:[0,1,0]
	v_pk_fma_f16 v227, v11, v21, v227 op_sel_hi:[1,0,1]
	v_pk_fma_f16 v229, v11, v21, v229 op_sel:[0,1,0]
	v_pk_fma_f16 v231, v11, v22, v231 op_sel_hi:[1,0,1]
	v_pk_fma_f16 v233, v11, v22, v233 op_sel:[0,1,0]
	v_pk_fma_f16 v235, v11, v23, v235 op_sel_hi:[1,0,1]
	v_pk_fma_f16 v237, v11, v23, v9 op_sel:[0,1,0]
	;; [unrolled: 17-line block ×3, first 2 shown]
	v_pk_fma_f16 v222, v34, v28, v222 op_sel_hi:[1,0,1]
	v_pk_fma_f16 v224, v34, v28, v224 op_sel:[0,1,0]
	v_pk_fma_f16 v226, v34, v29, v226 op_sel_hi:[1,0,1]
	v_pk_fma_f16 v228, v34, v29, v228 op_sel:[0,1,0]
	;; [unrolled: 2-line block ×8, first 2 shown]
	s_waitcnt lgkmcnt(32)
	v_pk_fma_f16 v222, v36, v40, v222 op_sel_hi:[1,0,1]
	v_pk_fma_f16 v224, v36, v40, v224 op_sel:[0,1,0]
	v_pk_fma_f16 v226, v36, v41, v226 op_sel_hi:[1,0,1]
	v_pk_fma_f16 v228, v36, v41, v228 op_sel:[0,1,0]
	;; [unrolled: 2-line block ×8, first 2 shown]
	ds_load_b128 v[12:15], v204 offset:416
	ds_load_b128 v[8:11], v204 offset:432
	ds_load_2addr_b64 v[20:23], v213 offset0:128 offset1:160
	ds_load_b128 v[24:27], v204 offset:448
	ds_load_b128 v[28:31], v204 offset:464
	ds_load_2addr_b64 v[32:35], v213 offset0:192 offset1:224
	ds_load_b128 v[40:43], v204 offset:480
	s_waitcnt lgkmcnt(38)
	v_pk_fma_f16 v222, v38, v44, v222 op_sel_hi:[1,0,1]
	v_pk_fma_f16 v224, v38, v44, v224 op_sel:[0,1,0]
	v_pk_fma_f16 v226, v38, v45, v226 op_sel_hi:[1,0,1]
	v_pk_fma_f16 v228, v38, v45, v228 op_sel:[0,1,0]
	;; [unrolled: 2-line block ×8, first 2 shown]
	ds_load_b128 v[36:39], v204 offset:496
	s_waitcnt lgkmcnt(0)
	s_barrier
	buffer_gl0_inv
	s_clause 0x1
	global_load_b128 v[44:47], v[18:19], off
	global_load_b128 v[16:19], v[16:17], off
	v_pk_fma_f16 v222, v48, v52, v222 op_sel_hi:[1,0,1]
	v_pk_fma_f16 v224, v48, v52, v224 op_sel:[0,1,0]
	v_pk_fma_f16 v226, v48, v53, v226 op_sel_hi:[1,0,1]
	v_pk_fma_f16 v228, v48, v53, v228 op_sel:[0,1,0]
	v_pk_fma_f16 v230, v48, v54, v230 op_sel_hi:[1,0,1]
	v_pk_fma_f16 v232, v48, v54, v232 op_sel:[0,1,0]
	v_pk_fma_f16 v234, v48, v55, v234 op_sel_hi:[1,0,1]
	v_pk_fma_f16 v48, v48, v55, v236 op_sel:[0,1,0]
	v_pk_fma_f16 v223, v49, v52, v223 op_sel_hi:[1,0,1]
	v_pk_fma_f16 v52, v49, v52, v225 op_sel:[0,1,0]
	v_pk_fma_f16 v225, v49, v53, v227 op_sel_hi:[1,0,1]
	v_pk_fma_f16 v53, v49, v53, v229 op_sel:[0,1,0]
	v_pk_fma_f16 v227, v49, v54, v231 op_sel_hi:[1,0,1]
	v_pk_fma_f16 v54, v49, v54, v233 op_sel:[0,1,0]
	v_pk_fma_f16 v229, v49, v55, v235 op_sel_hi:[1,0,1]
	v_pk_fma_f16 v49, v49, v55, v237 op_sel:[0,1,0]
	v_pk_fma_f16 v55, v50, v56, v222 op_sel_hi:[1,0,1]
	v_pk_fma_f16 v222, v50, v56, v224 op_sel:[0,1,0]
	v_pk_fma_f16 v224, v50, v57, v226 op_sel_hi:[1,0,1]
	v_pk_fma_f16 v226, v50, v57, v228 op_sel:[0,1,0]
	v_pk_fma_f16 v228, v50, v58, v230 op_sel_hi:[1,0,1]
	v_pk_fma_f16 v230, v50, v58, v232 op_sel:[0,1,0]
	v_pk_fma_f16 v231, v50, v59, v234 op_sel_hi:[1,0,1]
	v_pk_fma_f16 v48, v50, v59, v48 op_sel:[0,1,0]
	v_pk_fma_f16 v50, v51, v56, v223 op_sel_hi:[1,0,1]
	v_pk_fma_f16 v52, v51, v56, v52 op_sel:[0,1,0]
	v_pk_fma_f16 v56, v51, v57, v225 op_sel_hi:[1,0,1]
	v_pk_fma_f16 v53, v51, v57, v53 op_sel:[0,1,0]
	v_pk_fma_f16 v57, v51, v58, v227 op_sel_hi:[1,0,1]
	v_pk_fma_f16 v54, v51, v58, v54 op_sel:[0,1,0]
	v_pk_fma_f16 v58, v51, v59, v229 op_sel_hi:[1,0,1]
	v_pk_fma_f16 v49, v51, v59, v49 op_sel:[0,1,0]
	v_pk_fma_f16 v51, v60, v64, v55 op_sel_hi:[1,0,1]
	v_pk_fma_f16 v55, v60, v64, v222 op_sel:[0,1,0]
	v_pk_fma_f16 v59, v60, v65, v224 op_sel_hi:[1,0,1]
	v_pk_fma_f16 v222, v60, v65, v226 op_sel:[0,1,0]
	v_pk_fma_f16 v223, v60, v66, v228 op_sel_hi:[1,0,1]
	v_pk_fma_f16 v224, v60, v66, v230 op_sel:[0,1,0]
	v_pk_fma_f16 v225, v60, v67, v231 op_sel_hi:[1,0,1]
	v_pk_fma_f16 v48, v60, v67, v48 op_sel:[0,1,0]
	v_pk_fma_f16 v50, v61, v64, v50 op_sel_hi:[1,0,1]
	v_pk_fma_f16 v52, v61, v64, v52 op_sel:[0,1,0]
	v_pk_fma_f16 v56, v61, v65, v56 op_sel_hi:[1,0,1]
	v_pk_fma_f16 v53, v61, v65, v53 op_sel:[0,1,0]
	v_pk_fma_f16 v57, v61, v66, v57 op_sel_hi:[1,0,1]
	v_pk_fma_f16 v54, v61, v66, v54 op_sel:[0,1,0]
	v_pk_fma_f16 v58, v61, v67, v58 op_sel_hi:[1,0,1]
	v_pk_fma_f16 v49, v61, v67, v49 op_sel:[0,1,0]
	v_pk_fma_f16 v51, v62, v68, v51 op_sel_hi:[1,0,1]
	v_pk_fma_f16 v55, v62, v68, v55 op_sel:[0,1,0]
	v_pk_fma_f16 v59, v62, v69, v59 op_sel_hi:[1,0,1]
	v_pk_fma_f16 v60, v62, v69, v222 op_sel:[0,1,0]
	v_pk_fma_f16 v61, v62, v70, v223 op_sel_hi:[1,0,1]
	v_pk_fma_f16 v64, v62, v70, v224 op_sel:[0,1,0]
	v_pk_fma_f16 v65, v62, v71, v225 op_sel_hi:[1,0,1]
	v_pk_fma_f16 v48, v62, v71, v48 op_sel:[0,1,0]
	v_pk_fma_f16 v50, v63, v68, v50 op_sel_hi:[1,0,1]
	v_pk_fma_f16 v52, v63, v68, v52 op_sel:[0,1,0]
	v_pk_fma_f16 v56, v63, v69, v56 op_sel_hi:[1,0,1]
	v_pk_fma_f16 v53, v63, v69, v53 op_sel:[0,1,0]
	v_pk_fma_f16 v57, v63, v70, v57 op_sel_hi:[1,0,1]
	v_pk_fma_f16 v54, v63, v70, v54 op_sel:[0,1,0]
	v_pk_fma_f16 v58, v63, v71, v58 op_sel_hi:[1,0,1]
	v_pk_fma_f16 v49, v63, v71, v49 op_sel:[0,1,0]
	v_pk_fma_f16 v51, v72, v76, v51 op_sel_hi:[1,0,1]
	v_pk_fma_f16 v55, v72, v76, v55 op_sel:[0,1,0]
	v_pk_fma_f16 v59, v72, v77, v59 op_sel_hi:[1,0,1]
	v_pk_fma_f16 v60, v72, v77, v60 op_sel:[0,1,0]
	v_pk_fma_f16 v61, v72, v78, v61 op_sel_hi:[1,0,1]
	v_pk_fma_f16 v62, v72, v78, v64 op_sel:[0,1,0]
	v_pk_fma_f16 v63, v72, v79, v65 op_sel_hi:[1,0,1]
	v_pk_fma_f16 v48, v72, v79, v48 op_sel:[0,1,0]
	v_pk_fma_f16 v50, v73, v76, v50 op_sel_hi:[1,0,1]
	v_pk_fma_f16 v52, v73, v76, v52 op_sel:[0,1,0]
	v_pk_fma_f16 v56, v73, v77, v56 op_sel_hi:[1,0,1]
	v_pk_fma_f16 v53, v73, v77, v53 op_sel:[0,1,0]
	v_pk_fma_f16 v57, v73, v78, v57 op_sel_hi:[1,0,1]
	v_pk_fma_f16 v54, v73, v78, v54 op_sel:[0,1,0]
	v_pk_fma_f16 v58, v73, v79, v58 op_sel_hi:[1,0,1]
	v_pk_fma_f16 v49, v73, v79, v49 op_sel:[0,1,0]
	v_pk_fma_f16 v51, v74, v80, v51 op_sel_hi:[1,0,1]
	v_pk_fma_f16 v55, v74, v80, v55 op_sel:[0,1,0]
	v_pk_fma_f16 v59, v74, v81, v59 op_sel_hi:[1,0,1]
	v_pk_fma_f16 v60, v74, v81, v60 op_sel:[0,1,0]
	v_pk_fma_f16 v61, v74, v82, v61 op_sel_hi:[1,0,1]
	v_pk_fma_f16 v62, v74, v82, v62 op_sel:[0,1,0]
	v_pk_fma_f16 v63, v74, v83, v63 op_sel_hi:[1,0,1]
	v_pk_fma_f16 v48, v74, v83, v48 op_sel:[0,1,0]
	v_pk_fma_f16 v50, v75, v80, v50 op_sel_hi:[1,0,1]
	v_pk_fma_f16 v52, v75, v80, v52 op_sel:[0,1,0]
	v_pk_fma_f16 v56, v75, v81, v56 op_sel_hi:[1,0,1]
	v_pk_fma_f16 v53, v75, v81, v53 op_sel:[0,1,0]
	v_pk_fma_f16 v57, v75, v82, v57 op_sel_hi:[1,0,1]
	v_pk_fma_f16 v54, v75, v82, v54 op_sel:[0,1,0]
	v_pk_fma_f16 v58, v75, v83, v58 op_sel_hi:[1,0,1]
	v_pk_fma_f16 v49, v75, v83, v49 op_sel:[0,1,0]
	v_pk_fma_f16 v51, v84, v88, v51 op_sel_hi:[1,0,1]
	v_pk_fma_f16 v55, v84, v88, v55 op_sel:[0,1,0]
	v_pk_fma_f16 v59, v84, v89, v59 op_sel_hi:[1,0,1]
	v_pk_fma_f16 v60, v84, v89, v60 op_sel:[0,1,0]
	v_pk_fma_f16 v61, v84, v90, v61 op_sel_hi:[1,0,1]
	v_pk_fma_f16 v62, v84, v90, v62 op_sel:[0,1,0]
	v_pk_fma_f16 v63, v84, v91, v63 op_sel_hi:[1,0,1]
	v_pk_fma_f16 v48, v84, v91, v48 op_sel:[0,1,0]
	v_pk_fma_f16 v50, v85, v88, v50 op_sel_hi:[1,0,1]
	v_pk_fma_f16 v52, v85, v88, v52 op_sel:[0,1,0]
	v_pk_fma_f16 v56, v85, v89, v56 op_sel_hi:[1,0,1]
	v_pk_fma_f16 v53, v85, v89, v53 op_sel:[0,1,0]
	v_pk_fma_f16 v57, v85, v90, v57 op_sel_hi:[1,0,1]
	v_pk_fma_f16 v54, v85, v90, v54 op_sel:[0,1,0]
	v_pk_fma_f16 v58, v85, v91, v58 op_sel_hi:[1,0,1]
	v_pk_fma_f16 v49, v85, v91, v49 op_sel:[0,1,0]
	v_pk_fma_f16 v51, v86, v92, v51 op_sel_hi:[1,0,1]
	v_pk_fma_f16 v55, v86, v92, v55 op_sel:[0,1,0]
	v_pk_fma_f16 v59, v86, v93, v59 op_sel_hi:[1,0,1]
	v_pk_fma_f16 v60, v86, v93, v60 op_sel:[0,1,0]
	v_pk_fma_f16 v61, v86, v94, v61 op_sel_hi:[1,0,1]
	v_pk_fma_f16 v62, v86, v94, v62 op_sel:[0,1,0]
	v_pk_fma_f16 v63, v86, v95, v63 op_sel_hi:[1,0,1]
	v_pk_fma_f16 v48, v86, v95, v48 op_sel:[0,1,0]
	v_pk_fma_f16 v50, v87, v92, v50 op_sel_hi:[1,0,1]
	v_pk_fma_f16 v52, v87, v92, v52 op_sel:[0,1,0]
	v_pk_fma_f16 v56, v87, v93, v56 op_sel_hi:[1,0,1]
	v_pk_fma_f16 v53, v87, v93, v53 op_sel:[0,1,0]
	v_pk_fma_f16 v57, v87, v94, v57 op_sel_hi:[1,0,1]
	v_pk_fma_f16 v54, v87, v94, v54 op_sel:[0,1,0]
	v_pk_fma_f16 v58, v87, v95, v58 op_sel_hi:[1,0,1]
	v_pk_fma_f16 v49, v87, v95, v49 op_sel:[0,1,0]
	v_pk_fma_f16 v51, v96, v100, v51 op_sel_hi:[1,0,1]
	v_pk_fma_f16 v55, v96, v100, v55 op_sel:[0,1,0]
	v_pk_fma_f16 v59, v96, v101, v59 op_sel_hi:[1,0,1]
	v_pk_fma_f16 v60, v96, v101, v60 op_sel:[0,1,0]
	v_pk_fma_f16 v61, v96, v102, v61 op_sel_hi:[1,0,1]
	v_pk_fma_f16 v62, v96, v102, v62 op_sel:[0,1,0]
	v_pk_fma_f16 v63, v96, v103, v63 op_sel_hi:[1,0,1]
	v_pk_fma_f16 v48, v96, v103, v48 op_sel:[0,1,0]
	v_pk_fma_f16 v50, v97, v100, v50 op_sel_hi:[1,0,1]
	v_pk_fma_f16 v52, v97, v100, v52 op_sel:[0,1,0]
	v_pk_fma_f16 v56, v97, v101, v56 op_sel_hi:[1,0,1]
	v_pk_fma_f16 v53, v97, v101, v53 op_sel:[0,1,0]
	v_pk_fma_f16 v57, v97, v102, v57 op_sel_hi:[1,0,1]
	v_pk_fma_f16 v54, v97, v102, v54 op_sel:[0,1,0]
	v_pk_fma_f16 v58, v97, v103, v58 op_sel_hi:[1,0,1]
	v_pk_fma_f16 v49, v97, v103, v49 op_sel:[0,1,0]
	v_pk_fma_f16 v51, v98, v104, v51 op_sel_hi:[1,0,1]
	v_pk_fma_f16 v55, v98, v104, v55 op_sel:[0,1,0]
	v_pk_fma_f16 v59, v98, v105, v59 op_sel_hi:[1,0,1]
	v_pk_fma_f16 v60, v98, v105, v60 op_sel:[0,1,0]
	v_pk_fma_f16 v61, v98, v106, v61 op_sel_hi:[1,0,1]
	v_pk_fma_f16 v62, v98, v106, v62 op_sel:[0,1,0]
	v_pk_fma_f16 v63, v98, v107, v63 op_sel_hi:[1,0,1]
	v_pk_fma_f16 v48, v98, v107, v48 op_sel:[0,1,0]
	v_pk_fma_f16 v50, v99, v104, v50 op_sel_hi:[1,0,1]
	v_pk_fma_f16 v52, v99, v104, v52 op_sel:[0,1,0]
	v_pk_fma_f16 v56, v99, v105, v56 op_sel_hi:[1,0,1]
	v_pk_fma_f16 v53, v99, v105, v53 op_sel:[0,1,0]
	v_pk_fma_f16 v57, v99, v106, v57 op_sel_hi:[1,0,1]
	v_pk_fma_f16 v54, v99, v106, v54 op_sel:[0,1,0]
	v_pk_fma_f16 v58, v99, v107, v58 op_sel_hi:[1,0,1]
	v_pk_fma_f16 v49, v99, v107, v49 op_sel:[0,1,0]
	v_pk_fma_f16 v51, v108, v112, v51 op_sel_hi:[1,0,1]
	v_pk_fma_f16 v55, v108, v112, v55 op_sel:[0,1,0]
	v_pk_fma_f16 v59, v108, v113, v59 op_sel_hi:[1,0,1]
	v_pk_fma_f16 v60, v108, v113, v60 op_sel:[0,1,0]
	v_pk_fma_f16 v61, v108, v114, v61 op_sel_hi:[1,0,1]
	v_pk_fma_f16 v62, v108, v114, v62 op_sel:[0,1,0]
	v_pk_fma_f16 v63, v108, v115, v63 op_sel_hi:[1,0,1]
	v_pk_fma_f16 v48, v108, v115, v48 op_sel:[0,1,0]
	v_pk_fma_f16 v50, v109, v112, v50 op_sel_hi:[1,0,1]
	v_pk_fma_f16 v52, v109, v112, v52 op_sel:[0,1,0]
	v_pk_fma_f16 v56, v109, v113, v56 op_sel_hi:[1,0,1]
	v_pk_fma_f16 v53, v109, v113, v53 op_sel:[0,1,0]
	v_pk_fma_f16 v57, v109, v114, v57 op_sel_hi:[1,0,1]
	v_pk_fma_f16 v54, v109, v114, v54 op_sel:[0,1,0]
	v_pk_fma_f16 v58, v109, v115, v58 op_sel_hi:[1,0,1]
	v_pk_fma_f16 v49, v109, v115, v49 op_sel:[0,1,0]
	v_pk_fma_f16 v51, v110, v116, v51 op_sel_hi:[1,0,1]
	v_pk_fma_f16 v55, v110, v116, v55 op_sel:[0,1,0]
	v_pk_fma_f16 v59, v110, v117, v59 op_sel_hi:[1,0,1]
	v_pk_fma_f16 v60, v110, v117, v60 op_sel:[0,1,0]
	v_pk_fma_f16 v61, v110, v118, v61 op_sel_hi:[1,0,1]
	v_pk_fma_f16 v62, v110, v118, v62 op_sel:[0,1,0]
	v_pk_fma_f16 v63, v110, v119, v63 op_sel_hi:[1,0,1]
	v_pk_fma_f16 v48, v110, v119, v48 op_sel:[0,1,0]
	v_pk_fma_f16 v50, v111, v116, v50 op_sel_hi:[1,0,1]
	v_pk_fma_f16 v52, v111, v116, v52 op_sel:[0,1,0]
	v_pk_fma_f16 v56, v111, v117, v56 op_sel_hi:[1,0,1]
	v_pk_fma_f16 v53, v111, v117, v53 op_sel:[0,1,0]
	v_pk_fma_f16 v57, v111, v118, v57 op_sel_hi:[1,0,1]
	v_pk_fma_f16 v54, v111, v118, v54 op_sel:[0,1,0]
	v_pk_fma_f16 v58, v111, v119, v58 op_sel_hi:[1,0,1]
	v_pk_fma_f16 v49, v111, v119, v49 op_sel:[0,1,0]
	v_pk_fma_f16 v51, v120, v124, v51 op_sel_hi:[1,0,1]
	v_pk_fma_f16 v55, v120, v124, v55 op_sel:[0,1,0]
	v_pk_fma_f16 v59, v120, v125, v59 op_sel_hi:[1,0,1]
	v_pk_fma_f16 v60, v120, v125, v60 op_sel:[0,1,0]
	v_pk_fma_f16 v61, v120, v126, v61 op_sel_hi:[1,0,1]
	v_pk_fma_f16 v62, v120, v126, v62 op_sel:[0,1,0]
	v_pk_fma_f16 v63, v120, v127, v63 op_sel_hi:[1,0,1]
	v_pk_fma_f16 v48, v120, v127, v48 op_sel:[0,1,0]
	v_pk_fma_f16 v50, v121, v124, v50 op_sel_hi:[1,0,1]
	v_pk_fma_f16 v52, v121, v124, v52 op_sel:[0,1,0]
	v_pk_fma_f16 v56, v121, v125, v56 op_sel_hi:[1,0,1]
	v_pk_fma_f16 v53, v121, v125, v53 op_sel:[0,1,0]
	v_pk_fma_f16 v57, v121, v126, v57 op_sel_hi:[1,0,1]
	v_pk_fma_f16 v54, v121, v126, v54 op_sel:[0,1,0]
	v_pk_fma_f16 v58, v121, v127, v58 op_sel_hi:[1,0,1]
	v_pk_fma_f16 v49, v121, v127, v49 op_sel:[0,1,0]
	v_pk_fma_f16 v51, v122, v128, v51 op_sel_hi:[1,0,1]
	v_pk_fma_f16 v55, v122, v128, v55 op_sel:[0,1,0]
	v_pk_fma_f16 v59, v122, v129, v59 op_sel_hi:[1,0,1]
	v_pk_fma_f16 v60, v122, v129, v60 op_sel:[0,1,0]
	v_pk_fma_f16 v61, v122, v130, v61 op_sel_hi:[1,0,1]
	v_pk_fma_f16 v62, v122, v130, v62 op_sel:[0,1,0]
	v_pk_fma_f16 v63, v122, v131, v63 op_sel_hi:[1,0,1]
	v_pk_fma_f16 v48, v122, v131, v48 op_sel:[0,1,0]
	v_pk_fma_f16 v50, v123, v128, v50 op_sel_hi:[1,0,1]
	v_pk_fma_f16 v52, v123, v128, v52 op_sel:[0,1,0]
	v_pk_fma_f16 v56, v123, v129, v56 op_sel_hi:[1,0,1]
	v_pk_fma_f16 v53, v123, v129, v53 op_sel:[0,1,0]
	v_pk_fma_f16 v57, v123, v130, v57 op_sel_hi:[1,0,1]
	v_pk_fma_f16 v54, v123, v130, v54 op_sel:[0,1,0]
	v_pk_fma_f16 v58, v123, v131, v58 op_sel_hi:[1,0,1]
	v_pk_fma_f16 v49, v123, v131, v49 op_sel:[0,1,0]
	v_pk_fma_f16 v51, v132, v136, v51 op_sel_hi:[1,0,1]
	v_pk_fma_f16 v55, v132, v136, v55 op_sel:[0,1,0]
	v_pk_fma_f16 v59, v132, v137, v59 op_sel_hi:[1,0,1]
	v_pk_fma_f16 v60, v132, v137, v60 op_sel:[0,1,0]
	v_pk_fma_f16 v61, v132, v138, v61 op_sel_hi:[1,0,1]
	v_pk_fma_f16 v62, v132, v138, v62 op_sel:[0,1,0]
	v_pk_fma_f16 v63, v132, v139, v63 op_sel_hi:[1,0,1]
	v_pk_fma_f16 v48, v132, v139, v48 op_sel:[0,1,0]
	v_pk_fma_f16 v50, v133, v136, v50 op_sel_hi:[1,0,1]
	v_pk_fma_f16 v52, v133, v136, v52 op_sel:[0,1,0]
	v_pk_fma_f16 v56, v133, v137, v56 op_sel_hi:[1,0,1]
	v_pk_fma_f16 v53, v133, v137, v53 op_sel:[0,1,0]
	v_pk_fma_f16 v57, v133, v138, v57 op_sel_hi:[1,0,1]
	v_pk_fma_f16 v54, v133, v138, v54 op_sel:[0,1,0]
	v_pk_fma_f16 v58, v133, v139, v58 op_sel_hi:[1,0,1]
	v_pk_fma_f16 v49, v133, v139, v49 op_sel:[0,1,0]
	v_pk_fma_f16 v51, v134, v140, v51 op_sel_hi:[1,0,1]
	v_pk_fma_f16 v55, v134, v140, v55 op_sel:[0,1,0]
	v_pk_fma_f16 v59, v134, v141, v59 op_sel_hi:[1,0,1]
	v_pk_fma_f16 v60, v134, v141, v60 op_sel:[0,1,0]
	v_pk_fma_f16 v61, v134, v142, v61 op_sel_hi:[1,0,1]
	v_pk_fma_f16 v62, v134, v142, v62 op_sel:[0,1,0]
	v_pk_fma_f16 v63, v134, v143, v63 op_sel_hi:[1,0,1]
	v_pk_fma_f16 v48, v134, v143, v48 op_sel:[0,1,0]
	v_pk_fma_f16 v50, v135, v140, v50 op_sel_hi:[1,0,1]
	v_pk_fma_f16 v52, v135, v140, v52 op_sel:[0,1,0]
	v_pk_fma_f16 v56, v135, v141, v56 op_sel_hi:[1,0,1]
	v_pk_fma_f16 v53, v135, v141, v53 op_sel:[0,1,0]
	v_pk_fma_f16 v57, v135, v142, v57 op_sel_hi:[1,0,1]
	v_pk_fma_f16 v54, v135, v142, v54 op_sel:[0,1,0]
	v_pk_fma_f16 v58, v135, v143, v58 op_sel_hi:[1,0,1]
	v_pk_fma_f16 v49, v135, v143, v49 op_sel:[0,1,0]
	v_pk_fma_f16 v51, v144, v148, v51 op_sel_hi:[1,0,1]
	v_pk_fma_f16 v55, v144, v148, v55 op_sel:[0,1,0]
	v_pk_fma_f16 v59, v144, v149, v59 op_sel_hi:[1,0,1]
	v_pk_fma_f16 v60, v144, v149, v60 op_sel:[0,1,0]
	v_pk_fma_f16 v61, v144, v150, v61 op_sel_hi:[1,0,1]
	v_pk_fma_f16 v62, v144, v150, v62 op_sel:[0,1,0]
	v_pk_fma_f16 v63, v144, v151, v63 op_sel_hi:[1,0,1]
	v_pk_fma_f16 v48, v144, v151, v48 op_sel:[0,1,0]
	v_pk_fma_f16 v50, v145, v148, v50 op_sel_hi:[1,0,1]
	v_pk_fma_f16 v52, v145, v148, v52 op_sel:[0,1,0]
	v_pk_fma_f16 v56, v145, v149, v56 op_sel_hi:[1,0,1]
	v_pk_fma_f16 v53, v145, v149, v53 op_sel:[0,1,0]
	v_pk_fma_f16 v57, v145, v150, v57 op_sel_hi:[1,0,1]
	v_pk_fma_f16 v54, v145, v150, v54 op_sel:[0,1,0]
	v_pk_fma_f16 v58, v145, v151, v58 op_sel_hi:[1,0,1]
	v_pk_fma_f16 v49, v145, v151, v49 op_sel:[0,1,0]
	v_pk_fma_f16 v51, v146, v152, v51 op_sel_hi:[1,0,1]
	v_pk_fma_f16 v55, v146, v152, v55 op_sel:[0,1,0]
	v_pk_fma_f16 v59, v146, v153, v59 op_sel_hi:[1,0,1]
	v_pk_fma_f16 v60, v146, v153, v60 op_sel:[0,1,0]
	v_pk_fma_f16 v61, v146, v154, v61 op_sel_hi:[1,0,1]
	v_pk_fma_f16 v62, v146, v154, v62 op_sel:[0,1,0]
	v_pk_fma_f16 v63, v146, v155, v63 op_sel_hi:[1,0,1]
	v_pk_fma_f16 v48, v146, v155, v48 op_sel:[0,1,0]
	v_pk_fma_f16 v50, v147, v152, v50 op_sel_hi:[1,0,1]
	v_pk_fma_f16 v52, v147, v152, v52 op_sel:[0,1,0]
	v_pk_fma_f16 v56, v147, v153, v56 op_sel_hi:[1,0,1]
	v_pk_fma_f16 v53, v147, v153, v53 op_sel:[0,1,0]
	v_pk_fma_f16 v57, v147, v154, v57 op_sel_hi:[1,0,1]
	v_pk_fma_f16 v54, v147, v154, v54 op_sel:[0,1,0]
	v_pk_fma_f16 v58, v147, v155, v58 op_sel_hi:[1,0,1]
	v_pk_fma_f16 v49, v147, v155, v49 op_sel:[0,1,0]
	v_pk_fma_f16 v51, v156, v160, v51 op_sel_hi:[1,0,1]
	v_pk_fma_f16 v55, v156, v160, v55 op_sel:[0,1,0]
	v_pk_fma_f16 v59, v156, v161, v59 op_sel_hi:[1,0,1]
	v_pk_fma_f16 v60, v156, v161, v60 op_sel:[0,1,0]
	v_pk_fma_f16 v61, v156, v162, v61 op_sel_hi:[1,0,1]
	v_pk_fma_f16 v62, v156, v162, v62 op_sel:[0,1,0]
	v_pk_fma_f16 v63, v156, v163, v63 op_sel_hi:[1,0,1]
	v_pk_fma_f16 v48, v156, v163, v48 op_sel:[0,1,0]
	v_pk_fma_f16 v50, v157, v160, v50 op_sel_hi:[1,0,1]
	v_pk_fma_f16 v52, v157, v160, v52 op_sel:[0,1,0]
	v_pk_fma_f16 v56, v157, v161, v56 op_sel_hi:[1,0,1]
	v_pk_fma_f16 v53, v157, v161, v53 op_sel:[0,1,0]
	v_pk_fma_f16 v57, v157, v162, v57 op_sel_hi:[1,0,1]
	v_pk_fma_f16 v54, v157, v162, v54 op_sel:[0,1,0]
	v_pk_fma_f16 v58, v157, v163, v58 op_sel_hi:[1,0,1]
	v_pk_fma_f16 v49, v157, v163, v49 op_sel:[0,1,0]
	v_pk_fma_f16 v51, v158, v164, v51 op_sel_hi:[1,0,1]
	v_pk_fma_f16 v55, v158, v164, v55 op_sel:[0,1,0]
	v_pk_fma_f16 v59, v158, v165, v59 op_sel_hi:[1,0,1]
	v_pk_fma_f16 v60, v158, v165, v60 op_sel:[0,1,0]
	v_pk_fma_f16 v61, v158, v166, v61 op_sel_hi:[1,0,1]
	v_pk_fma_f16 v62, v158, v166, v62 op_sel:[0,1,0]
	v_pk_fma_f16 v63, v158, v167, v63 op_sel_hi:[1,0,1]
	v_pk_fma_f16 v48, v158, v167, v48 op_sel:[0,1,0]
	v_pk_fma_f16 v50, v159, v164, v50 op_sel_hi:[1,0,1]
	v_pk_fma_f16 v52, v159, v164, v52 op_sel:[0,1,0]
	v_pk_fma_f16 v56, v159, v165, v56 op_sel_hi:[1,0,1]
	v_pk_fma_f16 v53, v159, v165, v53 op_sel:[0,1,0]
	v_pk_fma_f16 v57, v159, v166, v57 op_sel_hi:[1,0,1]
	v_pk_fma_f16 v54, v159, v166, v54 op_sel:[0,1,0]
	v_pk_fma_f16 v58, v159, v167, v58 op_sel_hi:[1,0,1]
	v_pk_fma_f16 v49, v159, v167, v49 op_sel:[0,1,0]
	v_pk_fma_f16 v51, v168, v12, v51 op_sel_hi:[1,0,1]
	v_pk_fma_f16 v55, v168, v12, v55 op_sel:[0,1,0]
	v_pk_fma_f16 v59, v168, v13, v59 op_sel_hi:[1,0,1]
	v_pk_fma_f16 v60, v168, v13, v60 op_sel:[0,1,0]
	v_pk_fma_f16 v61, v168, v14, v61 op_sel_hi:[1,0,1]
	v_pk_fma_f16 v62, v168, v14, v62 op_sel:[0,1,0]
	v_pk_fma_f16 v63, v168, v15, v63 op_sel_hi:[1,0,1]
	v_pk_fma_f16 v48, v168, v15, v48 op_sel:[0,1,0]
	v_pk_fma_f16 v50, v169, v12, v50 op_sel_hi:[1,0,1]
	v_pk_fma_f16 v12, v169, v12, v52 op_sel:[0,1,0]
	v_pk_fma_f16 v52, v169, v13, v56 op_sel_hi:[1,0,1]
	v_pk_fma_f16 v13, v169, v13, v53 op_sel:[0,1,0]
	v_pk_fma_f16 v53, v169, v14, v57 op_sel_hi:[1,0,1]
	v_pk_fma_f16 v14, v169, v14, v54 op_sel:[0,1,0]
	v_pk_fma_f16 v54, v169, v15, v58 op_sel_hi:[1,0,1]
	v_pk_fma_f16 v15, v169, v15, v49 op_sel:[0,1,0]
	v_pk_fma_f16 v49, v170, v8, v51 op_sel_hi:[1,0,1]
	v_pk_fma_f16 v51, v170, v8, v55 op_sel:[0,1,0]
	v_pk_fma_f16 v55, v170, v9, v59 op_sel_hi:[1,0,1]
	v_pk_fma_f16 v56, v170, v9, v60 op_sel:[0,1,0]
	v_pk_fma_f16 v57, v170, v10, v61 op_sel_hi:[1,0,1]
	v_pk_fma_f16 v58, v170, v10, v62 op_sel:[0,1,0]
	v_pk_fma_f16 v59, v170, v11, v63 op_sel_hi:[1,0,1]
	v_pk_fma_f16 v48, v170, v11, v48 op_sel:[0,1,0]
	v_pk_fma_f16 v50, v171, v8, v50 op_sel_hi:[1,0,1]
	v_pk_fma_f16 v8, v171, v8, v12 op_sel:[0,1,0]
	v_pk_fma_f16 v12, v171, v9, v52 op_sel_hi:[1,0,1]
	v_pk_fma_f16 v9, v171, v9, v13 op_sel:[0,1,0]
	v_pk_fma_f16 v13, v171, v10, v53 op_sel_hi:[1,0,1]
	v_pk_fma_f16 v10, v171, v10, v14 op_sel:[0,1,0]
	v_pk_fma_f16 v14, v171, v11, v54 op_sel_hi:[1,0,1]
	v_pk_fma_f16 v11, v171, v11, v15 op_sel:[0,1,0]
	v_pk_fma_f16 v15, v20, v24, v49 op_sel_hi:[1,0,1]
	v_pk_fma_f16 v49, v20, v24, v51 op_sel:[0,1,0]
	v_pk_fma_f16 v51, v20, v25, v55 op_sel_hi:[1,0,1]
	v_pk_fma_f16 v52, v20, v25, v56 op_sel:[0,1,0]
	v_pk_fma_f16 v53, v20, v26, v57 op_sel_hi:[1,0,1]
	v_pk_fma_f16 v54, v20, v26, v58 op_sel:[0,1,0]
	v_pk_fma_f16 v55, v20, v27, v59 op_sel_hi:[1,0,1]
	v_pk_fma_f16 v20, v20, v27, v48 op_sel:[0,1,0]
	v_pk_fma_f16 v48, v21, v24, v50 op_sel_hi:[1,0,1]
	v_pk_fma_f16 v8, v21, v24, v8 op_sel:[0,1,0]
	v_pk_fma_f16 v12, v21, v25, v12 op_sel_hi:[1,0,1]
	v_pk_fma_f16 v9, v21, v25, v9 op_sel:[0,1,0]
	v_pk_fma_f16 v13, v21, v26, v13 op_sel_hi:[1,0,1]
	v_pk_fma_f16 v10, v21, v26, v10 op_sel:[0,1,0]
	v_pk_fma_f16 v14, v21, v27, v14 op_sel_hi:[1,0,1]
	v_pk_fma_f16 v11, v21, v27, v11 op_sel:[0,1,0]
	v_pk_fma_f16 v15, v22, v28, v15 op_sel_hi:[1,0,1]
	v_pk_fma_f16 v21, v22, v28, v49 op_sel:[0,1,0]
	v_pk_fma_f16 v24, v22, v29, v51 op_sel_hi:[1,0,1]
	v_pk_fma_f16 v25, v22, v29, v52 op_sel:[0,1,0]
	v_pk_fma_f16 v26, v22, v30, v53 op_sel_hi:[1,0,1]
	v_pk_fma_f16 v27, v22, v30, v54 op_sel:[0,1,0]
	v_pk_fma_f16 v49, v22, v31, v55 op_sel_hi:[1,0,1]
	v_pk_fma_f16 v20, v22, v31, v20 op_sel:[0,1,0]
	v_pk_fma_f16 v22, v23, v28, v48 op_sel_hi:[1,0,1]
	v_pk_fma_f16 v8, v23, v28, v8 op_sel:[0,1,0]
	v_pk_fma_f16 v12, v23, v29, v12 op_sel_hi:[1,0,1]
	v_pk_fma_f16 v9, v23, v29, v9 op_sel:[0,1,0]
	v_pk_fma_f16 v13, v23, v30, v13 op_sel_hi:[1,0,1]
	v_pk_fma_f16 v10, v23, v30, v10 op_sel:[0,1,0]
	v_pk_fma_f16 v14, v23, v31, v14 op_sel_hi:[1,0,1]
	v_pk_fma_f16 v11, v23, v31, v11 op_sel:[0,1,0]
	v_pk_fma_f16 v15, v32, v40, v15 op_sel_hi:[1,0,1]
	v_pk_fma_f16 v21, v32, v40, v21 op_sel:[0,1,0]
	v_pk_fma_f16 v23, v32, v41, v24 op_sel_hi:[1,0,1]
	v_pk_fma_f16 v24, v32, v41, v25 op_sel:[0,1,0]
	v_pk_fma_f16 v25, v32, v42, v26 op_sel_hi:[1,0,1]
	v_pk_fma_f16 v26, v32, v42, v27 op_sel:[0,1,0]
	v_pk_fma_f16 v27, v32, v43, v49 op_sel_hi:[1,0,1]
	v_pk_fma_f16 v20, v32, v43, v20 op_sel:[0,1,0]
	v_pk_fma_f16 v22, v33, v40, v22 op_sel_hi:[1,0,1]
	v_pk_fma_f16 v8, v33, v40, v8 op_sel:[0,1,0]
	v_pk_fma_f16 v12, v33, v41, v12 op_sel_hi:[1,0,1]
	v_pk_fma_f16 v9, v33, v41, v9 op_sel:[0,1,0]
	v_pk_fma_f16 v13, v33, v42, v13 op_sel_hi:[1,0,1]
	v_pk_fma_f16 v10, v33, v42, v10 op_sel:[0,1,0]
	v_pk_fma_f16 v14, v33, v43, v14 op_sel_hi:[1,0,1]
	v_pk_fma_f16 v11, v33, v43, v11 op_sel:[0,1,0]
	v_pk_fma_f16 v222, v34, v36, v15 op_sel_hi:[1,0,1]
	v_pk_fma_f16 v223, v34, v36, v21 op_sel:[0,1,0]
	v_pk_fma_f16 v224, v34, v37, v23 op_sel_hi:[1,0,1]
	v_pk_fma_f16 v225, v34, v37, v24 op_sel:[0,1,0]
	v_pk_fma_f16 v226, v34, v38, v25 op_sel_hi:[1,0,1]
	v_pk_fma_f16 v227, v34, v38, v26 op_sel:[0,1,0]
	v_pk_fma_f16 v228, v34, v39, v27 op_sel_hi:[1,0,1]
	v_pk_fma_f16 v229, v34, v39, v20 op_sel:[0,1,0]
	v_pk_fma_f16 v230, v35, v36, v22 op_sel_hi:[1,0,1]
	v_pk_fma_f16 v231, v35, v36, v8 op_sel:[0,1,0]
	v_pk_fma_f16 v232, v35, v37, v12 op_sel_hi:[1,0,1]
	v_pk_fma_f16 v233, v35, v37, v9 op_sel:[0,1,0]
	v_pk_fma_f16 v234, v35, v38, v13 op_sel_hi:[1,0,1]
	v_pk_fma_f16 v235, v35, v38, v10 op_sel:[0,1,0]
	v_pk_fma_f16 v236, v35, v39, v14 op_sel_hi:[1,0,1]
	v_pk_fma_f16 v237, v35, v39, v11 op_sel:[0,1,0]
	s_waitcnt vmcnt(1)
	ds_store_b128 v205, v[44:47]
	s_waitcnt vmcnt(0)
	ds_store_b128 v206, v[16:19]
	s_waitcnt lgkmcnt(0)
	s_barrier
	buffer_gl0_inv
	ds_load_2addr_b64 v[160:163], v207 offset1:32
	ds_load_b128 v[168:171], v204 offset:512
	ds_load_b128 v[164:167], v204 offset:528
	;; [unrolled: 1-line block ×4, first 2 shown]
	ds_load_2addr_b64 v[100:103], v207 offset0:64 offset1:96
	ds_load_2addr_b64 v[8:11], v207 offset0:128 offset1:160
	ds_load_b128 v[48:51], v204 offset:576
	ds_load_b128 v[28:31], v204 offset:592
	ds_load_2addr_b64 v[12:15], v207 offset0:192 offset1:224
	ds_load_b128 v[36:39], v204 offset:608
	ds_load_b128 v[40:43], v204 offset:624
	ds_load_2addr_b64 v[16:19], v211 offset1:32
	ds_load_b128 v[52:55], v204 offset:640
	ds_load_b128 v[56:59], v204 offset:656
	ds_load_2addr_b64 v[24:27], v211 offset0:64 offset1:96
	ds_load_b128 v[68:71], v204 offset:672
	ds_load_b128 v[72:75], v204 offset:688
	ds_load_2addr_b64 v[32:35], v211 offset0:128 offset1:160
	;; [unrolled: 3-line block ×3, first 2 shown]
	ds_load_b128 v[92:95], v204 offset:736
	ds_load_b128 v[96:99], v204 offset:752
	ds_load_2addr_b64 v[60:63], v212 offset1:32
	ds_load_b128 v[108:111], v204 offset:768
	ds_load_b128 v[112:115], v204 offset:784
	ds_load_2addr_b64 v[76:79], v212 offset0:64 offset1:96
	ds_load_b128 v[120:123], v204 offset:800
	ds_load_b128 v[124:127], v204 offset:816
	ds_load_2addr_b64 v[88:91], v212 offset0:128 offset1:160
	;; [unrolled: 3-line block ×3, first 2 shown]
	ds_load_b128 v[140:143], v204 offset:864
	ds_load_b128 v[144:147], v204 offset:880
	ds_load_2addr_b64 v[116:119], v213 offset1:32
	ds_load_b128 v[148:151], v204 offset:896
	ds_load_b128 v[152:155], v204 offset:912
	ds_load_2addr_b64 v[128:131], v213 offset0:64 offset1:96
	ds_load_b128 v[156:159], v204 offset:928
	s_waitcnt lgkmcnt(39)
	v_pk_fma_f16 v222, v160, v168, v222 op_sel_hi:[1,0,1]
	v_pk_fma_f16 v223, v160, v168, v223 op_sel:[0,1,0]
	v_pk_fma_f16 v224, v160, v169, v224 op_sel_hi:[1,0,1]
	v_pk_fma_f16 v225, v160, v169, v225 op_sel:[0,1,0]
	v_pk_fma_f16 v226, v160, v170, v226 op_sel_hi:[1,0,1]
	v_pk_fma_f16 v227, v160, v170, v227 op_sel:[0,1,0]
	v_pk_fma_f16 v228, v160, v171, v228 op_sel_hi:[1,0,1]
	v_pk_fma_f16 v160, v160, v171, v229 op_sel:[0,1,0]
	v_pk_fma_f16 v229, v161, v168, v230 op_sel_hi:[1,0,1]
	v_pk_fma_f16 v230, v161, v168, v231 op_sel:[0,1,0]
	v_pk_fma_f16 v231, v161, v169, v232 op_sel_hi:[1,0,1]
	v_pk_fma_f16 v232, v161, v169, v233 op_sel:[0,1,0]
	v_pk_fma_f16 v233, v161, v170, v234 op_sel_hi:[1,0,1]
	v_pk_fma_f16 v234, v161, v170, v235 op_sel:[0,1,0]
	v_pk_fma_f16 v235, v161, v171, v236 op_sel_hi:[1,0,1]
	v_pk_fma_f16 v161, v161, v171, v237 op_sel:[0,1,0]
	s_waitcnt lgkmcnt(38)
	v_pk_fma_f16 v222, v162, v164, v222 op_sel_hi:[1,0,1]
	v_pk_fma_f16 v223, v162, v164, v223 op_sel:[0,1,0]
	v_pk_fma_f16 v224, v162, v165, v224 op_sel_hi:[1,0,1]
	v_pk_fma_f16 v225, v162, v165, v225 op_sel:[0,1,0]
	v_pk_fma_f16 v226, v162, v166, v226 op_sel_hi:[1,0,1]
	v_pk_fma_f16 v227, v162, v166, v227 op_sel:[0,1,0]
	v_pk_fma_f16 v228, v162, v167, v228 op_sel_hi:[1,0,1]
	v_pk_fma_f16 v236, v162, v167, v160 op_sel:[0,1,0]
	v_pk_fma_f16 v229, v163, v164, v229 op_sel_hi:[1,0,1]
	v_pk_fma_f16 v230, v163, v164, v230 op_sel:[0,1,0]
	v_pk_fma_f16 v231, v163, v165, v231 op_sel_hi:[1,0,1]
	v_pk_fma_f16 v232, v163, v165, v232 op_sel:[0,1,0]
	v_pk_fma_f16 v233, v163, v166, v233 op_sel_hi:[1,0,1]
	v_pk_fma_f16 v234, v163, v166, v234 op_sel:[0,1,0]
	v_pk_fma_f16 v235, v163, v167, v235 op_sel_hi:[1,0,1]
	v_pk_fma_f16 v237, v163, v167, v161 op_sel:[0,1,0]
	;; [unrolled: 17-line block ×3, first 2 shown]
	v_pk_fma_f16 v222, v102, v20, v222 op_sel_hi:[1,0,1]
	v_pk_fma_f16 v223, v102, v20, v223 op_sel:[0,1,0]
	v_pk_fma_f16 v224, v102, v21, v224 op_sel_hi:[1,0,1]
	v_pk_fma_f16 v225, v102, v21, v225 op_sel:[0,1,0]
	v_pk_fma_f16 v226, v102, v22, v226 op_sel_hi:[1,0,1]
	v_pk_fma_f16 v227, v102, v22, v227 op_sel:[0,1,0]
	v_pk_fma_f16 v228, v102, v23, v228 op_sel_hi:[1,0,1]
	v_pk_fma_f16 v236, v102, v23, v100 op_sel:[0,1,0]
	v_pk_fma_f16 v229, v103, v20, v229 op_sel_hi:[1,0,1]
	v_pk_fma_f16 v230, v103, v20, v230 op_sel:[0,1,0]
	v_pk_fma_f16 v231, v103, v21, v231 op_sel_hi:[1,0,1]
	v_pk_fma_f16 v232, v103, v21, v232 op_sel:[0,1,0]
	v_pk_fma_f16 v233, v103, v22, v233 op_sel_hi:[1,0,1]
	v_pk_fma_f16 v234, v103, v22, v234 op_sel:[0,1,0]
	v_pk_fma_f16 v235, v103, v23, v235 op_sel_hi:[1,0,1]
	v_pk_fma_f16 v237, v103, v23, v101 op_sel:[0,1,0]
	s_waitcnt lgkmcnt(33)
	v_pk_fma_f16 v222, v8, v48, v222 op_sel_hi:[1,0,1]
	v_pk_fma_f16 v223, v8, v48, v223 op_sel:[0,1,0]
	v_pk_fma_f16 v224, v8, v49, v224 op_sel_hi:[1,0,1]
	v_pk_fma_f16 v225, v8, v49, v225 op_sel:[0,1,0]
	v_pk_fma_f16 v226, v8, v50, v226 op_sel_hi:[1,0,1]
	v_pk_fma_f16 v227, v8, v50, v227 op_sel:[0,1,0]
	v_pk_fma_f16 v228, v8, v51, v228 op_sel_hi:[1,0,1]
	v_pk_fma_f16 v8, v8, v51, v236 op_sel:[0,1,0]
	v_pk_fma_f16 v229, v9, v48, v229 op_sel_hi:[1,0,1]
	v_pk_fma_f16 v230, v9, v48, v230 op_sel:[0,1,0]
	v_pk_fma_f16 v231, v9, v49, v231 op_sel_hi:[1,0,1]
	v_pk_fma_f16 v232, v9, v49, v232 op_sel:[0,1,0]
	v_pk_fma_f16 v233, v9, v50, v233 op_sel_hi:[1,0,1]
	v_pk_fma_f16 v234, v9, v50, v234 op_sel:[0,1,0]
	v_pk_fma_f16 v235, v9, v51, v235 op_sel_hi:[1,0,1]
	v_pk_fma_f16 v9, v9, v51, v237 op_sel:[0,1,0]
	s_waitcnt lgkmcnt(32)
	;; [unrolled: 17-line block ×19, first 2 shown]
	v_pk_fma_f16 v11, v104, v140, v11 op_sel_hi:[1,0,1]
	v_pk_fma_f16 v13, v104, v140, v13 op_sel:[0,1,0]
	v_pk_fma_f16 v15, v104, v141, v15 op_sel_hi:[1,0,1]
	v_pk_fma_f16 v17, v104, v141, v17 op_sel:[0,1,0]
	;; [unrolled: 2-line block ×8, first 2 shown]
	ds_load_b128 v[168:171], v204 offset:944
	s_waitcnt lgkmcnt(6)
	v_pk_fma_f16 v11, v106, v144, v11 op_sel_hi:[1,0,1]
	v_pk_fma_f16 v13, v106, v144, v13 op_sel:[0,1,0]
	v_pk_fma_f16 v15, v106, v145, v15 op_sel_hi:[1,0,1]
	v_pk_fma_f16 v17, v106, v145, v17 op_sel:[0,1,0]
	v_pk_fma_f16 v19, v106, v146, v19 op_sel_hi:[1,0,1]
	v_pk_fma_f16 v25, v106, v146, v25 op_sel:[0,1,0]
	v_pk_fma_f16 v27, v106, v147, v27 op_sel_hi:[1,0,1]
	v_pk_fma_f16 v8, v106, v147, v8 op_sel:[0,1,0]
	v_pk_fma_f16 v10, v107, v144, v10 op_sel_hi:[1,0,1]
	v_pk_fma_f16 v12, v107, v144, v12 op_sel:[0,1,0]
	v_pk_fma_f16 v14, v107, v145, v14 op_sel_hi:[1,0,1]
	v_pk_fma_f16 v16, v107, v145, v16 op_sel:[0,1,0]
	v_pk_fma_f16 v18, v107, v146, v18 op_sel_hi:[1,0,1]
	v_pk_fma_f16 v24, v107, v146, v24 op_sel:[0,1,0]
	v_pk_fma_f16 v26, v107, v147, v26 op_sel_hi:[1,0,1]
	v_pk_fma_f16 v9, v107, v147, v9 op_sel:[0,1,0]
	ds_load_2addr_b64 v[160:163], v213 offset0:128 offset1:160
	ds_load_b128 v[164:167], v204 offset:960
	s_waitcnt lgkmcnt(6)
	v_pk_fma_f16 v11, v116, v148, v11 op_sel_hi:[1,0,1]
	v_pk_fma_f16 v13, v116, v148, v13 op_sel:[0,1,0]
	v_pk_fma_f16 v15, v116, v149, v15 op_sel_hi:[1,0,1]
	v_pk_fma_f16 v17, v116, v149, v17 op_sel:[0,1,0]
	;; [unrolled: 2-line block ×8, first 2 shown]
	ds_load_b128 v[64:67], v204 offset:976
	s_waitcnt lgkmcnt(6)
	v_pk_fma_f16 v11, v118, v152, v11 op_sel_hi:[1,0,1]
	v_pk_fma_f16 v13, v118, v152, v13 op_sel:[0,1,0]
	v_pk_fma_f16 v15, v118, v153, v15 op_sel_hi:[1,0,1]
	v_pk_fma_f16 v17, v118, v153, v17 op_sel:[0,1,0]
	;; [unrolled: 2-line block ×8, first 2 shown]
	ds_load_2addr_b64 v[20:23], v213 offset0:192 offset1:224
	ds_load_b128 v[100:103], v204 offset:992
	s_waitcnt lgkmcnt(6)
	v_pk_fma_f16 v11, v128, v156, v11 op_sel_hi:[1,0,1]
	v_pk_fma_f16 v13, v128, v156, v13 op_sel:[0,1,0]
	v_pk_fma_f16 v15, v128, v157, v15 op_sel_hi:[1,0,1]
	v_pk_fma_f16 v17, v128, v157, v17 op_sel:[0,1,0]
	;; [unrolled: 2-line block ×8, first 2 shown]
	ds_load_b128 v[48:51], v204 offset:1008
	s_waitcnt lgkmcnt(0)
	s_barrier
	buffer_gl0_inv
	s_load_b32 s2, s[54:55], 0x4
	v_pk_fma_f16 v11, v130, v168, v11 op_sel_hi:[1,0,1]
	v_pk_fma_f16 v13, v130, v168, v13 op_sel:[0,1,0]
	v_pk_fma_f16 v15, v130, v169, v15 op_sel_hi:[1,0,1]
	v_pk_fma_f16 v17, v130, v169, v17 op_sel:[0,1,0]
	;; [unrolled: 2-line block ×32, first 2 shown]
	s_waitcnt lgkmcnt(0)
	s_lshl_b32 s2, s2, 6
	v_pk_fma_f16 v40, v22, v48, v11 op_sel_hi:[1,0,1]
	v_pk_fma_f16 v38, v22, v48, v13 op_sel:[0,1,0]
	v_pk_fma_f16 v36, v22, v49, v15 op_sel_hi:[1,0,1]
	v_pk_fma_f16 v34, v22, v49, v17 op_sel:[0,1,0]
	v_pk_fma_f16 v32, v22, v50, v19 op_sel_hi:[1,0,1]
	v_pk_fma_f16 v30, v22, v50, v25 op_sel:[0,1,0]
	v_pk_fma_f16 v28, v22, v51, v27 op_sel_hi:[1,0,1]
	v_pk_fma_f16 v27, v22, v51, v8 op_sel:[0,1,0]
	v_pk_fma_f16 v41, v23, v48, v10 op_sel_hi:[1,0,1]
	v_pk_fma_f16 v39, v23, v48, v12 op_sel:[0,1,0]
	v_pk_fma_f16 v37, v23, v49, v14 op_sel_hi:[1,0,1]
	v_pk_fma_f16 v35, v23, v49, v16 op_sel:[0,1,0]
	v_pk_fma_f16 v33, v23, v50, v18 op_sel_hi:[1,0,1]
	v_pk_fma_f16 v31, v23, v50, v20 op_sel:[0,1,0]
	v_pk_fma_f16 v29, v23, v51, v24 op_sel_hi:[1,0,1]
	v_pk_fma_f16 v26, v23, v51, v9 op_sel:[0,1,0]
	s_add_i32 s65, s2, s65
	s_delay_alu instid0(SALU_CYCLE_1)
	s_cmp_ge_i32 s65, s66
	s_cbranch_scc0 .LBB17_9
; %bb.10:
	v_dual_mov_b32 v11, 32 :: v_dual_mov_b32 v12, v192
.LBB17_11:
	s_delay_alu instid0(VALU_DEP_1)
	v_cmp_lt_i32_e32 vcc_lo, v197, v11
	s_cmp_lg_u64 s[52:53], 0
	s_cselect_b32 s2, -1, 0
	s_cmp_eq_u32 s14, 0
	v_cndmask_b32_e32 v8, v12, v197, vcc_lo
	v_cmp_lt_i32_e32 vcc_lo, v196, v11
	s_cselect_b32 s3, -1, 0
	s_delay_alu instid0(SALU_CYCLE_1) | instskip(NEXT) | instid1(VALU_DEP_2)
	s_and_b32 s2, s3, s2
	v_lshlrev_b32_e32 v8, 2, v8
	ds_bpermute_b32 v9, v8, v215
	s_waitcnt lgkmcnt(0)
	v_add_f32_e32 v9, v215, v9
	ds_bpermute_b32 v13, v8, v217
	ds_bpermute_b32 v17, v8, v221
	v_cndmask_b32_e32 v18, v12, v196, vcc_lo
	ds_bpermute_b32 v10, v8, v216
	ds_bpermute_b32 v15, v8, v219
	ds_bpermute_b32 v14, v8, v218
	ds_bpermute_b32 v16, v8, v220
	v_cmp_lt_i32_e32 vcc_lo, v195, v11
	ds_bpermute_b32 v8, v8, v214
	s_waitcnt lgkmcnt(6)
	v_dual_add_f32 v13, v217, v13 :: v_dual_lshlrev_b32 v18, 2, v18
	s_waitcnt lgkmcnt(5)
	v_add_f32_e32 v17, v221, v17
	s_waitcnt lgkmcnt(3)
	v_add_f32_e32 v15, v219, v15
	ds_bpermute_b32 v19, v18, v9
	v_add_f32_e32 v10, v216, v10
	ds_bpermute_b32 v21, v18, v13
	ds_bpermute_b32 v23, v18, v15
	s_waitcnt lgkmcnt(5)
	v_add_f32_e32 v14, v218, v14
	s_waitcnt lgkmcnt(4)
	v_add_f32_e32 v16, v220, v16
	ds_bpermute_b32 v25, v18, v17
	s_waitcnt lgkmcnt(3)
	v_dual_add_f32 v8, v214, v8 :: v_dual_add_f32 v9, v9, v19
	ds_bpermute_b32 v20, v18, v10
	s_waitcnt lgkmcnt(3)
	v_dual_cndmask_b32 v42, v12, v195 :: v_dual_add_f32 v13, v13, v21
	s_waitcnt lgkmcnt(2)
	v_add_f32_e32 v15, v15, v23
	ds_bpermute_b32 v24, v18, v16
	ds_bpermute_b32 v22, v18, v14
	s_waitcnt lgkmcnt(3)
	v_dual_add_f32 v17, v17, v25 :: v_dual_lshlrev_b32 v42, 2, v42
	ds_bpermute_b32 v18, v18, v8
	v_cmp_lt_i32_e32 vcc_lo, v194, v11
	s_waitcnt lgkmcnt(3)
	v_add_f32_e32 v10, v10, v20
	ds_bpermute_b32 v20, v42, v13
	s_waitcnt lgkmcnt(3)
	v_add_f32_e32 v16, v16, v24
	s_waitcnt lgkmcnt(0)
	v_add_f32_e32 v13, v13, v20
	ds_bpermute_b32 v24, v42, v17
	v_add_f32_e32 v14, v14, v22
	ds_bpermute_b32 v22, v42, v15
	ds_bpermute_b32 v23, v42, v16
	s_waitcnt lgkmcnt(2)
	v_add_f32_e32 v17, v17, v24
	ds_bpermute_b32 v21, v42, v14
	s_waitcnt lgkmcnt(2)
	v_add_f32_e32 v15, v15, v22
	;; [unrolled: 3-line block ×3, first 2 shown]
	v_add_f32_e32 v8, v8, v18
	ds_bpermute_b32 v18, v42, v9
	ds_bpermute_b32 v25, v42, v8
	v_cndmask_b32_e32 v42, v12, v194, vcc_lo
	v_cmp_lt_i32_e32 vcc_lo, v193, v11
	s_delay_alu instid0(VALU_DEP_2)
	v_dual_cndmask_b32 v11, v12, v193 :: v_dual_lshlrev_b32 v42, 2, v42
	s_and_b32 vcc_lo, exec_lo, s2
	ds_bpermute_b32 v20, v42, v13
	v_lshlrev_b32_e32 v11, 2, v11
	ds_bpermute_b32 v21, v42, v14
	ds_bpermute_b32 v22, v42, v15
	;; [unrolled: 1-line block ×3, first 2 shown]
	s_waitcnt lgkmcnt(5)
	v_add_f32_e32 v9, v9, v18
	ds_bpermute_b32 v18, v42, v9
	v_add_f32_e32 v10, v10, v19
	s_waitcnt lgkmcnt(3)
	v_dual_add_f32 v12, v13, v20 :: v_dual_add_f32 v13, v14, v21
	s_waitcnt lgkmcnt(2)
	v_add_f32_e32 v14, v15, v22
	ds_bpermute_b32 v20, v11, v13
	ds_bpermute_b32 v21, v11, v14
	s_waitcnt lgkmcnt(2)
	v_add_f32_e32 v9, v9, v18
	ds_bpermute_b32 v19, v42, v10
	s_waitcnt lgkmcnt(0)
	v_add_f32_e32 v10, v10, v19
	ds_bpermute_b32 v19, v11, v12
	ds_bpermute_b32 v18, v11, v10
	v_add_f32_e32 v16, v16, v23
	ds_bpermute_b32 v23, v42, v16
	s_waitcnt lgkmcnt(0)
	v_dual_add_f32 v15, v16, v23 :: v_dual_add_f32 v16, v17, v24
	ds_bpermute_b32 v22, v11, v15
	v_add_f32_e32 v8, v8, v25
	ds_bpermute_b32 v23, v11, v16
	ds_bpermute_b32 v25, v42, v8
	s_waitcnt lgkmcnt(0)
	v_add_f32_e32 v17, v8, v25
	ds_bpermute_b32 v8, v11, v9
	ds_bpermute_b32 v24, v11, v17
	v_add_f32_e32 v11, v13, v20
	s_waitcnt lgkmcnt(1)
	v_dual_add_f32 v13, v15, v22 :: v_dual_add_f32 v8, v9, v8
	v_dual_add_f32 v9, v10, v18 :: v_dual_add_f32 v10, v12, v19
	s_waitcnt lgkmcnt(0)
	v_dual_add_f32 v15, v17, v24 :: v_dual_add_f32 v12, v14, v21
	v_add_f32_e32 v14, v16, v23
	s_cbranch_vccz .LBB17_14
; %bb.12:
	s_ashr_i32 s65, s64, 31
	v_dual_mov_b32 v16, 0 :: v_dual_max_f32 v17, v1, v1
	s_lshl_b64 s[2:3], s[64:65], 2
	v_dual_max_f32 v18, v2, v2 :: v_dual_max_f32 v21, v5, v5
	s_add_u32 s2, s52, s2
	s_addc_u32 s3, s53, s3
	v_max_f32_e32 v19, v3, v3
	global_load_b128 v[42:45], v16, s[2:3]
	v_max_f32_e32 v16, v0, v0
	v_max_f32_e32 v20, v4, v4
	v_dual_max_f32 v22, v6, v6 :: v_dual_max_f32 v47, v7, v7
	s_waitcnt vmcnt(0)
	v_max_f32_e32 v25, v44, v44
	v_dual_max_f32 v23, v42, v42 :: v_dual_max_f32 v46, v45, v45
	s_delay_alu instid0(VALU_DEP_2) | instskip(NEXT) | instid1(VALU_DEP_2)
	v_max_f32_e32 v18, v18, v25
	v_max_f32_e32 v16, v16, v23
	;; [unrolled: 1-line block ×3, first 2 shown]
	s_delay_alu instid0(VALU_DEP_4) | instskip(NEXT) | instid1(VALU_DEP_4)
	v_dual_max_f32 v19, v19, v46 :: v_dual_max_f32 v22, v22, v25
	v_sub_f32_e32 v48, v2, v18
	s_delay_alu instid0(VALU_DEP_4) | instskip(NEXT) | instid1(VALU_DEP_4)
	v_sub_f32_e32 v25, v42, v16
	v_max_f32_e32 v17, v17, v24
	s_delay_alu instid0(VALU_DEP_4) | instskip(SKIP_2) | instid1(VALU_DEP_4)
	v_sub_f32_e32 v51, v45, v19
	v_dual_max_f32 v20, v20, v23 :: v_dual_max_f32 v21, v21, v24
	v_dual_max_f32 v23, v47, v46 :: v_dual_sub_f32 v24, v0, v16
	v_sub_f32_e32 v47, v43, v17
	v_dual_sub_f32 v46, v1, v17 :: v_dual_sub_f32 v49, v44, v18
	s_delay_alu instid0(VALU_DEP_4)
	v_dual_sub_f32 v50, v3, v19 :: v_dual_sub_f32 v53, v5, v21
	v_dual_sub_f32 v52, v4, v20 :: v_dual_sub_f32 v43, v43, v21
	;; [unrolled: 1-line block ×4, first 2 shown]
	v_dual_mov_b32 v0, v16 :: v_dual_mov_b32 v3, v19
	v_dual_sub_f32 v44, v44, v22 :: v_dual_mov_b32 v1, v17
	v_dual_mov_b32 v2, v18 :: v_dual_mov_b32 v5, v21
	v_dual_mov_b32 v4, v20 :: v_dual_mov_b32 v7, v23
	v_dual_mov_b32 v6, v22 :: v_dual_mul_f32 v17, 0x3fb8aa3b, v25
	v_dual_mul_f32 v16, 0x3fb8aa3b, v24 :: v_dual_mul_f32 v19, 0x3fb8aa3b, v47
	v_dual_mul_f32 v18, 0x3fb8aa3b, v46 :: v_dual_mul_f32 v21, 0x3fb8aa3b, v49
	s_delay_alu instid0(VALU_DEP_3) | instskip(NEXT) | instid1(VALU_DEP_3)
	v_fma_f32 v66, 0x3fb8aa3b, v25, -v17
	v_fma_f32 v64, 0x3fb8aa3b, v24, -v16
	v_rndne_f32_e32 v65, v16
	v_rndne_f32_e32 v67, v17
	;; [unrolled: 1-line block ×3, first 2 shown]
	v_dual_mul_f32 v20, 0x3fb8aa3b, v48 :: v_dual_mul_f32 v23, 0x3fb8aa3b, v51
	s_delay_alu instid0(VALU_DEP_3)
	v_dual_fmac_f32 v64, 0x32a5705f, v24 :: v_dual_sub_f32 v17, v17, v67
	v_sub_f32_e32 v16, v16, v65
	v_dual_mul_f32 v56, 0x3fb8aa3b, v52 :: v_dual_mul_f32 v57, 0x3fb8aa3b, v42
	v_dual_mul_f32 v60, 0x3fb8aa3b, v54 :: v_dual_mul_f32 v63, 0x3fb8aa3b, v45
	v_fma_f32 v68, 0x3fb8aa3b, v46, -v18
	v_rndne_f32_e32 v69, v18
	v_fma_f32 v70, 0x3fb8aa3b, v47, -v19
	v_rndne_f32_e32 v75, v21
	v_dual_fmac_f32 v66, 0x32a5705f, v25 :: v_dual_sub_f32 v19, v19, v71
	v_add_f32_e32 v16, v16, v64
	v_dual_mul_f32 v22, 0x3fb8aa3b, v50 :: v_dual_mul_f32 v59, 0x3fb8aa3b, v43
	v_fma_f32 v74, 0x3fb8aa3b, v49, -v21
	v_rndne_f32_e32 v79, v23
	v_rndne_f32_e32 v83, v57
	;; [unrolled: 1-line block ×3, first 2 shown]
	v_fmac_f32_e32 v68, 0x32a5705f, v46
	v_dual_sub_f32 v18, v18, v69 :: v_dual_sub_f32 v21, v21, v75
	v_dual_mul_f32 v62, 0x3fb8aa3b, v55 :: v_dual_add_f32 v17, v17, v66
	v_exp_f32_e32 v16, v16
	v_dual_mul_f32 v58, 0x3fb8aa3b, v53 :: v_dual_mul_f32 v61, 0x3fb8aa3b, v44
	v_fma_f32 v72, 0x3fb8aa3b, v48, -v20
	v_rndne_f32_e32 v73, v20
	v_rndne_f32_e32 v77, v22
	v_fma_f32 v78, 0x3fb8aa3b, v51, -v23
	v_fma_f32 v82, 0x3fb8aa3b, v42, -v57
	;; [unrolled: 1-line block ×3, first 2 shown]
	v_cvt_i32_f32_e32 v65, v65
	v_dual_fmac_f32 v74, 0x32a5705f, v49 :: v_dual_sub_f32 v63, v63, v95
	v_fmac_f32_e32 v70, 0x32a5705f, v47
	v_sub_f32_e32 v23, v23, v79
	v_sub_f32_e32 v57, v57, v83
	s_delay_alu instid0(VALU_DEP_4)
	v_dual_add_f32 v21, v21, v74 :: v_dual_add_f32 v18, v18, v68
	v_exp_f32_e32 v17, v17
	v_fma_f32 v76, 0x3fb8aa3b, v50, -v22
	v_rndne_f32_e32 v87, v59
	v_rndne_f32_e32 v91, v61
	v_cvt_i32_f32_e32 v67, v67
	v_fmac_f32_e32 v72, 0x32a5705f, v48
	v_sub_f32_e32 v20, v20, v73
	v_dual_sub_f32 v22, v22, v77 :: v_dual_add_f32 v19, v19, v70
	v_exp_f32_e32 v18, v18
	v_ldexp_f32 v16, v16, v65
	v_cmp_ngt_f32_e32 vcc_lo, 0xc2ce8ed0, v24
	v_fma_f32 v86, 0x3fb8aa3b, v43, -v59
	v_fma_f32 v90, 0x3fb8aa3b, v44, -v61
	v_cvt_i32_f32_e32 v69, v69
	v_sub_f32_e32 v59, v59, v87
	v_dual_sub_f32 v61, v61, v91 :: v_dual_add_f32 v20, v20, v72
	v_exp_f32_e32 v19, v19
	v_ldexp_f32 v17, v17, v67
	v_cndmask_b32_e32 v16, 0, v16, vcc_lo
	v_cmp_ngt_f32_e32 vcc_lo, 0xc2ce8ed0, v25
	v_cvt_i32_f32_e32 v71, v71
	v_fmac_f32_e32 v76, 0x32a5705f, v50
	v_exp_f32_e32 v20, v20
	v_ldexp_f32 v18, v18, v69
	v_cndmask_b32_e32 v17, 0, v17, vcc_lo
	v_cmp_ngt_f32_e32 vcc_lo, 0xc2ce8ed0, v46
	v_cvt_i32_f32_e32 v73, v73
	v_exp_f32_e32 v21, v21
	v_ldexp_f32 v19, v19, v71
	v_cvt_i32_f32_e32 v75, v75
	v_cndmask_b32_e32 v18, 0, v18, vcc_lo
	v_cmp_ngt_f32_e32 vcc_lo, 0xc2ce8ed0, v47
	v_fmac_f32_e32 v82, 0x32a5705f, v42
	v_ldexp_f32 v20, v20, v73
	v_fma_f32 v80, 0x3fb8aa3b, v52, -v56
	v_rndne_f32_e32 v81, v56
	v_cndmask_b32_e32 v19, 0, v19, vcc_lo
	v_cmp_ngt_f32_e32 vcc_lo, 0xc2ce8ed0, v48
	v_dual_fmac_f32 v78, 0x32a5705f, v51 :: v_dual_add_f32 v57, v57, v82
	v_add_f32_e32 v22, v22, v76
	v_ldexp_f32 v21, v21, v75
	v_cndmask_b32_e32 v20, 0, v20, vcc_lo
	v_cmp_ngt_f32_e32 vcc_lo, 0xc2ce8ed0, v49
	v_dual_fmac_f32 v80, 0x32a5705f, v52 :: v_dual_add_f32 v23, v23, v78
	v_fmac_f32_e32 v86, 0x32a5705f, v43
	v_exp_f32_e32 v22, v22
	v_cndmask_b32_e32 v21, 0, v21, vcc_lo
	v_sub_f32_e32 v56, v56, v81
	v_cvt_i32_f32_e32 v77, v77
	v_add_f32_e32 v59, v59, v86
	v_exp_f32_e32 v23, v23
	v_cvt_i32_f32_e32 v79, v79
	v_add_f32_e32 v56, v56, v80
	v_cmp_ngt_f32_e32 vcc_lo, 0xc2ce8ed0, v50
	v_fma_f32 v88, 0x3fb8aa3b, v54, -v60
	v_ldexp_f32 v22, v22, v77
	v_cvt_i32_f32_e32 v81, v81
	v_exp_f32_e32 v56, v56
	v_exp_f32_e32 v57, v57
	v_cvt_i32_f32_e32 v83, v83
	v_ldexp_f32 v23, v23, v79
	v_cndmask_b32_e32 v22, 0, v22, vcc_lo
	v_cmp_ngt_f32_e32 vcc_lo, 0xc2ce8ed0, v51
	v_fmac_f32_e32 v88, 0x32a5705f, v54
	v_fma_f32 v84, 0x3fb8aa3b, v53, -v58
	v_rndne_f32_e32 v85, v58
	v_fmac_f32_e32 v94, 0x32a5705f, v45
	v_ldexp_f32 v56, v56, v81
	v_cndmask_b32_e32 v23, 0, v23, vcc_lo
	v_cmp_ngt_f32_e32 vcc_lo, 0xc2ce8ed0, v52
	v_ldexp_f32 v57, v57, v83
	v_dual_sub_f32 v58, v58, v85 :: v_dual_add_f32 v63, v63, v94
	v_cvt_i32_f32_e32 v85, v85
	v_cndmask_b32_e32 v56, 0, v56, vcc_lo
	v_cmp_ngt_f32_e32 vcc_lo, 0xc2ce8ed0, v42
	v_fmac_f32_e32 v90, 0x32a5705f, v44
	v_exp_f32_e32 v59, v59
	v_rndne_f32_e32 v89, v60
	v_cvt_i32_f32_e32 v87, v87
	v_cndmask_b32_e32 v57, 0, v57, vcc_lo
	v_dual_fmac_f32 v84, 0x32a5705f, v53 :: v_dual_add_f32 v61, v61, v90
	v_cmp_ngt_f32_e32 vcc_lo, 0xc2ce8ed0, v53
	v_exp_f32_e32 v63, v63
	v_fma_f32 v92, 0x3fb8aa3b, v55, -v62
	s_delay_alu instid0(VALU_DEP_3) | instskip(NEXT) | instid1(TRANS32_DEP_2)
	v_add_f32_e32 v58, v58, v84
	v_ldexp_f32 v59, v59, v87
	v_exp_f32_e32 v61, v61
	v_rndne_f32_e32 v93, v62
	v_cvt_i32_f32_e32 v91, v91
	v_exp_f32_e32 v58, v58
	v_cvt_i32_f32_e32 v95, v95
	s_delay_alu instid0(TRANS32_DEP_3) | instid1(VALU_DEP_1)
	v_ldexp_f32 v63, v63, v95
	v_sub_f32_e32 v62, v62, v93
	s_delay_alu instid0(TRANS32_DEP_2) | instskip(SKIP_3) | instid1(VALU_DEP_1)
	v_ldexp_f32 v61, v61, v91
	v_cvt_i32_f32_e32 v93, v93
	s_waitcnt_depctr 0xfff
	v_ldexp_f32 v58, v58, v85
	v_cndmask_b32_e32 v58, 0, v58, vcc_lo
	v_cmp_ngt_f32_e32 vcc_lo, 0xc2ce8ed0, v43
	v_sub_f32_e32 v60, v60, v89
	v_cvt_i32_f32_e32 v89, v89
	s_delay_alu instid0(VALU_DEP_2) | instskip(SKIP_1) | instid1(VALU_DEP_2)
	v_dual_cndmask_b32 v59, 0, v59 :: v_dual_add_f32 v60, v60, v88
	v_cmp_ngt_f32_e32 vcc_lo, 0xc2ce8ed0, v54
	v_exp_f32_e32 v60, v60
	s_waitcnt_depctr 0xfff
	v_ldexp_f32 v60, v60, v89
	s_delay_alu instid0(VALU_DEP_1) | instskip(SKIP_2) | instid1(VALU_DEP_1)
	v_cndmask_b32_e32 v60, 0, v60, vcc_lo
	v_cmp_ngt_f32_e32 vcc_lo, 0xc2ce8ed0, v44
	v_dual_fmac_f32 v92, 0x32a5705f, v55 :: v_dual_cndmask_b32 v61, 0, v61
	v_add_f32_e32 v62, v62, v92
	v_cmp_ngt_f32_e32 vcc_lo, 0xc2ce8ed0, v55
	s_delay_alu instid0(VALU_DEP_2) | instskip(SKIP_2) | instid1(VALU_DEP_1)
	v_exp_f32_e32 v62, v62
	s_waitcnt_depctr 0xfff
	v_ldexp_f32 v62, v62, v93
	v_cndmask_b32_e32 v62, 0, v62, vcc_lo
	v_cmp_ngt_f32_e32 vcc_lo, 0xc2ce8ed0, v45
	v_cndmask_b32_e32 v63, 0, v63, vcc_lo
	v_cmp_nlt_f32_e32 vcc_lo, 0x42b17218, v24
	v_cndmask_b32_e32 v24, 0x7f800000, v16, vcc_lo
	v_cmp_nlt_f32_e32 vcc_lo, 0x42b17218, v25
	;; [unrolled: 2-line block ×3, first 2 shown]
	s_delay_alu instid0(VALU_DEP_2) | instskip(SKIP_4) | instid1(VALU_DEP_3)
	v_dual_fmac_f32 v16, v8, v24 :: v_dual_cndmask_b32 v25, 0x7f800000, v18
	v_cmp_nlt_f32_e32 vcc_lo, 0x42b17218, v47
	v_cvt_f16_f32_e32 v8, v24
	v_cndmask_b32_e32 v17, 0x7f800000, v19, vcc_lo
	v_cmp_nlt_f32_e32 vcc_lo, 0x42b17218, v48
	v_pk_mul_f16 v40, v8, v40 op_sel_hi:[0,1]
	v_pk_mul_f16 v41, v8, v41 op_sel_hi:[0,1]
	s_delay_alu instid0(VALU_DEP_4)
	v_dual_mov_b32 v8, v16 :: v_dual_fmac_f32 v17, v9, v25
	v_cndmask_b32_e32 v46, 0x7f800000, v20, vcc_lo
	v_cmp_nlt_f32_e32 vcc_lo, 0x42b17218, v49
	v_cvt_f16_f32_e32 v9, v25
	v_cndmask_b32_e32 v18, 0x7f800000, v21, vcc_lo
	v_cmp_nlt_f32_e32 vcc_lo, 0x42b17218, v50
	s_delay_alu instid0(VALU_DEP_3) | instskip(SKIP_1) | instid1(VALU_DEP_4)
	v_pk_mul_f16 v38, v9, v38 op_sel_hi:[0,1]
	v_pk_mul_f16 v39, v9, v39 op_sel_hi:[0,1]
	v_dual_mov_b32 v9, v17 :: v_dual_fmac_f32 v18, v10, v46
	v_cndmask_b32_e32 v47, 0x7f800000, v22, vcc_lo
	v_cmp_nlt_f32_e32 vcc_lo, 0x42b17218, v51
	v_cvt_f16_f32_e32 v10, v46
	v_cndmask_b32_e32 v19, 0x7f800000, v23, vcc_lo
	v_cmp_nlt_f32_e32 vcc_lo, 0x42b17218, v52
	s_delay_alu instid0(VALU_DEP_3) | instskip(SKIP_1) | instid1(VALU_DEP_4)
	v_pk_mul_f16 v36, v10, v36 op_sel_hi:[0,1]
	v_pk_mul_f16 v37, v10, v37 op_sel_hi:[0,1]
	;; [unrolled: 9-line block ×5, first 2 shown]
	v_dual_mov_b32 v13, v21 :: v_dual_fmac_f32 v22, v14, v43
	v_cndmask_b32_e32 v44, 0x7f800000, v62, vcc_lo
	v_cmp_nlt_f32_e32 vcc_lo, 0x42b17218, v45
	v_cvt_f16_f32_e32 v14, v43
	v_cndmask_b32_e32 v23, 0x7f800000, v63, vcc_lo
	s_delay_alu instid0(VALU_DEP_2) | instskip(SKIP_1) | instid1(VALU_DEP_3)
	v_pk_mul_f16 v28, v14, v28 op_sel_hi:[0,1]
	v_pk_mul_f16 v29, v14, v29 op_sel_hi:[0,1]
	v_dual_mov_b32 v14, v22 :: v_dual_fmac_f32 v23, v15, v44
	v_cvt_f16_f32_e32 v15, v44
	s_delay_alu instid0(VALU_DEP_1) | instskip(SKIP_1) | instid1(VALU_DEP_4)
	v_pk_mul_f16 v27, v15, v27 op_sel_hi:[0,1]
	v_pk_mul_f16 v26, v15, v26 op_sel_hi:[0,1]
	v_mov_b32_e32 v15, v23
	s_mov_b32 s2, exec_lo
	v_cmpx_gt_i32_e64 s62, v191
	s_cbranch_execnz .LBB17_15
.LBB17_13:
	s_nop 0
	s_sendmsg sendmsg(MSG_DEALLOC_VGPRS)
	s_endpgm
.LBB17_14:
	s_delay_alu instid0(VALU_DEP_1) | instskip(NEXT) | instid1(VALU_DEP_3)
	v_dual_mov_b32 v23, v15 :: v_dual_mov_b32 v22, v14
	v_dual_mov_b32 v21, v13 :: v_dual_mov_b32 v20, v12
	;; [unrolled: 1-line block ×4, first 2 shown]
	s_mov_b32 s2, exec_lo
	v_cmpx_gt_i32_e64 s62, v191
	s_cbranch_execz .LBB17_13
.LBB17_15:
	s_load_b32 s1, s[0:1], 0xd4
	v_mov_b32_e32 v43, 1.0
	s_waitcnt lgkmcnt(0)
	s_cmp_lg_u32 s1, 1
	s_cselect_b32 s4, -1, 0
	s_cmp_eq_u32 s1, 1
	s_cselect_b32 s2, -1, 0
	s_and_b32 vcc_lo, exec_lo, s4
	s_cbranch_vccnz .LBB17_17
; %bb.16:
	v_div_scale_f32 v24, null, v8, v8, 1.0
	s_delay_alu instid0(VALU_DEP_1) | instskip(SKIP_2) | instid1(VALU_DEP_1)
	v_rcp_f32_e32 v25, v24
	s_waitcnt_depctr 0xfff
	v_fma_f32 v42, -v24, v25, 1.0
	v_fmac_f32_e32 v25, v42, v25
	v_div_scale_f32 v42, vcc_lo, 1.0, v8, 1.0
	s_delay_alu instid0(VALU_DEP_1) | instskip(NEXT) | instid1(VALU_DEP_1)
	v_mul_f32_e32 v43, v42, v25
	v_fma_f32 v44, -v24, v43, v42
	s_delay_alu instid0(VALU_DEP_1) | instskip(NEXT) | instid1(VALU_DEP_1)
	v_fmac_f32_e32 v43, v44, v25
	v_fma_f32 v24, -v24, v43, v42
	s_delay_alu instid0(VALU_DEP_1) | instskip(NEXT) | instid1(VALU_DEP_1)
	v_div_fmas_f32 v24, v24, v25, v43
	v_div_fixup_f32 v43, v24, v8, 1.0
.LBB17_17:
	s_mul_i32 s3, s70, s62
	v_cvt_f32_f16_e32 v46, v40
	s_add_i32 s3, s3, s51
	v_cvt_f32_f16_e32 v47, v41
	v_dual_mov_b32 v45, 0 :: v_dual_add_nc_u32 v8, s3, v190
	v_cmp_eq_u32_e32 vcc_lo, 0, v189
	s_delay_alu instid0(VALU_DEP_2) | instskip(SKIP_1) | instid1(VALU_DEP_1)
	v_mul_lo_u32 v42, v8, s63
	s_and_b32 s5, vcc_lo, s4
	v_add_nc_u32_e32 v8, s64, v42
	s_delay_alu instid0(VALU_DEP_1) | instskip(SKIP_2) | instid1(VALU_DEP_2)
	v_mad_u64_u32 v[24:25], null, s1, v8, s[14:15]
	v_lshrrev_b32_e32 v8, 16, v40
	v_lshrrev_b32_e32 v25, 16, v41
	v_cvt_f32_f16_e32 v8, v8
	s_delay_alu instid0(VALU_DEP_4) | instskip(NEXT) | instid1(VALU_DEP_3)
	v_lshl_add_u32 v44, v24, 7, v186
	v_cvt_f32_f16_e32 v25, v25
	s_delay_alu instid0(VALU_DEP_2) | instskip(SKIP_2) | instid1(VALU_DEP_4)
	v_lshlrev_b64 v[40:41], 2, v[44:45]
	v_mul_f32_e32 v44, v43, v46
	v_mul_f32_e32 v46, v43, v47
	;; [unrolled: 1-line block ×4, first 2 shown]
	v_add_co_u32 v40, s0, s56, v40
	s_delay_alu instid0(VALU_DEP_1)
	v_add_co_ci_u32_e64 v41, s0, s57, v41, s0
	global_store_b128 v[40:41], v[44:47], off
	s_and_saveexec_b32 s0, s5
	s_cbranch_execz .LBB17_19
; %bb.18:
	v_ashrrev_i32_e32 v25, 31, v24
	v_mov_b32_e32 v40, v0
	v_mov_b32_e32 v41, v16
	s_delay_alu instid0(VALU_DEP_3) | instskip(NEXT) | instid1(VALU_DEP_1)
	v_lshlrev_b64 v[24:25], 3, v[24:25]
	v_add_co_u32 v24, vcc_lo, s58, v24
	s_delay_alu instid0(VALU_DEP_2)
	v_add_co_ci_u32_e32 v25, vcc_lo, s59, v25, vcc_lo
	global_store_b64 v[24:25], v[40:41], off
.LBB17_19:
	s_or_b32 exec_lo, exec_lo, s0
	v_cndmask_b32_e64 v24, 0, 1, s2
	v_mov_b32_e32 v0, 1.0
	s_and_not1_b32 vcc_lo, exec_lo, s2
	s_cbranch_vccnz .LBB17_21
; %bb.20:
	v_div_scale_f32 v0, null, v9, v9, 1.0
	s_delay_alu instid0(VALU_DEP_1) | instskip(SKIP_2) | instid1(VALU_DEP_1)
	v_rcp_f32_e32 v8, v0
	s_waitcnt_depctr 0xfff
	v_fma_f32 v16, -v0, v8, 1.0
	v_fmac_f32_e32 v8, v16, v8
	v_div_scale_f32 v16, vcc_lo, 1.0, v9, 1.0
	s_delay_alu instid0(VALU_DEP_1) | instskip(NEXT) | instid1(VALU_DEP_1)
	v_mul_f32_e32 v25, v16, v8
	v_fma_f32 v40, -v0, v25, v16
	s_delay_alu instid0(VALU_DEP_1) | instskip(NEXT) | instid1(VALU_DEP_1)
	v_fmac_f32_e32 v25, v40, v8
	v_fma_f32 v0, -v0, v25, v16
	s_delay_alu instid0(VALU_DEP_1) | instskip(NEXT) | instid1(VALU_DEP_1)
	v_div_fmas_f32 v0, v0, v8, v25
	v_div_fixup_f32 v0, v0, v9, 1.0
.LBB17_21:
	s_add_i32 s4, s64, 1
	v_cvt_f32_f16_e32 v25, v38
	v_dual_mov_b32 v41, 0 :: v_dual_add_nc_u32 v16, s4, v42
	s_delay_alu instid0(VALU_DEP_1) | instskip(SKIP_4) | instid1(VALU_DEP_4)
	v_mad_u64_u32 v[8:9], null, s1, v16, s[14:15]
	v_lshrrev_b32_e32 v9, 16, v38
	v_lshrrev_b32_e32 v16, 16, v39
	v_cvt_f32_f16_e32 v39, v39
	v_mul_f32_e32 v38, v0, v25
	v_cvt_f32_f16_e32 v9, v9
	v_lshl_add_u32 v40, v8, 7, v186
	v_cvt_f32_f16_e32 v16, v16
	s_delay_alu instid0(VALU_DEP_2) | instskip(SKIP_2) | instid1(VALU_DEP_4)
	v_lshlrev_b64 v[43:44], 2, v[40:41]
	v_mul_f32_e32 v40, v0, v39
	v_mul_f32_e32 v39, v0, v9
	;; [unrolled: 1-line block ×3, first 2 shown]
	s_delay_alu instid0(VALU_DEP_4)
	v_add_co_u32 v43, vcc_lo, s56, v43
	v_add_co_ci_u32_e32 v44, vcc_lo, s57, v44, vcc_lo
	global_store_b128 v[43:44], v[38:41], off
	s_and_saveexec_b32 s0, s5
	s_cbranch_execz .LBB17_23
; %bb.22:
	v_ashrrev_i32_e32 v9, 31, v8
	v_mov_b32_e32 v16, v1
	s_delay_alu instid0(VALU_DEP_2) | instskip(NEXT) | instid1(VALU_DEP_1)
	v_lshlrev_b64 v[8:9], 3, v[8:9]
	v_add_co_u32 v8, vcc_lo, s58, v8
	s_delay_alu instid0(VALU_DEP_2)
	v_add_co_ci_u32_e32 v9, vcc_lo, s59, v9, vcc_lo
	global_store_b64 v[8:9], v[16:17], off
.LBB17_23:
	s_or_b32 exec_lo, exec_lo, s0
	v_cmp_ne_u32_e32 vcc_lo, 1, v24
	v_mov_b32_e32 v8, 1.0
	s_cbranch_vccnz .LBB17_25
; %bb.24:
	v_div_scale_f32 v0, null, v10, v10, 1.0
	s_delay_alu instid0(VALU_DEP_1) | instskip(SKIP_2) | instid1(VALU_DEP_1)
	v_rcp_f32_e32 v1, v0
	s_waitcnt_depctr 0xfff
	v_fma_f32 v8, -v0, v1, 1.0
	v_fmac_f32_e32 v1, v8, v1
	v_div_scale_f32 v8, vcc_lo, 1.0, v10, 1.0
	s_delay_alu instid0(VALU_DEP_1) | instskip(NEXT) | instid1(VALU_DEP_1)
	v_mul_f32_e32 v9, v8, v1
	v_fma_f32 v16, -v0, v9, v8
	s_delay_alu instid0(VALU_DEP_1) | instskip(NEXT) | instid1(VALU_DEP_1)
	v_fmac_f32_e32 v9, v16, v1
	v_fma_f32 v0, -v0, v9, v8
	s_delay_alu instid0(VALU_DEP_1) | instskip(NEXT) | instid1(VALU_DEP_1)
	v_div_fmas_f32 v0, v0, v1, v9
	v_div_fixup_f32 v8, v0, v10, 1.0
.LBB17_25:
	s_add_i32 s2, s64, 2
	v_lshrrev_b32_e32 v16, 16, v37
	v_dual_mov_b32 v10, 0 :: v_dual_add_nc_u32 v9, s2, v42
	v_cvt_f32_f16_e32 v17, v36
	v_cvt_f32_f16_e32 v25, v37
	s_delay_alu instid0(VALU_DEP_4) | instskip(NEXT) | instid1(VALU_DEP_4)
	v_cvt_f32_f16_e32 v16, v16
	v_mad_u64_u32 v[0:1], null, s1, v9, s[14:15]
	v_lshrrev_b32_e32 v1, 16, v36
	v_mul_f32_e32 v36, v8, v17
	v_mul_f32_e32 v38, v8, v25
	;; [unrolled: 1-line block ×3, first 2 shown]
	s_delay_alu instid0(VALU_DEP_4) | instskip(SKIP_1) | instid1(VALU_DEP_2)
	v_cvt_f32_f16_e32 v1, v1
	v_lshl_add_u32 v9, v0, 7, v186
	v_mul_f32_e32 v37, v8, v1
	s_delay_alu instid0(VALU_DEP_2) | instskip(NEXT) | instid1(VALU_DEP_1)
	v_lshlrev_b64 v[9:10], 2, v[9:10]
	v_add_co_u32 v8, vcc_lo, s56, v9
	s_delay_alu instid0(VALU_DEP_2)
	v_add_co_ci_u32_e32 v9, vcc_lo, s57, v10, vcc_lo
	global_store_b128 v[8:9], v[36:39], off
	s_and_saveexec_b32 s0, s5
	s_cbranch_execz .LBB17_27
; %bb.26:
	v_ashrrev_i32_e32 v1, 31, v0
	v_mov_b32_e32 v17, v2
	s_delay_alu instid0(VALU_DEP_2) | instskip(NEXT) | instid1(VALU_DEP_1)
	v_lshlrev_b64 v[0:1], 3, v[0:1]
	v_add_co_u32 v0, vcc_lo, s58, v0
	s_delay_alu instid0(VALU_DEP_2)
	v_add_co_ci_u32_e32 v1, vcc_lo, s59, v1, vcc_lo
	global_store_b64 v[0:1], v[17:18], off
.LBB17_27:
	s_or_b32 exec_lo, exec_lo, s0
	v_cmp_ne_u32_e32 vcc_lo, 1, v24
	v_mov_b32_e32 v2, 1.0
	s_cbranch_vccnz .LBB17_29
; %bb.28:
	v_div_scale_f32 v0, null, v11, v11, 1.0
	s_delay_alu instid0(VALU_DEP_1) | instskip(SKIP_2) | instid1(VALU_DEP_1)
	v_rcp_f32_e32 v1, v0
	s_waitcnt_depctr 0xfff
	v_fma_f32 v2, -v0, v1, 1.0
	v_fmac_f32_e32 v1, v2, v1
	v_div_scale_f32 v2, vcc_lo, 1.0, v11, 1.0
	s_delay_alu instid0(VALU_DEP_1) | instskip(NEXT) | instid1(VALU_DEP_1)
	v_mul_f32_e32 v8, v2, v1
	v_fma_f32 v9, -v0, v8, v2
	s_delay_alu instid0(VALU_DEP_1) | instskip(NEXT) | instid1(VALU_DEP_1)
	v_fmac_f32_e32 v8, v9, v1
	v_fma_f32 v0, -v0, v8, v2
	s_delay_alu instid0(VALU_DEP_1) | instskip(NEXT) | instid1(VALU_DEP_1)
	v_div_fmas_f32 v0, v0, v1, v8
	v_div_fixup_f32 v2, v0, v11, 1.0
.LBB17_29:
	s_add_i32 s0, s64, 3
	v_lshrrev_b32_e32 v10, 16, v35
	v_dual_mov_b32 v9, 0 :: v_dual_add_nc_u32 v8, s0, v42
	v_cvt_f32_f16_e32 v11, v34
	v_cvt_f32_f16_e32 v18, v35
	s_delay_alu instid0(VALU_DEP_4) | instskip(NEXT) | instid1(VALU_DEP_4)
	v_cvt_f32_f16_e32 v25, v10
	v_mad_u64_u32 v[0:1], null, s1, v8, s[14:15]
	v_lshrrev_b32_e32 v1, 16, v34
	s_delay_alu instid0(VALU_DEP_4) | instskip(NEXT) | instid1(VALU_DEP_2)
	v_mul_f32_e32 v10, v2, v18
	v_cvt_f32_f16_e32 v1, v1
	s_delay_alu instid0(VALU_DEP_4) | instskip(NEXT) | instid1(VALU_DEP_1)
	v_lshl_add_u32 v8, v0, 7, v186
	v_lshlrev_b64 v[16:17], 2, v[8:9]
	s_delay_alu instid0(VALU_DEP_3) | instskip(SKIP_2) | instid1(VALU_DEP_4)
	v_mul_f32_e32 v9, v2, v1
	v_mul_f32_e32 v8, v2, v11
	;; [unrolled: 1-line block ×3, first 2 shown]
	v_add_co_u32 v1, vcc_lo, s56, v16
	v_add_co_ci_u32_e32 v2, vcc_lo, s57, v17, vcc_lo
	global_store_b128 v[1:2], v[8:11], off
	s_and_saveexec_b32 s6, s5
	s_cbranch_execz .LBB17_31
; %bb.30:
	v_ashrrev_i32_e32 v1, 31, v0
	v_mov_b32_e32 v18, v3
	s_delay_alu instid0(VALU_DEP_2) | instskip(NEXT) | instid1(VALU_DEP_1)
	v_lshlrev_b64 v[0:1], 3, v[0:1]
	v_add_co_u32 v0, vcc_lo, s58, v0
	s_delay_alu instid0(VALU_DEP_2)
	v_add_co_ci_u32_e32 v1, vcc_lo, s59, v1, vcc_lo
	global_store_b64 v[0:1], v[18:19], off
.LBB17_31:
	s_or_b32 exec_lo, exec_lo, s6
	v_cmp_gt_i32_e32 vcc_lo, s62, v188
	s_and_b32 exec_lo, exec_lo, vcc_lo
	s_cbranch_execz .LBB17_13
; %bb.32:
	v_cmp_ne_u32_e32 vcc_lo, 1, v24
	v_mov_b32_e32 v2, 1.0
	s_cbranch_vccnz .LBB17_34
; %bb.33:
	v_div_scale_f32 v0, null, v12, v12, 1.0
	s_delay_alu instid0(VALU_DEP_1) | instskip(SKIP_2) | instid1(VALU_DEP_1)
	v_rcp_f32_e32 v1, v0
	s_waitcnt_depctr 0xfff
	v_fma_f32 v2, -v0, v1, 1.0
	v_fmac_f32_e32 v1, v2, v1
	v_div_scale_f32 v2, vcc_lo, 1.0, v12, 1.0
	s_delay_alu instid0(VALU_DEP_1) | instskip(NEXT) | instid1(VALU_DEP_1)
	v_mul_f32_e32 v3, v2, v1
	v_fma_f32 v8, -v0, v3, v2
	s_delay_alu instid0(VALU_DEP_1) | instskip(NEXT) | instid1(VALU_DEP_1)
	v_fmac_f32_e32 v3, v8, v1
	v_fma_f32 v0, -v0, v3, v2
	s_delay_alu instid0(VALU_DEP_1) | instskip(NEXT) | instid1(VALU_DEP_1)
	v_div_fmas_f32 v0, v0, v1, v3
	v_div_fixup_f32 v2, v0, v12, 1.0
.LBB17_34:
	v_add_nc_u32_e32 v0, s3, v187
	v_lshrrev_b32_e32 v3, 16, v33
	v_cvt_f32_f16_e32 v10, v32
	v_cvt_f32_f16_e32 v11, v33
	s_delay_alu instid0(VALU_DEP_4) | instskip(SKIP_2) | instid1(VALU_DEP_3)
	v_mad_u64_u32 v[8:9], null, v0, s63, s[64:65]
	v_mov_b32_e32 v9, 0
	v_cvt_f32_f16_e32 v3, v3
	v_mad_u64_u32 v[0:1], null, s1, v8, s[14:15]
	v_lshrrev_b32_e32 v1, 16, v32
	s_delay_alu instid0(VALU_DEP_1) | instskip(NEXT) | instid1(VALU_DEP_3)
	v_cvt_f32_f16_e32 v1, v1
	v_lshl_add_u32 v8, v0, 7, v186
	s_delay_alu instid0(VALU_DEP_1) | instskip(NEXT) | instid1(VALU_DEP_3)
	v_lshlrev_b64 v[16:17], 2, v[8:9]
	v_mul_f32_e32 v9, v2, v1
	v_mul_f32_e32 v8, v2, v10
	;; [unrolled: 1-line block ×4, first 2 shown]
	v_add_co_u32 v1, vcc_lo, s56, v16
	v_add_co_ci_u32_e32 v2, vcc_lo, s57, v17, vcc_lo
	global_store_b128 v[1:2], v[8:11], off
	s_and_saveexec_b32 s6, s5
	s_cbranch_execz .LBB17_36
; %bb.35:
	v_ashrrev_i32_e32 v1, 31, v0
	v_mov_b32_e32 v19, v4
	s_delay_alu instid0(VALU_DEP_2) | instskip(NEXT) | instid1(VALU_DEP_1)
	v_lshlrev_b64 v[0:1], 3, v[0:1]
	v_add_co_u32 v0, vcc_lo, s58, v0
	s_delay_alu instid0(VALU_DEP_2)
	v_add_co_ci_u32_e32 v1, vcc_lo, s59, v1, vcc_lo
	global_store_b64 v[0:1], v[19:20], off
.LBB17_36:
	s_or_b32 exec_lo, exec_lo, s6
	v_cmp_gt_i32_e32 vcc_lo, s62, v185
	s_and_b32 exec_lo, exec_lo, vcc_lo
	s_cbranch_execz .LBB17_13
; %bb.37:
	v_cmp_ne_u32_e32 vcc_lo, 1, v24
	v_mov_b32_e32 v2, 1.0
	s_cbranch_vccnz .LBB17_39
; %bb.38:
	v_div_scale_f32 v0, null, v13, v13, 1.0
	s_delay_alu instid0(VALU_DEP_1) | instskip(SKIP_2) | instid1(VALU_DEP_1)
	v_rcp_f32_e32 v1, v0
	s_waitcnt_depctr 0xfff
	v_fma_f32 v2, -v0, v1, 1.0
	v_fmac_f32_e32 v1, v2, v1
	v_div_scale_f32 v2, vcc_lo, 1.0, v13, 1.0
	s_delay_alu instid0(VALU_DEP_1) | instskip(NEXT) | instid1(VALU_DEP_1)
	v_mul_f32_e32 v3, v2, v1
	v_fma_f32 v4, -v0, v3, v2
	s_delay_alu instid0(VALU_DEP_1) | instskip(NEXT) | instid1(VALU_DEP_1)
	v_fmac_f32_e32 v3, v4, v1
	v_fma_f32 v0, -v0, v3, v2
	s_delay_alu instid0(VALU_DEP_1) | instskip(NEXT) | instid1(VALU_DEP_1)
	v_div_fmas_f32 v0, v0, v1, v3
	v_div_fixup_f32 v2, v0, v13, 1.0
.LBB17_39:
	v_add_nc_u32_e32 v0, s3, v184
	v_lshrrev_b32_e32 v8, 16, v31
	v_cvt_f32_f16_e32 v9, v30
	v_cvt_f32_f16_e32 v10, v31
	s_delay_alu instid0(VALU_DEP_4) | instskip(NEXT) | instid1(VALU_DEP_4)
	v_mad_u64_u32 v[3:4], null, v0, s63, s[4:5]
	v_cvt_f32_f16_e32 v11, v8
	v_mov_b32_e32 v4, 0
	v_mul_f32_e32 v8, v2, v9
	v_mul_f32_e32 v10, v2, v10
	s_delay_alu instid0(VALU_DEP_4) | instskip(SKIP_2) | instid1(VALU_DEP_1)
	v_mul_f32_e32 v11, v2, v11
	v_mad_u64_u32 v[0:1], null, s1, v3, s[14:15]
	v_lshrrev_b32_e32 v1, 16, v30
	v_cvt_f32_f16_e32 v1, v1
	s_delay_alu instid0(VALU_DEP_3) | instskip(NEXT) | instid1(VALU_DEP_2)
	v_lshl_add_u32 v3, v0, 7, v186
	v_mul_f32_e32 v9, v2, v1
	s_delay_alu instid0(VALU_DEP_2) | instskip(NEXT) | instid1(VALU_DEP_1)
	v_lshlrev_b64 v[3:4], 2, v[3:4]
	v_add_co_u32 v1, vcc_lo, s56, v3
	s_delay_alu instid0(VALU_DEP_2)
	v_add_co_ci_u32_e32 v2, vcc_lo, s57, v4, vcc_lo
	global_store_b128 v[1:2], v[8:11], off
	s_and_saveexec_b32 s4, s5
	s_cbranch_execz .LBB17_41
; %bb.40:
	v_ashrrev_i32_e32 v1, 31, v0
	v_mov_b32_e32 v20, v5
	s_delay_alu instid0(VALU_DEP_2) | instskip(NEXT) | instid1(VALU_DEP_1)
	v_lshlrev_b64 v[0:1], 3, v[0:1]
	v_add_co_u32 v0, vcc_lo, s58, v0
	s_delay_alu instid0(VALU_DEP_2)
	v_add_co_ci_u32_e32 v1, vcc_lo, s59, v1, vcc_lo
	global_store_b64 v[0:1], v[20:21], off
.LBB17_41:
	s_or_b32 exec_lo, exec_lo, s4
	v_cmp_gt_i32_e32 vcc_lo, s62, v183
	s_and_b32 exec_lo, exec_lo, vcc_lo
	s_cbranch_execz .LBB17_13
; %bb.42:
	v_cmp_ne_u32_e32 vcc_lo, 1, v24
	v_mov_b32_e32 v2, 1.0
	s_cbranch_vccnz .LBB17_44
; %bb.43:
	v_div_scale_f32 v0, null, v14, v14, 1.0
	s_delay_alu instid0(VALU_DEP_1) | instskip(SKIP_2) | instid1(VALU_DEP_1)
	v_rcp_f32_e32 v1, v0
	s_waitcnt_depctr 0xfff
	v_fma_f32 v2, -v0, v1, 1.0
	v_fmac_f32_e32 v1, v2, v1
	v_div_scale_f32 v2, vcc_lo, 1.0, v14, 1.0
	s_delay_alu instid0(VALU_DEP_1) | instskip(NEXT) | instid1(VALU_DEP_1)
	v_mul_f32_e32 v3, v2, v1
	v_fma_f32 v4, -v0, v3, v2
	s_delay_alu instid0(VALU_DEP_1) | instskip(NEXT) | instid1(VALU_DEP_1)
	v_fmac_f32_e32 v3, v4, v1
	v_fma_f32 v0, -v0, v3, v2
	s_delay_alu instid0(VALU_DEP_1) | instskip(NEXT) | instid1(VALU_DEP_1)
	v_div_fmas_f32 v0, v0, v1, v3
	v_div_fixup_f32 v2, v0, v14, 1.0
.LBB17_44:
	v_add_nc_u32_e32 v0, s3, v182
	v_lshrrev_b32_e32 v5, 16, v29
	v_cvt_f32_f16_e32 v9, v29
	v_cvt_f32_f16_e32 v8, v28
	s_delay_alu instid0(VALU_DEP_4) | instskip(NEXT) | instid1(VALU_DEP_4)
	v_mad_u64_u32 v[3:4], null, v0, s63, s[2:3]
	v_cvt_f32_f16_e32 v5, v5
	v_mov_b32_e32 v4, 0
	v_mul_f32_e32 v10, v2, v9
	v_mul_f32_e32 v8, v2, v8
	s_delay_alu instid0(VALU_DEP_4) | instskip(SKIP_2) | instid1(VALU_DEP_1)
	v_mul_f32_e32 v11, v2, v5
	v_mad_u64_u32 v[0:1], null, s1, v3, s[14:15]
	v_lshrrev_b32_e32 v1, 16, v28
	v_cvt_f32_f16_e32 v1, v1
	s_delay_alu instid0(VALU_DEP_3) | instskip(NEXT) | instid1(VALU_DEP_2)
	v_lshl_add_u32 v3, v0, 7, v186
	v_mul_f32_e32 v9, v2, v1
	s_delay_alu instid0(VALU_DEP_2) | instskip(NEXT) | instid1(VALU_DEP_1)
	v_lshlrev_b64 v[3:4], 2, v[3:4]
	v_add_co_u32 v1, vcc_lo, s56, v3
	s_delay_alu instid0(VALU_DEP_2)
	v_add_co_ci_u32_e32 v2, vcc_lo, s57, v4, vcc_lo
	global_store_b128 v[1:2], v[8:11], off
	s_and_saveexec_b32 s2, s5
	s_cbranch_execz .LBB17_46
; %bb.45:
	v_ashrrev_i32_e32 v1, 31, v0
	v_mov_b32_e32 v21, v6
	s_delay_alu instid0(VALU_DEP_2) | instskip(NEXT) | instid1(VALU_DEP_1)
	v_lshlrev_b64 v[0:1], 3, v[0:1]
	v_add_co_u32 v0, vcc_lo, s58, v0
	s_delay_alu instid0(VALU_DEP_2)
	v_add_co_ci_u32_e32 v1, vcc_lo, s59, v1, vcc_lo
	global_store_b64 v[0:1], v[21:22], off
.LBB17_46:
	s_or_b32 exec_lo, exec_lo, s2
	v_cmp_gt_i32_e32 vcc_lo, s62, v181
	s_and_b32 exec_lo, exec_lo, vcc_lo
	s_cbranch_execz .LBB17_13
; %bb.47:
	v_cmp_ne_u32_e32 vcc_lo, 1, v24
	v_mov_b32_e32 v2, 1.0
	s_cbranch_vccnz .LBB17_49
; %bb.48:
	v_div_scale_f32 v0, null, v15, v15, 1.0
	s_delay_alu instid0(VALU_DEP_1) | instskip(SKIP_2) | instid1(VALU_DEP_1)
	v_rcp_f32_e32 v1, v0
	s_waitcnt_depctr 0xfff
	v_fma_f32 v2, -v0, v1, 1.0
	v_fmac_f32_e32 v1, v2, v1
	v_div_scale_f32 v2, vcc_lo, 1.0, v15, 1.0
	s_delay_alu instid0(VALU_DEP_1) | instskip(NEXT) | instid1(VALU_DEP_1)
	v_mul_f32_e32 v3, v2, v1
	v_fma_f32 v4, -v0, v3, v2
	s_delay_alu instid0(VALU_DEP_1) | instskip(NEXT) | instid1(VALU_DEP_1)
	v_fmac_f32_e32 v3, v4, v1
	v_fma_f32 v0, -v0, v3, v2
	s_delay_alu instid0(VALU_DEP_1) | instskip(NEXT) | instid1(VALU_DEP_1)
	v_div_fmas_f32 v0, v0, v1, v3
	v_div_fixup_f32 v2, v0, v15, 1.0
.LBB17_49:
	v_cvt_f32_f16_e32 v6, v27
	v_add_nc_u32_e32 v0, s3, v180
	v_lshrrev_b32_e32 v5, 16, v26
	v_cvt_f32_f16_e32 v10, v26
	s_delay_alu instid0(VALU_DEP_3) | instskip(SKIP_1) | instid1(VALU_DEP_4)
	v_mad_u64_u32 v[3:4], null, v0, s63, s[0:1]
	v_mov_b32_e32 v4, 0
	v_cvt_f32_f16_e32 v11, v5
	s_delay_alu instid0(VALU_DEP_4) | instskip(NEXT) | instid1(VALU_DEP_4)
	v_mul_f32_e32 v5, v2, v10
	v_mad_u64_u32 v[0:1], null, s1, v3, s[14:15]
	v_lshrrev_b32_e32 v1, 16, v27
	s_delay_alu instid0(VALU_DEP_1) | instskip(NEXT) | instid1(VALU_DEP_3)
	v_cvt_f32_f16_e32 v1, v1
	v_lshl_add_u32 v3, v0, 7, v186
	s_delay_alu instid0(VALU_DEP_1) | instskip(NEXT) | instid1(VALU_DEP_3)
	v_lshlrev_b64 v[8:9], 2, v[3:4]
	v_mul_f32_e32 v4, v2, v1
	v_mul_f32_e32 v3, v2, v6
	;; [unrolled: 1-line block ×3, first 2 shown]
	s_delay_alu instid0(VALU_DEP_4)
	v_add_co_u32 v1, vcc_lo, s56, v8
	v_add_co_ci_u32_e32 v2, vcc_lo, s57, v9, vcc_lo
	global_store_b128 v[1:2], v[3:6], off
	s_and_b32 exec_lo, exec_lo, s5
	s_cbranch_execz .LBB17_13
; %bb.50:
	v_ashrrev_i32_e32 v1, 31, v0
	v_mov_b32_e32 v22, v7
	s_delay_alu instid0(VALU_DEP_2) | instskip(NEXT) | instid1(VALU_DEP_1)
	v_lshlrev_b64 v[0:1], 3, v[0:1]
	v_add_co_u32 v0, vcc_lo, s58, v0
	s_delay_alu instid0(VALU_DEP_2)
	v_add_co_ci_u32_e32 v1, vcc_lo, s59, v1, vcc_lo
	global_store_b64 v[0:1], v[22:23], off
	s_nop 0
	s_sendmsg sendmsg(MSG_DEALLOC_VGPRS)
	s_endpgm
	.section	.rodata,"a",@progbits
	.p2align	6, 0x0
	.amdhsa_kernel _ZL15flash_attn_tileILi128ELi128ELi16ELi4ELb0EEvPKcS1_S1_S1_S1_PKiPfP15HIP_vector_typeIfLj2EEffffjfiS5_IjLj3EEiiiiiiiiiiiliiliiiiil
		.amdhsa_group_segment_fixed_size 33792
		.amdhsa_private_segment_fixed_size 0
		.amdhsa_kernarg_size 464
		.amdhsa_user_sgpr_count 13
		.amdhsa_user_sgpr_dispatch_ptr 0
		.amdhsa_user_sgpr_queue_ptr 0
		.amdhsa_user_sgpr_kernarg_segment_ptr 1
		.amdhsa_user_sgpr_dispatch_id 0
		.amdhsa_user_sgpr_private_segment_size 0
		.amdhsa_wavefront_size32 1
		.amdhsa_uses_dynamic_stack 0
		.amdhsa_enable_private_segment 0
		.amdhsa_system_sgpr_workgroup_id_x 1
		.amdhsa_system_sgpr_workgroup_id_y 1
		.amdhsa_system_sgpr_workgroup_id_z 1
		.amdhsa_system_sgpr_workgroup_info 0
		.amdhsa_system_vgpr_workitem_id 1
		.amdhsa_next_free_vgpr 238
		.amdhsa_next_free_sgpr 74
		.amdhsa_reserve_vcc 1
		.amdhsa_float_round_mode_32 0
		.amdhsa_float_round_mode_16_64 0
		.amdhsa_float_denorm_mode_32 3
		.amdhsa_float_denorm_mode_16_64 3
		.amdhsa_dx10_clamp 1
		.amdhsa_ieee_mode 1
		.amdhsa_fp16_overflow 0
		.amdhsa_workgroup_processor_mode 1
		.amdhsa_memory_ordered 1
		.amdhsa_forward_progress 0
		.amdhsa_shared_vgpr_count 0
		.amdhsa_exception_fp_ieee_invalid_op 0
		.amdhsa_exception_fp_denorm_src 0
		.amdhsa_exception_fp_ieee_div_zero 0
		.amdhsa_exception_fp_ieee_overflow 0
		.amdhsa_exception_fp_ieee_underflow 0
		.amdhsa_exception_fp_ieee_inexact 0
		.amdhsa_exception_int_div_zero 0
	.end_amdhsa_kernel
	.section	.text._ZL15flash_attn_tileILi128ELi128ELi16ELi4ELb0EEvPKcS1_S1_S1_S1_PKiPfP15HIP_vector_typeIfLj2EEffffjfiS5_IjLj3EEiiiiiiiiiiiliiliiiiil,"axG",@progbits,_ZL15flash_attn_tileILi128ELi128ELi16ELi4ELb0EEvPKcS1_S1_S1_S1_PKiPfP15HIP_vector_typeIfLj2EEffffjfiS5_IjLj3EEiiiiiiiiiiiliiliiiiil,comdat
.Lfunc_end17:
	.size	_ZL15flash_attn_tileILi128ELi128ELi16ELi4ELb0EEvPKcS1_S1_S1_S1_PKiPfP15HIP_vector_typeIfLj2EEffffjfiS5_IjLj3EEiiiiiiiiiiiliiliiiiil, .Lfunc_end17-_ZL15flash_attn_tileILi128ELi128ELi16ELi4ELb0EEvPKcS1_S1_S1_S1_PKiPfP15HIP_vector_typeIfLj2EEffffjfiS5_IjLj3EEiiiiiiiiiiiliiliiiiil
                                        ; -- End function
	.section	.AMDGPU.csdata,"",@progbits
; Kernel info:
; codeLenInByte = 43908
; NumSgprs: 76
; NumVgprs: 238
; ScratchSize: 0
; MemoryBound: 0
; FloatMode: 240
; IeeeMode: 1
; LDSByteSize: 33792 bytes/workgroup (compile time only)
; SGPRBlocks: 9
; VGPRBlocks: 29
; NumSGPRsForWavesPerEU: 76
; NumVGPRsForWavesPerEU: 238
; Occupancy: 6
; WaveLimiterHint : 1
; COMPUTE_PGM_RSRC2:SCRATCH_EN: 0
; COMPUTE_PGM_RSRC2:USER_SGPR: 13
; COMPUTE_PGM_RSRC2:TRAP_HANDLER: 0
; COMPUTE_PGM_RSRC2:TGID_X_EN: 1
; COMPUTE_PGM_RSRC2:TGID_Y_EN: 1
; COMPUTE_PGM_RSRC2:TGID_Z_EN: 1
; COMPUTE_PGM_RSRC2:TIDIG_COMP_CNT: 1
	.section	.text._ZL25flash_attn_mask_to_KV_maxILi16EEvPK7__half2Piiii,"axG",@progbits,_ZL25flash_attn_mask_to_KV_maxILi16EEvPK7__half2Piiii,comdat
	.globl	_ZL25flash_attn_mask_to_KV_maxILi16EEvPK7__half2Piiii ; -- Begin function _ZL25flash_attn_mask_to_KV_maxILi16EEvPK7__half2Piiii
	.p2align	8
	.type	_ZL25flash_attn_mask_to_KV_maxILi16EEvPK7__half2Piiii,@function
_ZL25flash_attn_mask_to_KV_maxILi16EEvPK7__half2Piiii: ; @_ZL25flash_attn_mask_to_KV_maxILi16EEvPK7__half2Piiii
; %bb.0:
	s_load_b128 s[4:7], s[0:1], 0x0
	s_mov_b32 s2, exec_lo
	v_cmpx_gt_u32_e32 32, v0
	s_cbranch_execz .LBB18_2
; %bb.1:
	v_dual_mov_b32 v2, 1 :: v_dual_lshlrev_b32 v1, 2, v0
	ds_store_b32 v1, v2
.LBB18_2:
	s_or_b32 exec_lo, exec_lo, s2
	s_clause 0x1
	s_load_b128 s[8:11], s[0:1], 0x10
	s_load_b32 s1, s[0:1], 0x20
	v_dual_mov_b32 v2, 0 :: v_dual_and_b32 v1, 31, v0
	v_lshrrev_b32_e32 v5, 3, v0
	s_waitcnt lgkmcnt(0)
	s_barrier
	s_delay_alu instid0(VALU_DEP_2) | instskip(SKIP_4) | instid1(SALU_CYCLE_1)
	v_lshlrev_b32_e32 v6, 2, v1
	buffer_gl0_inv
	s_mul_i32 s0, s14, s9
	s_mul_i32 s2, s15, s10
	s_lshl_b32 s0, s0, 4
	s_add_i32 s2, s2, s0
	v_cmp_eq_u32_e64 s0, 0, v1
	s_ashr_i32 s3, s2, 31
	s_delay_alu instid0(SALU_CYCLE_1) | instskip(NEXT) | instid1(SALU_CYCLE_1)
	s_lshl_b64 s[10:11], s[2:3], 2
	s_add_u32 s3, s4, s10
	s_addc_u32 s4, s5, s11
	s_lshl_b32 s5, s8, 8
	s_branch .LBB18_4
.LBB18_3:                               ;   in Loop: Header=BB18_4 Depth=1
	s_or_b32 exec_lo, exec_lo, s10
	s_waitcnt lgkmcnt(0)
	s_barrier
	buffer_gl0_inv
	ds_load_b32 v1, v6
	s_waitcnt lgkmcnt(0)
	s_barrier
	buffer_gl0_inv
	;;#ASMSTART
	;;#ASMEND
	v_cmp_ne_u32_e32 vcc_lo, 0, v1
	s_cmp_lg_u32 vcc_lo, exec_lo
	s_cselect_b32 s8, -1, 0
	s_delay_alu instid0(SALU_CYCLE_1)
	s_and_b32 vcc_lo, exec_lo, s8
	s_cbranch_vccnz .LBB18_68
.LBB18_4:                               ; =>This Inner Loop Header: Depth=1
	s_mov_b32 s2, s5
	s_addk_i32 s5, 0xff00
	s_delay_alu instid0(SALU_CYCLE_1)
	s_cmp_lt_i32 s5, 0
	s_cbranch_scc1 .LBB18_67
; %bb.5:                                ;   in Loop: Header=BB18_4 Depth=1
	s_lshr_b32 s8, s5, 1
	s_mov_b32 s10, 0
	v_add_nc_u32_e32 v1, s8, v0
	s_delay_alu instid0(VALU_DEP_1) | instskip(NEXT) | instid1(VALU_DEP_1)
	v_lshlrev_b64 v[3:4], 2, v[1:2]
	v_add_co_u32 v3, vcc_lo, s3, v3
	s_delay_alu instid0(VALU_DEP_2) | instskip(SKIP_4) | instid1(VALU_DEP_2)
	v_add_co_ci_u32_e32 v4, vcc_lo, s4, v4, vcc_lo
	global_load_b32 v3, v[3:4], off
	s_waitcnt vmcnt(0)
	v_lshrrev_b32_e32 v4, 16, v3
	v_cmp_class_f16_e64 s8, v3, 0x204
	v_and_b32_e32 v4, 0x7fff, v4
	s_delay_alu instid0(VALU_DEP_1) | instskip(NEXT) | instid1(VALU_DEP_3)
	v_cmp_eq_f16_e32 vcc_lo, 0x7c00, v4
	s_and_b32 s11, s8, vcc_lo
	s_delay_alu instid0(SALU_CYCLE_1)
	s_and_saveexec_b32 s8, s11
	s_cbranch_execz .LBB18_65
; %bb.6:                                ;   in Loop: Header=BB18_4 Depth=1
	v_add_nc_u32_e32 v3, s9, v1
	s_mov_b32 s11, 0
	s_delay_alu instid0(VALU_DEP_1) | instskip(NEXT) | instid1(VALU_DEP_1)
	v_ashrrev_i32_e32 v4, 31, v3
	v_lshlrev_b64 v[7:8], 2, v[3:4]
	s_delay_alu instid0(VALU_DEP_1) | instskip(NEXT) | instid1(VALU_DEP_2)
	v_add_co_u32 v7, vcc_lo, s3, v7
	v_add_co_ci_u32_e32 v8, vcc_lo, s4, v8, vcc_lo
	global_load_b32 v1, v[7:8], off
	s_waitcnt vmcnt(0)
	v_cmp_class_f16_e64 s12, v1, 0x204
	s_delay_alu instid0(VALU_DEP_1)
	s_and_saveexec_b32 s10, s12
	s_cbranch_execz .LBB18_64
; %bb.7:                                ;   in Loop: Header=BB18_4 Depth=1
	v_lshrrev_b32_e32 v1, 16, v1
	s_mov_b32 s12, 0
	s_delay_alu instid0(VALU_DEP_1) | instskip(NEXT) | instid1(VALU_DEP_1)
	v_cmp_class_f16_e64 s13, v1, 0x204
	s_and_saveexec_b32 s11, s13
	s_cbranch_execz .LBB18_63
; %bb.8:                                ;   in Loop: Header=BB18_4 Depth=1
	v_add_nc_u32_e32 v3, s9, v3
	s_mov_b32 s13, 0
	s_delay_alu instid0(VALU_DEP_1) | instskip(NEXT) | instid1(VALU_DEP_1)
	v_ashrrev_i32_e32 v4, 31, v3
	v_lshlrev_b64 v[7:8], 2, v[3:4]
	s_delay_alu instid0(VALU_DEP_1) | instskip(NEXT) | instid1(VALU_DEP_2)
	v_add_co_u32 v7, vcc_lo, s3, v7
	v_add_co_ci_u32_e32 v8, vcc_lo, s4, v8, vcc_lo
	global_load_b32 v1, v[7:8], off
	s_waitcnt vmcnt(0)
	v_cmp_class_f16_e64 s16, v1, 0x204
	s_delay_alu instid0(VALU_DEP_1)
	s_and_saveexec_b32 s12, s16
	s_cbranch_execz .LBB18_62
; %bb.9:                                ;   in Loop: Header=BB18_4 Depth=1
	v_lshrrev_b32_e32 v1, 16, v1
	s_mov_b32 s16, 0
	s_delay_alu instid0(VALU_DEP_1) | instskip(NEXT) | instid1(VALU_DEP_1)
	v_cmp_class_f16_e64 s17, v1, 0x204
	s_and_saveexec_b32 s13, s17
	s_cbranch_execz .LBB18_61
; %bb.10:                               ;   in Loop: Header=BB18_4 Depth=1
	v_add_nc_u32_e32 v3, s9, v3
	s_mov_b32 s17, 0
	s_delay_alu instid0(VALU_DEP_1) | instskip(NEXT) | instid1(VALU_DEP_1)
	v_ashrrev_i32_e32 v4, 31, v3
	v_lshlrev_b64 v[7:8], 2, v[3:4]
	s_delay_alu instid0(VALU_DEP_1) | instskip(NEXT) | instid1(VALU_DEP_2)
	v_add_co_u32 v7, vcc_lo, s3, v7
	v_add_co_ci_u32_e32 v8, vcc_lo, s4, v8, vcc_lo
	global_load_b32 v1, v[7:8], off
	s_waitcnt vmcnt(0)
	v_cmp_class_f16_e64 s18, v1, 0x204
	s_delay_alu instid0(VALU_DEP_1)
	s_and_saveexec_b32 s16, s18
	s_cbranch_execz .LBB18_60
; %bb.11:                               ;   in Loop: Header=BB18_4 Depth=1
	v_lshrrev_b32_e32 v1, 16, v1
	s_mov_b32 s18, 0
	s_delay_alu instid0(VALU_DEP_1) | instskip(NEXT) | instid1(VALU_DEP_1)
	v_cmp_class_f16_e64 s19, v1, 0x204
	s_and_saveexec_b32 s17, s19
	s_cbranch_execz .LBB18_59
; %bb.12:                               ;   in Loop: Header=BB18_4 Depth=1
	v_add_nc_u32_e32 v3, s9, v3
	s_mov_b32 s19, 0
	s_delay_alu instid0(VALU_DEP_1) | instskip(NEXT) | instid1(VALU_DEP_1)
	v_ashrrev_i32_e32 v4, 31, v3
	v_lshlrev_b64 v[7:8], 2, v[3:4]
	s_delay_alu instid0(VALU_DEP_1) | instskip(NEXT) | instid1(VALU_DEP_2)
	v_add_co_u32 v7, vcc_lo, s3, v7
	v_add_co_ci_u32_e32 v8, vcc_lo, s4, v8, vcc_lo
	global_load_b32 v1, v[7:8], off
	s_waitcnt vmcnt(0)
	v_cmp_class_f16_e64 s20, v1, 0x204
	s_delay_alu instid0(VALU_DEP_1)
	s_and_saveexec_b32 s18, s20
	s_cbranch_execz .LBB18_58
; %bb.13:                               ;   in Loop: Header=BB18_4 Depth=1
	;; [unrolled: 22-line block ×12, first 2 shown]
	v_lshrrev_b32_e32 v1, 16, v1
	s_mov_b32 s41, 0
	s_delay_alu instid0(VALU_DEP_1) | instskip(NEXT) | instid1(VALU_DEP_1)
	v_cmp_class_f16_e64 s42, v1, 0x204
	s_and_saveexec_b32 s40, s42
	s_cbranch_execz .LBB18_37
; %bb.34:                               ;   in Loop: Header=BB18_4 Depth=1
	v_add_nc_u32_e32 v3, s9, v3
	s_delay_alu instid0(VALU_DEP_1) | instskip(NEXT) | instid1(VALU_DEP_1)
	v_ashrrev_i32_e32 v4, 31, v3
	v_lshlrev_b64 v[3:4], 2, v[3:4]
	s_delay_alu instid0(VALU_DEP_1) | instskip(NEXT) | instid1(VALU_DEP_2)
	v_add_co_u32 v3, vcc_lo, s3, v3
	v_add_co_ci_u32_e32 v4, vcc_lo, s4, v4, vcc_lo
	global_load_b32 v1, v[3:4], off
	s_waitcnt vmcnt(0)
	v_cmp_class_f16_e64 s43, v1, 0x204
	s_delay_alu instid0(VALU_DEP_1)
	s_and_saveexec_b32 s42, s43
; %bb.35:                               ;   in Loop: Header=BB18_4 Depth=1
	v_lshrrev_b32_e32 v1, 16, v1
	s_delay_alu instid0(VALU_DEP_1) | instskip(NEXT) | instid1(VALU_DEP_1)
	v_cmp_class_f16_e64 s41, v1, 0x204
	s_and_b32 s41, s41, exec_lo
; %bb.36:                               ;   in Loop: Header=BB18_4 Depth=1
	s_or_b32 exec_lo, exec_lo, s42
	s_delay_alu instid0(SALU_CYCLE_1)
	s_and_b32 s41, s41, exec_lo
.LBB18_37:                              ;   in Loop: Header=BB18_4 Depth=1
	s_or_b32 exec_lo, exec_lo, s40
	s_delay_alu instid0(SALU_CYCLE_1)
	s_and_b32 s40, s41, exec_lo
.LBB18_38:                              ;   in Loop: Header=BB18_4 Depth=1
	s_or_b32 exec_lo, exec_lo, s39
	s_delay_alu instid0(SALU_CYCLE_1)
	s_and_b32 s39, s40, exec_lo
.LBB18_39:                              ;   in Loop: Header=BB18_4 Depth=1
	s_or_b32 exec_lo, exec_lo, s38
	s_delay_alu instid0(SALU_CYCLE_1)
	s_and_b32 s38, s39, exec_lo
.LBB18_40:                              ;   in Loop: Header=BB18_4 Depth=1
	s_or_b32 exec_lo, exec_lo, s37
	s_delay_alu instid0(SALU_CYCLE_1)
	s_and_b32 s37, s38, exec_lo
.LBB18_41:                              ;   in Loop: Header=BB18_4 Depth=1
	s_or_b32 exec_lo, exec_lo, s36
	s_delay_alu instid0(SALU_CYCLE_1)
	s_and_b32 s36, s37, exec_lo
.LBB18_42:                              ;   in Loop: Header=BB18_4 Depth=1
	s_or_b32 exec_lo, exec_lo, s35
	s_delay_alu instid0(SALU_CYCLE_1)
	s_and_b32 s35, s36, exec_lo
.LBB18_43:                              ;   in Loop: Header=BB18_4 Depth=1
	s_or_b32 exec_lo, exec_lo, s34
	s_delay_alu instid0(SALU_CYCLE_1)
	s_and_b32 s34, s35, exec_lo
.LBB18_44:                              ;   in Loop: Header=BB18_4 Depth=1
	s_or_b32 exec_lo, exec_lo, s33
	s_delay_alu instid0(SALU_CYCLE_1)
	s_and_b32 s33, s34, exec_lo
.LBB18_45:                              ;   in Loop: Header=BB18_4 Depth=1
	s_or_b32 exec_lo, exec_lo, s31
	s_delay_alu instid0(SALU_CYCLE_1)
	s_and_b32 s31, s33, exec_lo
.LBB18_46:                              ;   in Loop: Header=BB18_4 Depth=1
	s_or_b32 exec_lo, exec_lo, s30
	s_delay_alu instid0(SALU_CYCLE_1)
	s_and_b32 s30, s31, exec_lo
.LBB18_47:                              ;   in Loop: Header=BB18_4 Depth=1
	s_or_b32 exec_lo, exec_lo, s29
	s_delay_alu instid0(SALU_CYCLE_1)
	s_and_b32 s29, s30, exec_lo
.LBB18_48:                              ;   in Loop: Header=BB18_4 Depth=1
	s_or_b32 exec_lo, exec_lo, s28
	s_delay_alu instid0(SALU_CYCLE_1)
	s_and_b32 s28, s29, exec_lo
.LBB18_49:                              ;   in Loop: Header=BB18_4 Depth=1
	s_or_b32 exec_lo, exec_lo, s27
	s_delay_alu instid0(SALU_CYCLE_1)
	s_and_b32 s27, s28, exec_lo
.LBB18_50:                              ;   in Loop: Header=BB18_4 Depth=1
	s_or_b32 exec_lo, exec_lo, s26
	s_delay_alu instid0(SALU_CYCLE_1)
	s_and_b32 s26, s27, exec_lo
.LBB18_51:                              ;   in Loop: Header=BB18_4 Depth=1
	s_or_b32 exec_lo, exec_lo, s25
	s_delay_alu instid0(SALU_CYCLE_1)
	s_and_b32 s25, s26, exec_lo
.LBB18_52:                              ;   in Loop: Header=BB18_4 Depth=1
	s_or_b32 exec_lo, exec_lo, s24
	s_delay_alu instid0(SALU_CYCLE_1)
	s_and_b32 s24, s25, exec_lo
.LBB18_53:                              ;   in Loop: Header=BB18_4 Depth=1
	s_or_b32 exec_lo, exec_lo, s23
	s_delay_alu instid0(SALU_CYCLE_1)
	s_and_b32 s23, s24, exec_lo
.LBB18_54:                              ;   in Loop: Header=BB18_4 Depth=1
	s_or_b32 exec_lo, exec_lo, s22
	s_delay_alu instid0(SALU_CYCLE_1)
	s_and_b32 s22, s23, exec_lo
.LBB18_55:                              ;   in Loop: Header=BB18_4 Depth=1
	s_or_b32 exec_lo, exec_lo, s21
	s_delay_alu instid0(SALU_CYCLE_1)
	s_and_b32 s21, s22, exec_lo
.LBB18_56:                              ;   in Loop: Header=BB18_4 Depth=1
	s_or_b32 exec_lo, exec_lo, s20
	s_delay_alu instid0(SALU_CYCLE_1)
	s_and_b32 s20, s21, exec_lo
.LBB18_57:                              ;   in Loop: Header=BB18_4 Depth=1
	s_or_b32 exec_lo, exec_lo, s19
	s_delay_alu instid0(SALU_CYCLE_1)
	s_and_b32 s19, s20, exec_lo
.LBB18_58:                              ;   in Loop: Header=BB18_4 Depth=1
	s_or_b32 exec_lo, exec_lo, s18
	s_delay_alu instid0(SALU_CYCLE_1)
	s_and_b32 s18, s19, exec_lo
.LBB18_59:                              ;   in Loop: Header=BB18_4 Depth=1
	s_or_b32 exec_lo, exec_lo, s17
	s_delay_alu instid0(SALU_CYCLE_1)
	s_and_b32 s17, s18, exec_lo
.LBB18_60:                              ;   in Loop: Header=BB18_4 Depth=1
	s_or_b32 exec_lo, exec_lo, s16
	s_delay_alu instid0(SALU_CYCLE_1)
	s_and_b32 s16, s17, exec_lo
.LBB18_61:                              ;   in Loop: Header=BB18_4 Depth=1
	s_or_b32 exec_lo, exec_lo, s13
	s_delay_alu instid0(SALU_CYCLE_1)
	s_and_b32 s13, s16, exec_lo
.LBB18_62:                              ;   in Loop: Header=BB18_4 Depth=1
	s_or_b32 exec_lo, exec_lo, s12
	s_delay_alu instid0(SALU_CYCLE_1)
	s_and_b32 s12, s13, exec_lo
.LBB18_63:                              ;   in Loop: Header=BB18_4 Depth=1
	s_or_b32 exec_lo, exec_lo, s11
	s_delay_alu instid0(SALU_CYCLE_1)
	s_and_b32 s11, s12, exec_lo
.LBB18_64:                              ;   in Loop: Header=BB18_4 Depth=1
	s_or_b32 exec_lo, exec_lo, s10
	s_delay_alu instid0(SALU_CYCLE_1)
	s_and_b32 s10, s11, exec_lo
.LBB18_65:                              ;   in Loop: Header=BB18_4 Depth=1
	s_or_b32 exec_lo, exec_lo, s8
	v_cndmask_b32_e64 v1, 0, 1, s10
	;;#ASMSTART
	;;#ASMEND
	s_delay_alu instid0(VALU_DEP_1)
	v_cmp_ne_u32_e32 vcc_lo, 0, v1
	s_mov_b32 s8, exec_lo
	s_and_saveexec_b32 s10, s0
	s_cbranch_execz .LBB18_3
; %bb.66:                               ;   in Loop: Header=BB18_4 Depth=1
	s_cmp_eq_u32 vcc_lo, s8
	s_cselect_b32 s8, -1, 0
	s_delay_alu instid0(SALU_CYCLE_1)
	v_cndmask_b32_e64 v1, 0, 1, s8
	ds_store_b32 v5, v1
	s_branch .LBB18_3
.LBB18_67:                              ;   in Loop: Header=BB18_4 Depth=1
                                        ; implicit-def: $sgpr5
	s_cbranch_execz .LBB18_4
.LBB18_68:
	s_mov_b32 s0, exec_lo
	v_cmpx_eq_u32_e32 0, v0
	s_cbranch_execz .LBB18_70
; %bb.69:
	s_mul_i32 s0, s1, s15
	v_dual_mov_b32 v0, 0 :: v_dual_mov_b32 v1, s2
	s_add_i32 s0, s0, s14
	s_delay_alu instid0(SALU_CYCLE_1) | instskip(NEXT) | instid1(SALU_CYCLE_1)
	s_ashr_i32 s1, s0, 31
	s_lshl_b64 s[0:1], s[0:1], 2
	s_delay_alu instid0(SALU_CYCLE_1)
	s_add_u32 s0, s6, s0
	s_addc_u32 s1, s7, s1
	global_store_b32 v0, v1, s[0:1]
.LBB18_70:
	s_nop 0
	s_sendmsg sendmsg(MSG_DEALLOC_VGPRS)
	s_endpgm
	.section	.rodata,"a",@progbits
	.p2align	6, 0x0
	.amdhsa_kernel _ZL25flash_attn_mask_to_KV_maxILi16EEvPK7__half2Piiii
		.amdhsa_group_segment_fixed_size 128
		.amdhsa_private_segment_fixed_size 0
		.amdhsa_kernarg_size 288
		.amdhsa_user_sgpr_count 14
		.amdhsa_user_sgpr_dispatch_ptr 0
		.amdhsa_user_sgpr_queue_ptr 0
		.amdhsa_user_sgpr_kernarg_segment_ptr 1
		.amdhsa_user_sgpr_dispatch_id 0
		.amdhsa_user_sgpr_private_segment_size 0
		.amdhsa_wavefront_size32 1
		.amdhsa_uses_dynamic_stack 0
		.amdhsa_enable_private_segment 0
		.amdhsa_system_sgpr_workgroup_id_x 1
		.amdhsa_system_sgpr_workgroup_id_y 1
		.amdhsa_system_sgpr_workgroup_id_z 0
		.amdhsa_system_sgpr_workgroup_info 0
		.amdhsa_system_vgpr_workitem_id 0
		.amdhsa_next_free_vgpr 9
		.amdhsa_next_free_sgpr 44
		.amdhsa_reserve_vcc 1
		.amdhsa_float_round_mode_32 0
		.amdhsa_float_round_mode_16_64 0
		.amdhsa_float_denorm_mode_32 3
		.amdhsa_float_denorm_mode_16_64 3
		.amdhsa_dx10_clamp 1
		.amdhsa_ieee_mode 1
		.amdhsa_fp16_overflow 0
		.amdhsa_workgroup_processor_mode 1
		.amdhsa_memory_ordered 1
		.amdhsa_forward_progress 0
		.amdhsa_shared_vgpr_count 0
		.amdhsa_exception_fp_ieee_invalid_op 0
		.amdhsa_exception_fp_denorm_src 0
		.amdhsa_exception_fp_ieee_div_zero 0
		.amdhsa_exception_fp_ieee_overflow 0
		.amdhsa_exception_fp_ieee_underflow 0
		.amdhsa_exception_fp_ieee_inexact 0
		.amdhsa_exception_int_div_zero 0
	.end_amdhsa_kernel
	.section	.text._ZL25flash_attn_mask_to_KV_maxILi16EEvPK7__half2Piiii,"axG",@progbits,_ZL25flash_attn_mask_to_KV_maxILi16EEvPK7__half2Piiii,comdat
.Lfunc_end18:
	.size	_ZL25flash_attn_mask_to_KV_maxILi16EEvPK7__half2Piiii, .Lfunc_end18-_ZL25flash_attn_mask_to_KV_maxILi16EEvPK7__half2Piiii
                                        ; -- End function
	.section	.AMDGPU.csdata,"",@progbits
; Kernel info:
; codeLenInByte = 2432
; NumSgprs: 46
; NumVgprs: 9
; ScratchSize: 0
; MemoryBound: 0
; FloatMode: 240
; IeeeMode: 1
; LDSByteSize: 128 bytes/workgroup (compile time only)
; SGPRBlocks: 5
; VGPRBlocks: 1
; NumSGPRsForWavesPerEU: 46
; NumVGPRsForWavesPerEU: 9
; Occupancy: 16
; WaveLimiterHint : 0
; COMPUTE_PGM_RSRC2:SCRATCH_EN: 0
; COMPUTE_PGM_RSRC2:USER_SGPR: 14
; COMPUTE_PGM_RSRC2:TRAP_HANDLER: 0
; COMPUTE_PGM_RSRC2:TGID_X_EN: 1
; COMPUTE_PGM_RSRC2:TGID_Y_EN: 1
; COMPUTE_PGM_RSRC2:TGID_Z_EN: 0
; COMPUTE_PGM_RSRC2:TIDIG_COMP_CNT: 0
	.section	.text._ZL33flash_attn_stream_k_fixup_uniformILi128ELi16ELi4EEvPfPK15HIP_vector_typeIfLj2EEiiiiiiS1_IjLj3EES5_S5_,"axG",@progbits,_ZL33flash_attn_stream_k_fixup_uniformILi128ELi16ELi4EEvPfPK15HIP_vector_typeIfLj2EEiiiiiiS1_IjLj3EES5_S5_,comdat
	.globl	_ZL33flash_attn_stream_k_fixup_uniformILi128ELi16ELi4EEvPfPK15HIP_vector_typeIfLj2EEiiiiiiS1_IjLj3EES5_S5_ ; -- Begin function _ZL33flash_attn_stream_k_fixup_uniformILi128ELi16ELi4EEvPfPK15HIP_vector_typeIfLj2EEiiiiiiS1_IjLj3EES5_S5_
	.p2align	8
	.type	_ZL33flash_attn_stream_k_fixup_uniformILi128ELi16ELi4EEvPfPK15HIP_vector_typeIfLj2EEiiiiiiS1_IjLj3EES5_S5_,@function
_ZL33flash_attn_stream_k_fixup_uniformILi128ELi16ELi4EEvPfPK15HIP_vector_typeIfLj2EEiiiiiiS1_IjLj3EES5_S5_: ; @_ZL33flash_attn_stream_k_fixup_uniformILi128ELi16ELi4EEvPfPK15HIP_vector_typeIfLj2EEiiiiiiS1_IjLj3EES5_S5_
; %bb.0:
	s_clause 0x1
	s_load_b256 s[4:11], s[0:1], 0x1c
	s_load_b128 s[16:19], s[0:1], 0x3c
	s_waitcnt lgkmcnt(0)
	s_mul_hi_u32 s2, s7, s13
	s_delay_alu instid0(SALU_CYCLE_1) | instskip(NEXT) | instid1(SALU_CYCLE_1)
	s_add_i32 s2, s13, s2
	s_lshr_b32 s2, s2, s8
	s_delay_alu instid0(SALU_CYCLE_1) | instskip(SKIP_2) | instid1(SALU_CYCLE_1)
	s_mul_i32 s3, s2, s9
	s_load_b64 s[8:9], s[0:1], 0x10
	s_sub_i32 s7, s13, s3
	s_mul_hi_u32 s3, s7, s10
	s_delay_alu instid0(SALU_CYCLE_1) | instskip(NEXT) | instid1(SALU_CYCLE_1)
	s_add_i32 s3, s7, s3
	s_lshr_b32 s3, s3, s11
	s_delay_alu instid0(SALU_CYCLE_1) | instskip(NEXT) | instid1(SALU_CYCLE_1)
	s_mul_i32 s10, s3, s16
	s_sub_i32 s7, s7, s10
	s_delay_alu instid0(SALU_CYCLE_1) | instskip(NEXT) | instid1(SALU_CYCLE_1)
	s_mul_hi_u32 s10, s7, s17
	s_add_i32 s10, s7, s10
	s_delay_alu instid0(SALU_CYCLE_1) | instskip(NEXT) | instid1(SALU_CYCLE_1)
	s_lshr_b32 s10, s10, s18
	s_mul_i32 s11, s10, s19
	s_lshl_b32 s10, s10, 2
	s_sub_i32 s7, s7, s11
	s_delay_alu instid0(SALU_CYCLE_1) | instskip(NEXT) | instid1(SALU_CYCLE_1)
	s_lshl_b32 s11, s7, 4
	s_add_i32 s11, s11, s14
	s_waitcnt lgkmcnt(0)
	s_cmp_lt_i32 s11, s8
	s_cselect_b32 s11, -1, 0
	s_add_i32 s12, s10, s15
	s_delay_alu instid0(SALU_CYCLE_1) | instskip(SKIP_1) | instid1(SALU_CYCLE_1)
	s_cmp_lt_i32 s12, s5
	s_cselect_b32 s12, -1, 0
	s_and_b32 s11, s11, s12
	s_delay_alu instid0(SALU_CYCLE_1)
	s_and_not1_b32 vcc_lo, exec_lo, s11
	s_cbranch_vccnz .LBB19_6
; %bb.1:
	s_mul_i32 s2, s2, s8
	s_mul_i32 s5, s3, s5
	s_add_i32 s2, s2, s14
	s_mul_i32 s7, s9, s7
	s_mul_i32 s2, s2, s9
	s_lshl_b32 s7, s7, 11
	s_add_i32 s8, s2, s15
	s_load_b128 s[0:3], s[0:1], 0x0
	s_add_i32 s5, s8, s5
	s_lshl_b32 s9, s14, 2
	s_add_i32 s5, s5, s10
	s_delay_alu instid0(SALU_CYCLE_1) | instskip(NEXT) | instid1(SALU_CYCLE_1)
	s_lshl_b32 s5, s5, 7
	s_add_i32 s7, s7, s5
	s_mul_i32 s5, s13, s6
	v_or_b32_e32 v1, s7, v0
	s_add_i32 s10, s5, s6
	s_delay_alu instid0(VALU_DEP_1) | instskip(NEXT) | instid1(VALU_DEP_1)
	v_ashrrev_i32_e32 v2, 31, v1
	v_lshlrev_b64 v[1:2], 2, v[1:2]
	s_waitcnt lgkmcnt(0)
	s_delay_alu instid0(VALU_DEP_1) | instskip(NEXT) | instid1(VALU_DEP_2)
	v_add_co_u32 v1, vcc_lo, s0, v1
	v_add_co_ci_u32_e32 v2, vcc_lo, s1, v2, vcc_lo
	s_add_i32 s0, s9, s15
	s_lshl_b32 s1, s10, 6
	s_delay_alu instid0(SALU_CYCLE_1) | instskip(SKIP_2) | instid1(SALU_CYCLE_1)
	s_add_i32 s0, s0, s1
	global_load_b32 v5, v[1:2], off
	s_sub_i32 s0, s0, 64
	s_ashr_i32 s1, s0, 31
	s_delay_alu instid0(SALU_CYCLE_1) | instskip(NEXT) | instid1(SALU_CYCLE_1)
	s_lshl_b64 s[0:1], s[0:1], 3
	s_add_u32 s0, s2, s0
	s_addc_u32 s1, s3, s1
	s_add_i32 s7, s10, -2
	s_load_b32 s11, s[0:1], 0x4
	s_cmp_lt_i32 s7, s5
	s_cbranch_scc1 .LBB19_4
; %bb.2:
	s_lshl_b32 s16, s4, 8
	s_load_b32 s12, s[0:1], 0x0
	s_ashr_i32 s17, s16, 31
	s_delay_alu instid0(SALU_CYCLE_1) | instskip(NEXT) | instid1(SALU_CYCLE_1)
	s_lshl_b64 s[0:1], s[16:17], 2
	s_add_u32 s7, s2, s0
	s_addc_u32 s8, s3, s1
	s_add_i32 s13, s13, 1
	s_lshl_b32 s0, s14, 9
	s_lshl_b32 s1, s15, 7
	s_mul_i32 s6, s6, s13
	s_add_i32 s0, s1, s0
	s_lshl_b32 s1, s6, 13
	s_delay_alu instid0(SALU_CYCLE_1)
	s_add_i32 s0, s0, s1
	s_lshl_b32 s1, s6, 6
	v_or_b32_e32 v0, s0, v0
	s_lshl_b32 s0, s4, 6
	s_add_i32 s1, s15, s1
	s_waitcnt lgkmcnt(0)
	v_mov_b32_e32 v6, s11
	s_add_i32 s0, s1, s0
	v_dual_mov_b32 v0, s12 :: v_dual_add_nc_u32 v3, 0xffffc000, v0
	s_add_i32 s0, s0, s9
	s_add_i32 s4, s10, -1
	s_addk_i32 s0, 0xff80
.LBB19_3:                               ; =>This Inner Loop Header: Depth=1
	s_delay_alu instid0(VALU_DEP_1) | instskip(SKIP_1) | instid1(SALU_CYCLE_1)
	v_ashrrev_i32_e32 v4, 31, v3
	s_ashr_i32 s1, s0, 31
	s_lshl_b64 s[10:11], s[0:1], 3
	s_delay_alu instid0(SALU_CYCLE_1) | instskip(NEXT) | instid1(VALU_DEP_1)
	s_add_u32 s10, s2, s10
	v_lshlrev_b64 v[7:8], 2, v[3:4]
	s_addc_u32 s11, s3, s11
	s_add_i32 s4, s4, -1
	s_sub_i32 s0, s0, 64
	s_cmp_le_i32 s4, s5
	s_load_b64 s[10:11], s[10:11], 0x0
	v_add_co_u32 v7, vcc_lo, s7, v7
	v_add_co_ci_u32_e32 v8, vcc_lo, s8, v8, vcc_lo
	global_load_b32 v4, v[7:8], off
	v_max_f32_e32 v7, v0, v0
	s_waitcnt lgkmcnt(0)
	v_max_f32_e64 v8, s10, s10
	s_delay_alu instid0(VALU_DEP_1) | instskip(NEXT) | instid1(VALU_DEP_1)
	v_max_f32_e32 v7, v7, v8
	v_sub_f32_e32 v8, s10, v7
	s_delay_alu instid0(VALU_DEP_1) | instskip(NEXT) | instid1(VALU_DEP_1)
	v_dual_sub_f32 v0, v0, v7 :: v_dual_mul_f32 v9, 0x3fb8aa3b, v8
	v_fma_f32 v10, 0x3fb8aa3b, v8, -v9
	v_rndne_f32_e32 v11, v9
	s_delay_alu instid0(VALU_DEP_3) | instskip(NEXT) | instid1(VALU_DEP_2)
	v_mul_f32_e32 v12, 0x3fb8aa3b, v0
	v_dual_fmac_f32 v10, 0x32a5705f, v8 :: v_dual_sub_f32 v9, v9, v11
	v_cvt_i32_f32_e32 v11, v11
	s_delay_alu instid0(VALU_DEP_3) | instskip(SKIP_1) | instid1(VALU_DEP_4)
	v_fma_f32 v13, 0x3fb8aa3b, v0, -v12
	v_rndne_f32_e32 v14, v12
	v_add_f32_e32 v9, v9, v10
	v_cmp_ngt_f32_e32 vcc_lo, 0xc2ce8ed0, v8
	s_delay_alu instid0(VALU_DEP_3) | instskip(NEXT) | instid1(VALU_DEP_3)
	v_sub_f32_e32 v10, v12, v14
	v_exp_f32_e32 v9, v9
	s_waitcnt_depctr 0xfff
	v_ldexp_f32 v9, v9, v11
	v_cvt_i32_f32_e32 v11, v14
	s_delay_alu instid0(VALU_DEP_2) | instskip(SKIP_1) | instid1(VALU_DEP_2)
	v_cndmask_b32_e32 v9, 0, v9, vcc_lo
	v_cmp_nlt_f32_e32 vcc_lo, 0x42b17218, v8
	v_cndmask_b32_e32 v9, 0x7f800000, v9, vcc_lo
	v_cmp_ngt_f32_e32 vcc_lo, 0xc2ce8ed0, v0
	v_fmac_f32_e32 v13, 0x32a5705f, v0
	s_delay_alu instid0(VALU_DEP_1) | instskip(NEXT) | instid1(VALU_DEP_1)
	v_add_f32_e32 v10, v10, v13
	v_exp_f32_e32 v10, v10
	s_waitcnt_depctr 0xfff
	v_ldexp_f32 v10, v10, v11
	s_delay_alu instid0(VALU_DEP_1)
	v_dual_mov_b32 v11, v6 :: v_dual_cndmask_b32 v10, 0, v10
	v_cmp_le_f32_e32 vcc_lo, 0xc1a00000, v8
	s_waitcnt vmcnt(1)
	v_dual_cndmask_b32 v8, 0, v9 :: v_dual_mov_b32 v9, v5
	v_cmp_nlt_f32_e32 vcc_lo, 0x42b17218, v0
	v_cndmask_b32_e32 v5, 0x7f800000, v10, vcc_lo
	s_delay_alu instid0(VALU_DEP_3) | instskip(SKIP_2) | instid1(VALU_DEP_3)
	v_mul_f32_e32 v10, s11, v8
	v_cmp_le_f32_e32 vcc_lo, 0xc1a00000, v0
	v_mov_b32_e32 v0, v7
	v_mov_b32_e32 v6, v10
	s_waitcnt vmcnt(0)
	v_dual_cndmask_b32 v12, 0, v5 :: v_dual_mul_f32 v5, v4, v8
	s_delay_alu instid0(VALU_DEP_1) | instskip(NEXT) | instid1(VALU_DEP_2)
	v_dual_fmac_f32 v6, v11, v12 :: v_dual_add_nc_u32 v3, 0xffffe000, v3
	v_fmac_f32_e32 v5, v9, v12
	s_cbranch_scc0 .LBB19_3
	s_branch .LBB19_5
.LBB19_4:
	s_waitcnt lgkmcnt(0)
	v_mov_b32_e32 v6, s11
.LBB19_5:
	s_waitcnt vmcnt(0)
	s_delay_alu instid0(VALU_DEP_1) | instskip(NEXT) | instid1(VALU_DEP_1)
	v_div_scale_f32 v0, null, v6, v6, v5
	v_rcp_f32_e32 v3, v0
	s_waitcnt_depctr 0xfff
	v_fma_f32 v4, -v0, v3, 1.0
	s_delay_alu instid0(VALU_DEP_1) | instskip(SKIP_1) | instid1(VALU_DEP_1)
	v_fmac_f32_e32 v3, v4, v3
	v_div_scale_f32 v4, vcc_lo, v5, v6, v5
	v_mul_f32_e32 v7, v4, v3
	s_delay_alu instid0(VALU_DEP_1) | instskip(NEXT) | instid1(VALU_DEP_1)
	v_fma_f32 v8, -v0, v7, v4
	v_fmac_f32_e32 v7, v8, v3
	s_delay_alu instid0(VALU_DEP_1) | instskip(NEXT) | instid1(VALU_DEP_1)
	v_fma_f32 v0, -v0, v7, v4
	v_div_fmas_f32 v0, v0, v3, v7
	s_delay_alu instid0(VALU_DEP_1)
	v_div_fixup_f32 v0, v0, v6, v5
	global_store_b32 v[1:2], v0, off
.LBB19_6:
	s_nop 0
	s_sendmsg sendmsg(MSG_DEALLOC_VGPRS)
	s_endpgm
	.section	.rodata,"a",@progbits
	.p2align	6, 0x0
	.amdhsa_kernel _ZL33flash_attn_stream_k_fixup_uniformILi128ELi16ELi4EEvPfPK15HIP_vector_typeIfLj2EEiiiiiiS1_IjLj3EES5_S5_
		.amdhsa_group_segment_fixed_size 0
		.amdhsa_private_segment_fixed_size 0
		.amdhsa_kernarg_size 76
		.amdhsa_user_sgpr_count 13
		.amdhsa_user_sgpr_dispatch_ptr 0
		.amdhsa_user_sgpr_queue_ptr 0
		.amdhsa_user_sgpr_kernarg_segment_ptr 1
		.amdhsa_user_sgpr_dispatch_id 0
		.amdhsa_user_sgpr_private_segment_size 0
		.amdhsa_wavefront_size32 1
		.amdhsa_uses_dynamic_stack 0
		.amdhsa_enable_private_segment 0
		.amdhsa_system_sgpr_workgroup_id_x 1
		.amdhsa_system_sgpr_workgroup_id_y 1
		.amdhsa_system_sgpr_workgroup_id_z 1
		.amdhsa_system_sgpr_workgroup_info 0
		.amdhsa_system_vgpr_workitem_id 0
		.amdhsa_next_free_vgpr 15
		.amdhsa_next_free_sgpr 20
		.amdhsa_reserve_vcc 1
		.amdhsa_float_round_mode_32 0
		.amdhsa_float_round_mode_16_64 0
		.amdhsa_float_denorm_mode_32 3
		.amdhsa_float_denorm_mode_16_64 3
		.amdhsa_dx10_clamp 1
		.amdhsa_ieee_mode 1
		.amdhsa_fp16_overflow 0
		.amdhsa_workgroup_processor_mode 1
		.amdhsa_memory_ordered 1
		.amdhsa_forward_progress 0
		.amdhsa_shared_vgpr_count 0
		.amdhsa_exception_fp_ieee_invalid_op 0
		.amdhsa_exception_fp_denorm_src 0
		.amdhsa_exception_fp_ieee_div_zero 0
		.amdhsa_exception_fp_ieee_overflow 0
		.amdhsa_exception_fp_ieee_underflow 0
		.amdhsa_exception_fp_ieee_inexact 0
		.amdhsa_exception_int_div_zero 0
	.end_amdhsa_kernel
	.section	.text._ZL33flash_attn_stream_k_fixup_uniformILi128ELi16ELi4EEvPfPK15HIP_vector_typeIfLj2EEiiiiiiS1_IjLj3EES5_S5_,"axG",@progbits,_ZL33flash_attn_stream_k_fixup_uniformILi128ELi16ELi4EEvPfPK15HIP_vector_typeIfLj2EEiiiiiiS1_IjLj3EES5_S5_,comdat
.Lfunc_end19:
	.size	_ZL33flash_attn_stream_k_fixup_uniformILi128ELi16ELi4EEvPfPK15HIP_vector_typeIfLj2EEiiiiiiS1_IjLj3EES5_S5_, .Lfunc_end19-_ZL33flash_attn_stream_k_fixup_uniformILi128ELi16ELi4EEvPfPK15HIP_vector_typeIfLj2EEiiiiiiS1_IjLj3EES5_S5_
                                        ; -- End function
	.section	.AMDGPU.csdata,"",@progbits
; Kernel info:
; codeLenInByte = 996
; NumSgprs: 22
; NumVgprs: 15
; ScratchSize: 0
; MemoryBound: 0
; FloatMode: 240
; IeeeMode: 1
; LDSByteSize: 0 bytes/workgroup (compile time only)
; SGPRBlocks: 2
; VGPRBlocks: 1
; NumSGPRsForWavesPerEU: 22
; NumVGPRsForWavesPerEU: 15
; Occupancy: 16
; WaveLimiterHint : 0
; COMPUTE_PGM_RSRC2:SCRATCH_EN: 0
; COMPUTE_PGM_RSRC2:USER_SGPR: 13
; COMPUTE_PGM_RSRC2:TRAP_HANDLER: 0
; COMPUTE_PGM_RSRC2:TGID_X_EN: 1
; COMPUTE_PGM_RSRC2:TGID_Y_EN: 1
; COMPUTE_PGM_RSRC2:TGID_Z_EN: 1
; COMPUTE_PGM_RSRC2:TIDIG_COMP_CNT: 0
	.section	.text._ZL33flash_attn_stream_k_fixup_generalILi128ELi16ELi4EEvPfPK15HIP_vector_typeIfLj2EEiiiiS1_IjLj3EES5_S5_S5_,"axG",@progbits,_ZL33flash_attn_stream_k_fixup_generalILi128ELi16ELi4EEvPfPK15HIP_vector_typeIfLj2EEiiiiS1_IjLj3EES5_S5_S5_,comdat
	.globl	_ZL33flash_attn_stream_k_fixup_generalILi128ELi16ELi4EEvPfPK15HIP_vector_typeIfLj2EEiiiiS1_IjLj3EES5_S5_S5_ ; -- Begin function _ZL33flash_attn_stream_k_fixup_generalILi128ELi16ELi4EEvPfPK15HIP_vector_typeIfLj2EEiiiiS1_IjLj3EES5_S5_S5_
	.p2align	8
	.type	_ZL33flash_attn_stream_k_fixup_generalILi128ELi16ELi4EEvPfPK15HIP_vector_typeIfLj2EEiiiiS1_IjLj3EES5_S5_S5_,@function
_ZL33flash_attn_stream_k_fixup_generalILi128ELi16ELi4EEvPfPK15HIP_vector_typeIfLj2EEiiiiS1_IjLj3EES5_S5_S5_: ; @_ZL33flash_attn_stream_k_fixup_generalILi128ELi16ELi4EEvPfPK15HIP_vector_typeIfLj2EEiiiiS1_IjLj3EES5_S5_S5_
; %bb.0:
	s_clause 0x1
	s_load_b128 s[4:7], s[0:1], 0x10
	s_load_b32 s20, s[0:1], 0x50
	s_mov_b32 s2, 0
	s_waitcnt lgkmcnt(0)
	s_mul_hi_i32 s3, s7, s13
	s_mul_i32 s12, s7, s13
	s_cmp_lg_u64 s[2:3], 0
	s_cbranch_scc0 .LBB20_21
; %bb.1:
	v_cvt_f32_ubyte0_e32 v1, 0
	v_cvt_f32_u32_e32 v2, s20
	s_sub_u32 s10, 0, s20
	s_subb_u32 s11, 0, 0
	s_delay_alu instid0(VALU_DEP_1) | instskip(NEXT) | instid1(VALU_DEP_1)
	v_fmamk_f32 v1, v1, 0x4f800000, v2
	v_rcp_f32_e32 v1, v1
	s_waitcnt_depctr 0xfff
	v_mul_f32_e32 v1, 0x5f7ffffc, v1
	s_delay_alu instid0(VALU_DEP_1) | instskip(NEXT) | instid1(VALU_DEP_1)
	v_mul_f32_e32 v2, 0x2f800000, v1
	v_trunc_f32_e32 v2, v2
	s_delay_alu instid0(VALU_DEP_1) | instskip(SKIP_1) | instid1(VALU_DEP_2)
	v_fmamk_f32 v1, v2, 0xcf800000, v1
	v_cvt_u32_f32_e32 v2, v2
	v_cvt_u32_f32_e32 v1, v1
	s_delay_alu instid0(VALU_DEP_2) | instskip(NEXT) | instid1(VALU_DEP_2)
	v_readfirstlane_b32 s8, v2
	v_readfirstlane_b32 s9, v1
	s_delay_alu instid0(VALU_DEP_2) | instskip(NEXT) | instid1(VALU_DEP_1)
	s_mul_i32 s16, s10, s8
	s_mul_hi_u32 s18, s10, s9
	s_mul_i32 s17, s11, s9
	s_add_i32 s16, s18, s16
	s_mul_i32 s19, s10, s9
	s_add_i32 s16, s16, s17
	s_mul_hi_u32 s18, s9, s19
	s_mul_hi_u32 s21, s8, s19
	s_mul_i32 s17, s8, s19
	s_mul_hi_u32 s19, s9, s16
	s_mul_i32 s9, s9, s16
	s_mul_hi_u32 s22, s8, s16
	s_add_u32 s9, s18, s9
	s_addc_u32 s18, 0, s19
	s_add_u32 s9, s9, s17
	s_mul_i32 s16, s8, s16
	s_addc_u32 s9, s18, s21
	s_addc_u32 s17, s22, 0
	s_add_u32 s9, s9, s16
	s_addc_u32 s16, 0, s17
	v_add_co_u32 v1, s9, v1, s9
	s_delay_alu instid0(VALU_DEP_1) | instskip(SKIP_1) | instid1(VALU_DEP_1)
	s_cmp_lg_u32 s9, 0
	s_addc_u32 s8, s8, s16
	v_readfirstlane_b32 s9, v1
	s_mul_i32 s16, s10, s8
	s_delay_alu instid0(VALU_DEP_1)
	s_mul_hi_u32 s17, s10, s9
	s_mul_i32 s11, s11, s9
	s_add_i32 s16, s17, s16
	s_mul_i32 s10, s10, s9
	s_add_i32 s16, s16, s11
	s_mul_hi_u32 s17, s8, s10
	s_mul_i32 s18, s8, s10
	s_mul_hi_u32 s10, s9, s10
	s_mul_hi_u32 s19, s9, s16
	s_mul_i32 s9, s9, s16
	s_mul_hi_u32 s11, s8, s16
	s_add_u32 s9, s10, s9
	s_addc_u32 s10, 0, s19
	s_add_u32 s9, s9, s18
	s_mul_i32 s16, s8, s16
	s_addc_u32 s9, s10, s17
	s_addc_u32 s10, s11, 0
	s_add_u32 s9, s9, s16
	s_addc_u32 s10, 0, s10
	v_add_co_u32 v1, s9, v1, s9
	s_delay_alu instid0(VALU_DEP_1) | instskip(SKIP_2) | instid1(SALU_CYCLE_1)
	s_cmp_lg_u32 s9, 0
	s_addc_u32 s16, s8, s10
	s_ashr_i32 s8, s3, 31
	s_add_u32 s10, s12, s8
	s_addc_u32 s11, s3, s8
	v_readfirstlane_b32 s3, v1
	s_mov_b32 s9, s8
	s_delay_alu instid0(SALU_CYCLE_1) | instskip(NEXT) | instid1(SALU_CYCLE_1)
	s_xor_b64 s[10:11], s[10:11], s[8:9]
	s_mul_i32 s18, s10, s16
	s_delay_alu instid0(VALU_DEP_1)
	s_mul_hi_u32 s19, s10, s3
	s_mul_hi_u32 s17, s10, s16
	;; [unrolled: 1-line block ×3, first 2 shown]
	s_mul_i32 s3, s11, s3
	s_add_u32 s18, s19, s18
	s_addc_u32 s17, 0, s17
	s_mul_hi_u32 s21, s11, s16
	s_add_u32 s3, s18, s3
	s_mul_i32 s16, s11, s16
	s_addc_u32 s3, s17, s22
	s_addc_u32 s17, s21, 0
	s_add_u32 s3, s3, s16
	s_addc_u32 s16, 0, s17
	s_mul_i32 s18, s20, s3
	s_add_u32 s17, s3, 1
	v_sub_co_u32 v1, s10, s10, s18
	s_mul_hi_u32 s18, s20, s3
	s_addc_u32 s19, s16, 0
	s_mul_i32 s21, s20, s16
	s_delay_alu instid0(VALU_DEP_1)
	v_sub_co_u32 v2, s22, v1, s20
	s_add_u32 s23, s3, 2
	s_addc_u32 s24, s16, 0
	s_add_i32 s18, s18, s21
	s_cmp_lg_u32 s10, 0
	v_readfirstlane_b32 s10, v2
	s_subb_u32 s11, s11, s18
	s_cmp_lg_u32 s22, 0
	s_subb_u32 s18, s11, 0
	s_delay_alu instid0(VALU_DEP_1) | instskip(SKIP_4) | instid1(SALU_CYCLE_1)
	s_cmp_ge_u32 s10, s20
	s_cselect_b32 s10, -1, 0
	s_cmp_eq_u32 s18, 0
	v_readfirstlane_b32 s18, v1
	s_cselect_b32 s10, s10, -1
	s_cmp_lg_u32 s10, 0
	s_cselect_b32 s10, s23, s17
	s_cselect_b32 s17, s24, s19
	s_cmp_ge_u32 s18, s20
	s_cselect_b32 s18, -1, 0
	s_cmp_eq_u32 s11, 0
	s_cselect_b32 s11, s18, -1
	s_delay_alu instid0(SALU_CYCLE_1) | instskip(SKIP_2) | instid1(SALU_CYCLE_1)
	s_cmp_lg_u32 s11, 0
	s_cselect_b32 s11, s17, s16
	s_cselect_b32 s10, s10, s3
	s_xor_b64 s[10:11], s[10:11], s[8:9]
	s_delay_alu instid0(SALU_CYCLE_1)
	s_sub_u32 s16, s10, s8
	s_load_b128 s[8:11], s[0:1], 0x44
	s_and_not1_b32 vcc_lo, exec_lo, s2
	s_cbranch_vccnz .LBB20_3
.LBB20_2:
	v_cvt_f32_u32_e32 v1, s20
	s_sub_i32 s3, 0, s20
	s_delay_alu instid0(VALU_DEP_1) | instskip(SKIP_2) | instid1(VALU_DEP_1)
	v_rcp_iflag_f32_e32 v1, v1
	s_waitcnt_depctr 0xfff
	v_mul_f32_e32 v1, 0x4f7ffffe, v1
	v_cvt_u32_f32_e32 v1, v1
	s_delay_alu instid0(VALU_DEP_1) | instskip(NEXT) | instid1(VALU_DEP_1)
	v_readfirstlane_b32 s2, v1
	s_mul_i32 s3, s3, s2
	s_delay_alu instid0(SALU_CYCLE_1) | instskip(NEXT) | instid1(SALU_CYCLE_1)
	s_mul_hi_u32 s3, s2, s3
	s_add_i32 s2, s2, s3
	s_delay_alu instid0(SALU_CYCLE_1) | instskip(NEXT) | instid1(SALU_CYCLE_1)
	s_mul_hi_u32 s2, s12, s2
	s_mul_i32 s3, s2, s20
	s_waitcnt lgkmcnt(0)
	s_add_i32 s11, s2, 1
	s_sub_i32 s3, s12, s3
	s_delay_alu instid0(SALU_CYCLE_1)
	s_sub_i32 s12, s3, s20
	s_cmp_ge_u32 s3, s20
	s_cselect_b32 s2, s11, s2
	s_cselect_b32 s3, s12, s3
	s_add_i32 s11, s2, 1
	s_cmp_ge_u32 s3, s20
	s_cselect_b32 s16, s11, s2
.LBB20_3:
	s_waitcnt lgkmcnt(0)
	s_add_i32 s11, s13, 1
	s_mov_b32 s2, 0
	s_mul_hi_i32 s3, s7, s11
	s_mul_i32 s11, s7, s11
	s_cmp_lg_u64 s[2:3], 0
	s_cbranch_scc0 .LBB20_22
; %bb.4:
	v_cvt_f32_ubyte0_e32 v1, 0
	v_cvt_f32_u32_e32 v2, s20
	s_sub_u32 s18, 0, s20
	s_subb_u32 s19, 0, 0
	s_delay_alu instid0(VALU_DEP_1) | instskip(NEXT) | instid1(VALU_DEP_1)
	v_fmamk_f32 v1, v1, 0x4f800000, v2
	v_rcp_f32_e32 v1, v1
	s_waitcnt_depctr 0xfff
	v_mul_f32_e32 v1, 0x5f7ffffc, v1
	s_delay_alu instid0(VALU_DEP_1) | instskip(NEXT) | instid1(VALU_DEP_1)
	v_mul_f32_e32 v2, 0x2f800000, v1
	v_trunc_f32_e32 v2, v2
	s_delay_alu instid0(VALU_DEP_1) | instskip(SKIP_1) | instid1(VALU_DEP_2)
	v_fmamk_f32 v1, v2, 0xcf800000, v1
	v_cvt_u32_f32_e32 v2, v2
	v_cvt_u32_f32_e32 v1, v1
	s_delay_alu instid0(VALU_DEP_2) | instskip(NEXT) | instid1(VALU_DEP_2)
	v_readfirstlane_b32 s12, v2
	v_readfirstlane_b32 s17, v1
	s_delay_alu instid0(VALU_DEP_2) | instskip(NEXT) | instid1(VALU_DEP_1)
	s_mul_i32 s21, s18, s12
	s_mul_hi_u32 s23, s18, s17
	s_mul_i32 s22, s19, s17
	s_add_i32 s21, s23, s21
	s_mul_i32 s24, s18, s17
	s_add_i32 s21, s21, s22
	s_mul_hi_u32 s23, s17, s24
	s_mul_hi_u32 s25, s12, s24
	s_mul_i32 s22, s12, s24
	s_mul_hi_u32 s24, s17, s21
	s_mul_i32 s17, s17, s21
	s_mul_hi_u32 s26, s12, s21
	s_add_u32 s17, s23, s17
	s_addc_u32 s23, 0, s24
	s_add_u32 s17, s17, s22
	s_mul_i32 s21, s12, s21
	s_addc_u32 s17, s23, s25
	s_addc_u32 s22, s26, 0
	s_add_u32 s17, s17, s21
	s_addc_u32 s21, 0, s22
	v_add_co_u32 v1, s17, v1, s17
	s_delay_alu instid0(VALU_DEP_1) | instskip(SKIP_1) | instid1(VALU_DEP_1)
	s_cmp_lg_u32 s17, 0
	s_addc_u32 s12, s12, s21
	v_readfirstlane_b32 s17, v1
	s_mul_i32 s21, s18, s12
	s_delay_alu instid0(VALU_DEP_1)
	s_mul_hi_u32 s22, s18, s17
	s_mul_i32 s19, s19, s17
	s_add_i32 s21, s22, s21
	s_mul_i32 s18, s18, s17
	s_add_i32 s21, s21, s19
	s_mul_hi_u32 s22, s12, s18
	s_mul_i32 s23, s12, s18
	s_mul_hi_u32 s18, s17, s18
	s_mul_hi_u32 s24, s17, s21
	s_mul_i32 s17, s17, s21
	s_mul_hi_u32 s19, s12, s21
	s_add_u32 s17, s18, s17
	s_addc_u32 s18, 0, s24
	s_add_u32 s17, s17, s23
	s_mul_i32 s21, s12, s21
	s_addc_u32 s17, s18, s22
	s_addc_u32 s18, s19, 0
	s_add_u32 s17, s17, s21
	s_addc_u32 s18, 0, s18
	v_add_co_u32 v1, s17, v1, s17
	s_delay_alu instid0(VALU_DEP_1) | instskip(SKIP_2) | instid1(SALU_CYCLE_1)
	s_cmp_lg_u32 s17, 0
	s_addc_u32 s12, s12, s18
	s_ashr_i32 s18, s3, 31
	s_add_u32 s22, s11, s18
	s_addc_u32 s23, s3, s18
	v_readfirstlane_b32 s3, v1
	s_mov_b32 s19, s18
	s_delay_alu instid0(SALU_CYCLE_1) | instskip(NEXT) | instid1(SALU_CYCLE_1)
	s_xor_b64 s[22:23], s[22:23], s[18:19]
	s_mul_i32 s21, s22, s12
	s_delay_alu instid0(VALU_DEP_1)
	s_mul_hi_u32 s24, s22, s3
	s_mul_hi_u32 s17, s22, s12
	;; [unrolled: 1-line block ×3, first 2 shown]
	s_mul_i32 s3, s23, s3
	s_add_u32 s21, s24, s21
	s_addc_u32 s17, 0, s17
	s_mul_hi_u32 s25, s23, s12
	s_add_u32 s3, s21, s3
	s_mul_i32 s12, s23, s12
	s_addc_u32 s3, s17, s26
	s_addc_u32 s17, s25, 0
	s_add_u32 s3, s3, s12
	s_addc_u32 s12, 0, s17
	s_mul_i32 s21, s20, s3
	s_add_u32 s17, s3, 1
	v_sub_co_u32 v1, s21, s22, s21
	s_mul_hi_u32 s22, s20, s3
	s_addc_u32 s24, s12, 0
	s_mul_i32 s25, s20, s12
	s_delay_alu instid0(VALU_DEP_1)
	v_sub_co_u32 v2, s26, v1, s20
	s_add_u32 s27, s3, 2
	s_addc_u32 s28, s12, 0
	s_add_i32 s22, s22, s25
	s_cmp_lg_u32 s21, 0
	v_readfirstlane_b32 s21, v2
	s_subb_u32 s22, s23, s22
	s_cmp_lg_u32 s26, 0
	s_subb_u32 s23, s22, 0
	s_delay_alu instid0(VALU_DEP_1) | instskip(SKIP_4) | instid1(SALU_CYCLE_1)
	s_cmp_ge_u32 s21, s20
	s_cselect_b32 s21, -1, 0
	s_cmp_eq_u32 s23, 0
	v_readfirstlane_b32 s23, v1
	s_cselect_b32 s21, s21, -1
	s_cmp_lg_u32 s21, 0
	s_cselect_b32 s17, s27, s17
	s_cselect_b32 s21, s28, s24
	s_cmp_ge_u32 s23, s20
	s_cselect_b32 s23, -1, 0
	s_cmp_eq_u32 s22, 0
	s_cselect_b32 s22, s23, -1
	s_delay_alu instid0(SALU_CYCLE_1) | instskip(SKIP_2) | instid1(SALU_CYCLE_1)
	s_cmp_lg_u32 s22, 0
	s_cselect_b32 s23, s21, s12
	s_cselect_b32 s22, s17, s3
	s_xor_b64 s[22:23], s[22:23], s[18:19]
	s_delay_alu instid0(SALU_CYCLE_1)
	s_sub_u32 s18, s22, s18
	s_and_not1_b32 vcc_lo, exec_lo, s2
	s_cbranch_vccnz .LBB20_6
.LBB20_5:
	v_cvt_f32_u32_e32 v1, s20
	s_sub_i32 s3, 0, s20
	s_delay_alu instid0(VALU_DEP_1) | instskip(SKIP_2) | instid1(VALU_DEP_1)
	v_rcp_iflag_f32_e32 v1, v1
	s_waitcnt_depctr 0xfff
	v_mul_f32_e32 v1, 0x4f7ffffe, v1
	v_cvt_u32_f32_e32 v1, v1
	s_delay_alu instid0(VALU_DEP_1) | instskip(NEXT) | instid1(VALU_DEP_1)
	v_readfirstlane_b32 s2, v1
	s_mul_i32 s3, s3, s2
	s_delay_alu instid0(SALU_CYCLE_1) | instskip(NEXT) | instid1(SALU_CYCLE_1)
	s_mul_hi_u32 s3, s2, s3
	s_add_i32 s2, s2, s3
	s_delay_alu instid0(SALU_CYCLE_1) | instskip(NEXT) | instid1(SALU_CYCLE_1)
	s_mul_hi_u32 s2, s11, s2
	s_mul_i32 s3, s2, s20
	s_delay_alu instid0(SALU_CYCLE_1)
	s_sub_i32 s3, s11, s3
	s_add_i32 s11, s2, 1
	s_sub_i32 s12, s3, s20
	s_cmp_ge_u32 s3, s20
	s_cselect_b32 s2, s11, s2
	s_cselect_b32 s3, s12, s3
	s_add_i32 s11, s2, 1
	s_cmp_ge_u32 s3, s20
	s_cselect_b32 s18, s11, s2
.LBB20_6:
	s_delay_alu instid0(SALU_CYCLE_1) | instskip(SKIP_3) | instid1(SALU_CYCLE_1)
	s_cmp_eq_u32 s16, s18
	s_mul_hi_u32 s2, s16, s8
	s_cselect_b32 s3, -1, 0
	s_add_i32 s2, s2, s16
	s_lshr_b32 s11, s2, s9
	s_delay_alu instid0(SALU_CYCLE_1) | instskip(NEXT) | instid1(SALU_CYCLE_1)
	s_mul_i32 s2, s11, s10
	s_cmp_eq_u32 s2, s16
	s_mul_hi_u32 s2, s18, s8
	s_cselect_b32 s12, -1, 0
	s_add_i32 s2, s2, s18
	s_delay_alu instid0(SALU_CYCLE_1) | instskip(NEXT) | instid1(SALU_CYCLE_1)
	s_lshr_b32 s2, s2, s9
	s_cmp_eq_u32 s11, s2
	s_mul_i32 s2, s2, s10
	s_cselect_b32 s17, -1, 0
	s_cmp_lg_u32 s2, s18
	s_cselect_b32 s2, -1, 0
	s_or_b32 s3, s3, s12
	s_and_b32 s2, s17, s2
	s_delay_alu instid0(SALU_CYCLE_1) | instskip(NEXT) | instid1(SALU_CYCLE_1)
	s_or_b32 s2, s3, s2
	s_and_b32 vcc_lo, exec_lo, s2
	s_cbranch_vccnz .LBB20_24
; %bb.7:
	s_load_b256 s[24:31], s[0:1], 0x20
	s_waitcnt lgkmcnt(0)
	s_mul_hi_u32 s2, s16, s24
	s_delay_alu instid0(SALU_CYCLE_1) | instskip(NEXT) | instid1(SALU_CYCLE_1)
	s_add_i32 s2, s2, s16
	s_lshr_b32 s17, s2, s25
	s_load_b32 s2, s[0:1], 0x40
	s_mul_i32 s3, s17, s26
	s_delay_alu instid0(SALU_CYCLE_1) | instskip(NEXT) | instid1(SALU_CYCLE_1)
	s_sub_i32 s3, s16, s3
	s_mul_hi_u32 s12, s3, s27
	s_delay_alu instid0(SALU_CYCLE_1) | instskip(NEXT) | instid1(SALU_CYCLE_1)
	s_add_i32 s12, s3, s12
	s_lshr_b32 s21, s12, s28
	s_delay_alu instid0(SALU_CYCLE_1) | instskip(NEXT) | instid1(SALU_CYCLE_1)
	s_mul_i32 s12, s21, s29
	s_sub_i32 s3, s3, s12
	s_delay_alu instid0(SALU_CYCLE_1) | instskip(NEXT) | instid1(SALU_CYCLE_1)
	s_mul_hi_u32 s12, s3, s30
	s_add_i32 s12, s3, s12
	s_delay_alu instid0(SALU_CYCLE_1)
	s_lshr_b32 s12, s12, s31
	s_waitcnt lgkmcnt(0)
	s_mul_i32 s2, s12, s2
	s_lshl_b32 s23, s12, 2
	s_sub_i32 s2, s3, s2
	s_mov_b32 s12, 0
	s_mul_hi_u32 s3, s2, s8
	s_delay_alu instid0(SALU_CYCLE_1) | instskip(NEXT) | instid1(SALU_CYCLE_1)
	s_add_i32 s2, s2, s3
	s_lshr_b32 s22, s2, s9
	s_delay_alu instid0(SALU_CYCLE_1) | instskip(NEXT) | instid1(SALU_CYCLE_1)
	s_lshl_b32 s2, s22, 4
	s_add_i32 s2, s2, s14
	s_delay_alu instid0(SALU_CYCLE_1) | instskip(SKIP_2) | instid1(SALU_CYCLE_1)
	s_cmp_lt_i32 s2, s4
	s_cselect_b32 s2, -1, 0
	s_add_i32 s3, s23, s15
	s_cmp_lt_i32 s3, s6
	s_cselect_b32 s3, -1, 0
	s_delay_alu instid0(SALU_CYCLE_1) | instskip(NEXT) | instid1(SALU_CYCLE_1)
	s_and_b32 s2, s2, s3
	s_and_not1_b32 vcc_lo, exec_lo, s2
	s_cbranch_vccnz .LBB20_24
; %bb.8:
	s_load_b128 s[0:3], s[0:1], 0x0
	s_lshl_b32 s18, s20, 8
	s_mov_b32 s19, s12
	s_lshl_b32 s24, s14, 2
	s_lshl_b64 s[18:19], s[18:19], 2
	s_mul_i32 s4, s17, s4
	s_add_i32 s17, s24, s15
	s_mul_i32 s21, s21, s6
	v_cvt_f32_ubyte0_e32 v4, 0
	v_cvt_f32_u32_e32 v5, s20
	s_waitcnt lgkmcnt(0)
	s_add_u32 s18, s2, s18
	s_addc_u32 s19, s3, s19
	s_add_i32 s4, s4, s14
	s_delay_alu instid0(SALU_CYCLE_1) | instskip(SKIP_4) | instid1(SALU_CYCLE_1)
	s_mul_i32 s4, s4, s5
	s_mul_i32 s5, s5, s22
	s_add_i32 s4, s4, s15
	s_lshl_b32 s5, s5, 11
	s_add_i32 s4, s4, s21
	s_add_i32 s4, s4, s23
	s_delay_alu instid0(SALU_CYCLE_1) | instskip(NEXT) | instid1(SALU_CYCLE_1)
	s_lshl_b32 s4, s4, 7
	s_add_i32 s5, s5, s4
	s_delay_alu instid0(SALU_CYCLE_1) | instskip(SKIP_1) | instid1(VALU_DEP_2)
	v_or_b32_e32 v1, s5, v0
	v_lshl_or_b32 v0, s17, 7, v0
	v_ashrrev_i32_e32 v2, 31, v1
	s_delay_alu instid0(VALU_DEP_1) | instskip(NEXT) | instid1(VALU_DEP_1)
	v_lshlrev_b64 v[1:2], 2, v[1:2]
	v_add_co_u32 v1, vcc_lo, s0, v1
	s_delay_alu instid0(VALU_DEP_2) | instskip(SKIP_1) | instid1(SALU_CYCLE_1)
	v_add_co_ci_u32_e32 v2, vcc_lo, s1, v2, vcc_lo
	s_lshl_b32 s0, s13, 6
	s_add_i32 s0, s17, s0
	global_load_b32 v3, v[1:2], off
	s_ashr_i32 s1, s0, 31
	s_delay_alu instid0(SALU_CYCLE_1) | instskip(NEXT) | instid1(SALU_CYCLE_1)
	s_lshl_b64 s[0:1], s[0:1], 3
	s_add_u32 s0, s2, s0
	s_addc_u32 s1, s3, s1
	s_add_i32 s14, s13, -1
	s_load_b64 s[0:1], s[0:1], 0x0
	v_fmac_f32_e32 v5, 0x4f800000, v4
	s_sub_i32 s6, 0, s20
	s_waitcnt lgkmcnt(0)
	v_mov_b32_e32 v8, s0
	s_delay_alu instid0(VALU_DEP_2) | instskip(SKIP_2) | instid1(VALU_DEP_2)
	v_rcp_f32_e32 v4, v5
	v_cvt_f32_u32_e32 v5, s20
	v_mov_b32_e32 v7, s1
	v_rcp_iflag_f32_e32 v5, v5
	s_waitcnt_depctr 0xfff
	v_mul_f32_e32 v4, 0x5f7ffffc, v4
	s_delay_alu instid0(VALU_DEP_1) | instskip(SKIP_1) | instid1(VALU_DEP_2)
	v_mul_f32_e32 v6, 0x2f800000, v4
	v_mul_f32_e32 v9, 0x4f7ffffe, v5
	v_trunc_f32_e32 v6, v6
	s_delay_alu instid0(VALU_DEP_1) | instskip(SKIP_1) | instid1(VALU_DEP_4)
	v_fmac_f32_e32 v4, 0xcf800000, v6
	v_cvt_u32_f32_e32 v5, v6
	v_cvt_u32_f32_e32 v6, v9
	s_delay_alu instid0(VALU_DEP_3)
	v_cvt_u32_f32_e32 v4, v4
.LBB20_9:                               ; =>This Inner Loop Header: Depth=1
	s_mul_hi_i32 s13, s14, s7
	s_mul_i32 s4, s14, s7
	s_cmp_lg_u64 s[12:13], 0
	s_mov_b32 s5, -1
                                        ; implicit-def: $sgpr0_sgpr1
	s_cbranch_scc0 .LBB20_11
; %bb.10:                               ;   in Loop: Header=BB20_9 Depth=1
	v_readfirstlane_b32 s0, v4
	v_readfirstlane_b32 s1, v5
	s_sub_u32 s5, 0, s20
	s_subb_u32 s15, 0, 0
	s_delay_alu instid0(VALU_DEP_2) | instskip(NEXT) | instid1(VALU_DEP_1)
	s_mul_hi_u32 s21, s5, s0
	s_mul_i32 s22, s5, s1
	s_mul_i32 s23, s15, s0
	s_add_i32 s21, s21, s22
	s_mul_i32 s22, s5, s0
	s_add_i32 s21, s21, s23
	s_mul_hi_u32 s23, s0, s22
	s_mul_i32 s24, s0, s21
	s_mul_hi_u32 s0, s0, s21
	s_add_u32 s23, s23, s24
	s_mul_i32 s25, s1, s22
	s_addc_u32 s0, 0, s0
	s_mul_hi_u32 s22, s1, s22
	s_mul_hi_u32 s24, s1, s21
	s_add_u32 s23, s23, s25
	s_addc_u32 s0, s0, s22
	s_mul_i32 s21, s1, s21
	s_addc_u32 s22, s24, 0
	s_add_u32 s0, s0, s21
	s_addc_u32 s21, 0, s22
	v_add_co_u32 v9, s0, v4, s0
	s_delay_alu instid0(VALU_DEP_1) | instskip(SKIP_1) | instid1(VALU_DEP_1)
	s_cmp_lg_u32 s0, 0
	s_addc_u32 s1, s1, s21
	v_readfirstlane_b32 s0, v9
	s_mul_i32 s21, s5, s1
	s_delay_alu instid0(VALU_DEP_1)
	s_mul_hi_u32 s22, s5, s0
	s_mul_i32 s15, s15, s0
	s_add_i32 s21, s22, s21
	s_mul_i32 s5, s5, s0
	s_add_i32 s21, s21, s15
	s_mul_hi_u32 s15, s1, s5
	s_mul_i32 s23, s1, s5
	s_mul_i32 s24, s0, s21
	s_mul_hi_u32 s5, s0, s5
	s_mul_hi_u32 s0, s0, s21
	s_add_u32 s5, s5, s24
	s_addc_u32 s0, 0, s0
	s_mul_hi_u32 s22, s1, s21
	s_add_u32 s5, s5, s23
	s_addc_u32 s0, s0, s15
	s_mul_i32 s5, s1, s21
	s_addc_u32 s15, s22, 0
	s_add_u32 s0, s0, s5
	s_addc_u32 s5, 0, s15
	v_add_co_u32 v9, s0, v9, s0
	s_delay_alu instid0(VALU_DEP_1) | instskip(SKIP_2) | instid1(SALU_CYCLE_1)
	s_cmp_lg_u32 s0, 0
	s_addc_u32 s5, s1, s5
	s_ashr_i32 s0, s13, 31
	s_add_u32 s22, s4, s0
	s_addc_u32 s23, s13, s0
	v_readfirstlane_b32 s13, v9
	s_mov_b32 s1, s0
	s_delay_alu instid0(SALU_CYCLE_1) | instskip(NEXT) | instid1(SALU_CYCLE_1)
	s_xor_b64 s[22:23], s[22:23], s[0:1]
	s_mul_i32 s15, s22, s5
	s_delay_alu instid0(VALU_DEP_1)
	s_mul_hi_u32 s21, s22, s13
	s_mul_hi_u32 s24, s22, s5
	s_add_u32 s15, s21, s15
	s_mul_i32 s25, s23, s13
	s_addc_u32 s21, 0, s24
	s_mul_hi_u32 s13, s23, s13
	s_mul_hi_u32 s24, s23, s5
	s_add_u32 s15, s15, s25
	s_addc_u32 s13, s21, s13
	s_mul_i32 s5, s23, s5
	s_addc_u32 s15, s24, 0
	s_add_u32 s5, s13, s5
	s_addc_u32 s13, 0, s15
	s_mul_i32 s21, s20, s5
	s_add_u32 s15, s5, 1
	v_sub_co_u32 v9, s21, s22, s21
	s_addc_u32 s22, s13, 0
	s_mul_i32 s25, s20, s13
	s_mul_hi_u32 s27, s20, s5
	s_delay_alu instid0(VALU_DEP_1)
	v_sub_co_u32 v10, s26, v9, s20
	s_add_u32 s24, s5, 2
	s_addc_u32 s28, s13, 0
	s_add_i32 s27, s27, s25
	s_cmp_lg_u32 s21, 0
	v_readfirstlane_b32 s21, v10
	s_subb_u32 s23, s23, s27
	s_cmp_lg_u32 s26, 0
	s_subb_u32 s25, s23, 0
	s_delay_alu instid0(VALU_DEP_1) | instskip(SKIP_4) | instid1(SALU_CYCLE_1)
	s_cmp_ge_u32 s21, s20
	s_cselect_b32 s21, -1, 0
	s_cmp_eq_u32 s25, 0
	v_readfirstlane_b32 s25, v9
	s_cselect_b32 s21, s21, -1
	s_cmp_lg_u32 s21, 0
	s_cselect_b32 s15, s24, s15
	s_cselect_b32 s21, s28, s22
	s_cmp_ge_u32 s25, s20
	s_cselect_b32 s22, -1, 0
	s_cmp_eq_u32 s23, 0
	s_cselect_b32 s22, s22, -1
	s_delay_alu instid0(SALU_CYCLE_1) | instskip(SKIP_4) | instid1(SALU_CYCLE_1)
	s_cmp_lg_u32 s22, 0
	s_cselect_b32 s23, s21, s13
	s_cselect_b32 s22, s15, s5
	s_mov_b32 s5, 0
	s_xor_b64 s[22:23], s[22:23], s[0:1]
	s_sub_u32 s0, s22, s0
.LBB20_11:                              ;   in Loop: Header=BB20_9 Depth=1
	s_and_not1_b32 vcc_lo, exec_lo, s5
	s_cbranch_vccnz .LBB20_13
; %bb.12:                               ;   in Loop: Header=BB20_9 Depth=1
	v_readfirstlane_b32 s0, v6
	s_delay_alu instid0(VALU_DEP_1) | instskip(NEXT) | instid1(SALU_CYCLE_1)
	s_mul_i32 s1, s6, s0
	s_mul_hi_u32 s1, s0, s1
	s_delay_alu instid0(SALU_CYCLE_1) | instskip(NEXT) | instid1(SALU_CYCLE_1)
	s_add_i32 s0, s0, s1
	s_mul_hi_u32 s0, s4, s0
	s_delay_alu instid0(SALU_CYCLE_1) | instskip(NEXT) | instid1(SALU_CYCLE_1)
	s_mul_i32 s1, s0, s20
	s_sub_i32 s1, s4, s1
	s_add_i32 s4, s0, 1
	s_sub_i32 s5, s1, s20
	s_cmp_ge_u32 s1, s20
	s_cselect_b32 s0, s4, s0
	s_cselect_b32 s1, s5, s1
	s_add_i32 s4, s0, 1
	s_cmp_ge_u32 s1, s20
	s_cselect_b32 s0, s4, s0
.LBB20_13:                              ;   in Loop: Header=BB20_9 Depth=1
	s_delay_alu instid0(SALU_CYCLE_1)
	s_cmp_lg_u32 s16, s0
	s_cbranch_scc0 .LBB20_17
; %bb.14:                               ;   in Loop: Header=BB20_9 Depth=1
	s_add_i32 s1, s14, s20
	s_mov_b32 s5, s12
	s_lshl_b32 s1, s1, 6
	s_mov_b32 s15, s16
	s_add_i32 s4, s1, s17
	s_mul_hi_u32 s1, s0, s8
	s_lshl_b64 s[4:5], s[4:5], 3
	s_delay_alu instid0(SALU_CYCLE_1) | instskip(SKIP_2) | instid1(SALU_CYCLE_1)
	s_add_u32 s4, s2, s4
	s_addc_u32 s5, s3, s5
	s_add_i32 s1, s1, s0
	s_lshr_b32 s1, s1, s9
	s_delay_alu instid0(SALU_CYCLE_1) | instskip(NEXT) | instid1(SALU_CYCLE_1)
	s_mul_i32 s13, s1, s10
	s_cmp_eq_u32 s13, s0
	s_cselect_b32 s13, -1, 0
	s_cmp_lt_u32 s1, s11
	s_cselect_b32 s1, -1, 0
	s_delay_alu instid0(SALU_CYCLE_1)
	s_or_b32 s1, s1, s13
	s_mov_b32 s13, -1
	s_and_b32 vcc_lo, exec_lo, s1
	s_mov_b32 s1, s14
	s_cbranch_vccnz .LBB20_16
; %bb.15:                               ;   in Loop: Header=BB20_9 Depth=1
	s_add_i32 s1, s14, -1
	s_mov_b32 s13, 0
	s_mov_b32 s15, s0
.LBB20_16:                              ;   in Loop: Header=BB20_9 Depth=1
	v_lshl_add_u32 v9, s14, 13, v0
	s_load_b64 s[4:5], s[4:5], 0x0
	s_delay_alu instid0(VALU_DEP_1) | instskip(NEXT) | instid1(VALU_DEP_1)
	v_ashrrev_i32_e32 v10, 31, v9
	v_lshlrev_b64 v[9:10], 2, v[9:10]
	s_delay_alu instid0(VALU_DEP_1) | instskip(NEXT) | instid1(VALU_DEP_2)
	v_add_co_u32 v9, vcc_lo, s18, v9
	v_add_co_ci_u32_e32 v10, vcc_lo, s19, v10, vcc_lo
	s_waitcnt lgkmcnt(0)
	v_max_f32_e64 v11, s4, s4
	global_load_b32 v10, v[9:10], off
	v_max_f32_e32 v9, v8, v8
	s_delay_alu instid0(VALU_DEP_1) | instskip(NEXT) | instid1(VALU_DEP_1)
	v_max_f32_e32 v9, v9, v11
	v_sub_f32_e32 v12, v8, v9
	s_delay_alu instid0(VALU_DEP_1) | instskip(NEXT) | instid1(VALU_DEP_1)
	v_dual_mul_f32 v14, 0x3fb8aa3b, v12 :: v_dual_sub_f32 v11, s4, v9
	v_rndne_f32_e32 v18, v14
	s_delay_alu instid0(VALU_DEP_2) | instskip(SKIP_2) | instid1(VALU_DEP_4)
	v_mul_f32_e32 v13, 0x3fb8aa3b, v11
	v_fma_f32 v17, 0x3fb8aa3b, v12, -v14
	v_cmp_ngt_f32_e32 vcc_lo, 0xc2ce8ed0, v11
	v_sub_f32_e32 v14, v14, v18
	s_delay_alu instid0(VALU_DEP_4) | instskip(SKIP_2) | instid1(VALU_DEP_3)
	v_fma_f32 v15, 0x3fb8aa3b, v11, -v13
	v_rndne_f32_e32 v16, v13
	v_fmac_f32_e32 v17, 0x32a5705f, v12
	v_fmac_f32_e32 v15, 0x32a5705f, v11
	s_delay_alu instid0(VALU_DEP_2) | instskip(NEXT) | instid1(VALU_DEP_1)
	v_dual_sub_f32 v13, v13, v16 :: v_dual_add_f32 v14, v14, v17
	v_add_f32_e32 v13, v13, v15
	s_delay_alu instid0(VALU_DEP_2) | instskip(SKIP_2) | instid1(VALU_DEP_3)
	v_exp_f32_e32 v14, v14
	v_cvt_i32_f32_e32 v15, v16
	v_cvt_i32_f32_e32 v16, v18
	v_exp_f32_e32 v13, v13
	s_waitcnt_depctr 0xfff
	v_ldexp_f32 v14, v14, v16
	v_ldexp_f32 v13, v13, v15
	s_delay_alu instid0(VALU_DEP_1) | instskip(SKIP_1) | instid1(VALU_DEP_4)
	v_cndmask_b32_e32 v13, 0, v13, vcc_lo
	v_cmp_ngt_f32_e32 vcc_lo, 0xc2ce8ed0, v12
	v_cndmask_b32_e32 v14, 0, v14, vcc_lo
	v_cmp_nlt_f32_e32 vcc_lo, 0x42b17218, v11
	s_delay_alu instid0(VALU_DEP_4) | instskip(SKIP_1) | instid1(VALU_DEP_4)
	v_cndmask_b32_e32 v13, 0x7f800000, v13, vcc_lo
	v_cmp_nlt_f32_e32 vcc_lo, 0x42b17218, v12
	v_cndmask_b32_e32 v14, 0x7f800000, v14, vcc_lo
	v_cmp_le_f32_e32 vcc_lo, 0xc1a00000, v11
	s_delay_alu instid0(VALU_DEP_4) | instskip(SKIP_1) | instid1(VALU_DEP_4)
	v_cndmask_b32_e32 v11, 0, v13, vcc_lo
	v_cmp_le_f32_e32 vcc_lo, 0xc1a00000, v12
	v_cndmask_b32_e32 v12, 0, v14, vcc_lo
	s_waitcnt vmcnt(0)
	s_delay_alu instid0(VALU_DEP_3) | instskip(NEXT) | instid1(VALU_DEP_1)
	v_mul_f32_e32 v10, v10, v11
	v_dual_mul_f32 v11, s5, v11 :: v_dual_fmac_f32 v10, v3, v12
	s_delay_alu instid0(VALU_DEP_1)
	v_fmac_f32_e32 v11, v7, v12
	s_cbranch_execz .LBB20_18
	s_branch .LBB20_19
.LBB20_17:                              ;   in Loop: Header=BB20_9 Depth=1
                                        ; implicit-def: $sgpr13
                                        ; implicit-def: $vgpr10
                                        ; implicit-def: $vgpr9
                                        ; implicit-def: $vgpr11
                                        ; implicit-def: $sgpr1
                                        ; implicit-def: $sgpr15
.LBB20_18:                              ;   in Loop: Header=BB20_9 Depth=1
	v_mov_b32_e32 v11, v7
	s_waitcnt vmcnt(0)
	v_dual_mov_b32 v9, v8 :: v_dual_mov_b32 v10, v3
	s_add_i32 s1, s14, -1
	s_mov_b32 s13, 0
	s_mov_b32 s15, s16
.LBB20_19:                              ;   in Loop: Header=BB20_9 Depth=1
	s_and_not1_b32 vcc_lo, exec_lo, s13
	s_cbranch_vccz .LBB20_23
; %bb.20:                               ;   in Loop: Header=BB20_9 Depth=1
	v_dual_mov_b32 v7, v11 :: v_dual_mov_b32 v8, v9
	s_waitcnt vmcnt(0)
	v_mov_b32_e32 v3, v10
	s_mov_b32 s16, s15
	s_mov_b32 s14, s1
	s_branch .LBB20_9
.LBB20_21:
                                        ; implicit-def: $sgpr16_sgpr17
	s_load_b128 s[8:11], s[0:1], 0x44
	s_branch .LBB20_2
.LBB20_22:
                                        ; implicit-def: $sgpr18_sgpr19
	s_branch .LBB20_5
.LBB20_23:
	v_div_scale_f32 v0, null, v11, v11, v10
	s_waitcnt vmcnt(0)
	s_delay_alu instid0(VALU_DEP_1) | instskip(SKIP_2) | instid1(VALU_DEP_1)
	v_rcp_f32_e32 v3, v0
	s_waitcnt_depctr 0xfff
	v_fma_f32 v4, -v0, v3, 1.0
	v_fmac_f32_e32 v3, v4, v3
	v_div_scale_f32 v4, vcc_lo, v10, v11, v10
	s_delay_alu instid0(VALU_DEP_1) | instskip(NEXT) | instid1(VALU_DEP_1)
	v_mul_f32_e32 v5, v4, v3
	v_fma_f32 v6, -v0, v5, v4
	s_delay_alu instid0(VALU_DEP_1) | instskip(NEXT) | instid1(VALU_DEP_1)
	v_fmac_f32_e32 v5, v6, v3
	v_fma_f32 v0, -v0, v5, v4
	s_delay_alu instid0(VALU_DEP_1) | instskip(NEXT) | instid1(VALU_DEP_1)
	v_div_fmas_f32 v0, v0, v3, v5
	v_div_fixup_f32 v0, v0, v11, v10
	global_store_b32 v[1:2], v0, off
.LBB20_24:
	s_nop 0
	s_sendmsg sendmsg(MSG_DEALLOC_VGPRS)
	s_endpgm
	.section	.rodata,"a",@progbits
	.p2align	6, 0x0
	.amdhsa_kernel _ZL33flash_attn_stream_k_fixup_generalILi128ELi16ELi4EEvPfPK15HIP_vector_typeIfLj2EEiiiiS1_IjLj3EES5_S5_S5_
		.amdhsa_group_segment_fixed_size 0
		.amdhsa_private_segment_fixed_size 0
		.amdhsa_kernarg_size 336
		.amdhsa_user_sgpr_count 13
		.amdhsa_user_sgpr_dispatch_ptr 0
		.amdhsa_user_sgpr_queue_ptr 0
		.amdhsa_user_sgpr_kernarg_segment_ptr 1
		.amdhsa_user_sgpr_dispatch_id 0
		.amdhsa_user_sgpr_private_segment_size 0
		.amdhsa_wavefront_size32 1
		.amdhsa_uses_dynamic_stack 0
		.amdhsa_enable_private_segment 0
		.amdhsa_system_sgpr_workgroup_id_x 1
		.amdhsa_system_sgpr_workgroup_id_y 1
		.amdhsa_system_sgpr_workgroup_id_z 1
		.amdhsa_system_sgpr_workgroup_info 0
		.amdhsa_system_vgpr_workitem_id 0
		.amdhsa_next_free_vgpr 19
		.amdhsa_next_free_sgpr 32
		.amdhsa_reserve_vcc 1
		.amdhsa_float_round_mode_32 0
		.amdhsa_float_round_mode_16_64 0
		.amdhsa_float_denorm_mode_32 3
		.amdhsa_float_denorm_mode_16_64 3
		.amdhsa_dx10_clamp 1
		.amdhsa_ieee_mode 1
		.amdhsa_fp16_overflow 0
		.amdhsa_workgroup_processor_mode 1
		.amdhsa_memory_ordered 1
		.amdhsa_forward_progress 0
		.amdhsa_shared_vgpr_count 0
		.amdhsa_exception_fp_ieee_invalid_op 0
		.amdhsa_exception_fp_denorm_src 0
		.amdhsa_exception_fp_ieee_div_zero 0
		.amdhsa_exception_fp_ieee_overflow 0
		.amdhsa_exception_fp_ieee_underflow 0
		.amdhsa_exception_fp_ieee_inexact 0
		.amdhsa_exception_int_div_zero 0
	.end_amdhsa_kernel
	.section	.text._ZL33flash_attn_stream_k_fixup_generalILi128ELi16ELi4EEvPfPK15HIP_vector_typeIfLj2EEiiiiS1_IjLj3EES5_S5_S5_,"axG",@progbits,_ZL33flash_attn_stream_k_fixup_generalILi128ELi16ELi4EEvPfPK15HIP_vector_typeIfLj2EEiiiiS1_IjLj3EES5_S5_S5_,comdat
.Lfunc_end20:
	.size	_ZL33flash_attn_stream_k_fixup_generalILi128ELi16ELi4EEvPfPK15HIP_vector_typeIfLj2EEiiiiS1_IjLj3EES5_S5_S5_, .Lfunc_end20-_ZL33flash_attn_stream_k_fixup_generalILi128ELi16ELi4EEvPfPK15HIP_vector_typeIfLj2EEiiiiS1_IjLj3EES5_S5_S5_
                                        ; -- End function
	.section	.AMDGPU.csdata,"",@progbits
; Kernel info:
; codeLenInByte = 3224
; NumSgprs: 34
; NumVgprs: 19
; ScratchSize: 0
; MemoryBound: 0
; FloatMode: 240
; IeeeMode: 1
; LDSByteSize: 0 bytes/workgroup (compile time only)
; SGPRBlocks: 4
; VGPRBlocks: 2
; NumSGPRsForWavesPerEU: 34
; NumVGPRsForWavesPerEU: 19
; Occupancy: 16
; WaveLimiterHint : 0
; COMPUTE_PGM_RSRC2:SCRATCH_EN: 0
; COMPUTE_PGM_RSRC2:USER_SGPR: 13
; COMPUTE_PGM_RSRC2:TRAP_HANDLER: 0
; COMPUTE_PGM_RSRC2:TGID_X_EN: 1
; COMPUTE_PGM_RSRC2:TGID_Y_EN: 1
; COMPUTE_PGM_RSRC2:TGID_Z_EN: 1
; COMPUTE_PGM_RSRC2:TIDIG_COMP_CNT: 0
	.section	.text._ZL15flash_attn_tileILi128ELi128ELi8ELi4ELb0EEvPKcS1_S1_S1_S1_PKiPfP15HIP_vector_typeIfLj2EEffffjfiS5_IjLj3EEiiiiiiiiiiiliiliiiiil,"axG",@progbits,_ZL15flash_attn_tileILi128ELi128ELi8ELi4ELb0EEvPKcS1_S1_S1_S1_PKiPfP15HIP_vector_typeIfLj2EEffffjfiS5_IjLj3EEiiiiiiiiiiiliiliiiiil,comdat
	.globl	_ZL15flash_attn_tileILi128ELi128ELi8ELi4ELb0EEvPKcS1_S1_S1_S1_PKiPfP15HIP_vector_typeIfLj2EEffffjfiS5_IjLj3EEiiiiiiiiiiiliiliiiiil ; -- Begin function _ZL15flash_attn_tileILi128ELi128ELi8ELi4ELb0EEvPKcS1_S1_S1_S1_PKiPfP15HIP_vector_typeIfLj2EEffffjfiS5_IjLj3EEiiiiiiiiiiiliiliiiiil
	.p2align	8
	.type	_ZL15flash_attn_tileILi128ELi128ELi8ELi4ELb0EEvPKcS1_S1_S1_S1_PKiPfP15HIP_vector_typeIfLj2EEffffjfiS5_IjLj3EEiiiiiiiiiiiliiliiiiil,@function
_ZL15flash_attn_tileILi128ELi128ELi8ELi4ELb0EEvPKcS1_S1_S1_S1_PKiPfP15HIP_vector_typeIfLj2EEffffjfiS5_IjLj3EEiiiiiiiiiiiliiliiiiil: ; @_ZL15flash_attn_tileILi128ELi128ELi8ELi4ELb0EEvPKcS1_S1_S1_S1_PKiPfP15HIP_vector_typeIfLj2EEffffjfiS5_IjLj3EEiiiiiiiiiiiliiliiiiil
; %bb.0:
	s_clause 0x1
	s_load_b128 s[52:55], s[0:1], 0x5c
	s_load_b64 s[58:59], s[0:1], 0x80
	s_mov_b64 s[60:61], 0
	s_waitcnt lgkmcnt(0)
	s_ashr_i32 s2, s55, 31
	s_delay_alu instid0(SALU_CYCLE_1) | instskip(NEXT) | instid1(SALU_CYCLE_1)
	s_lshr_b32 s2, s2, 30
	s_add_i32 s2, s55, s2
	s_delay_alu instid0(SALU_CYCLE_1) | instskip(NEXT) | instid1(SALU_CYCLE_1)
	s_ashr_i32 s2, s2, 2
	v_cvt_f32_u32_e32 v1, s2
	s_sub_i32 s4, 0, s2
	s_delay_alu instid0(VALU_DEP_1) | instskip(SKIP_2) | instid1(VALU_DEP_1)
	v_rcp_iflag_f32_e32 v1, v1
	s_waitcnt_depctr 0xfff
	v_mul_f32_e32 v1, 0x4f7ffffe, v1
	v_cvt_u32_f32_e32 v1, v1
	s_delay_alu instid0(VALU_DEP_1) | instskip(NEXT) | instid1(VALU_DEP_1)
	v_readfirstlane_b32 s3, v1
	s_mul_i32 s4, s4, s3
	s_delay_alu instid0(SALU_CYCLE_1) | instskip(NEXT) | instid1(SALU_CYCLE_1)
	s_mul_hi_u32 s4, s3, s4
	s_add_i32 s3, s3, s4
	s_delay_alu instid0(SALU_CYCLE_1) | instskip(NEXT) | instid1(SALU_CYCLE_1)
	s_mul_hi_u32 s3, s15, s3
	s_mul_i32 s4, s3, s2
	s_add_i32 s5, s3, 1
	s_sub_i32 s4, s15, s4
	s_delay_alu instid0(SALU_CYCLE_1)
	s_sub_i32 s6, s4, s2
	s_cmp_ge_u32 s4, s2
	s_cselect_b32 s3, s5, s3
	s_cselect_b32 s4, s6, s4
	s_add_i32 s5, s3, 1
	s_cmp_ge_u32 s4, s2
	s_cselect_b32 s62, s5, s3
	s_abs_i32 s2, s59
	s_abs_i32 s7, s55
	v_cvt_f32_u32_e32 v1, s2
	s_sub_i32 s4, 0, s2
	s_lshl_b32 s5, s15, 2
	s_mul_i32 s6, s62, s55
	s_delay_alu instid0(VALU_DEP_1) | instskip(SKIP_3) | instid1(VALU_DEP_1)
	v_rcp_iflag_f32_e32 v1, v1
	s_sub_i32 s56, s5, s6
	s_waitcnt_depctr 0xfff
	v_mul_f32_e32 v1, 0x4f7ffffe, v1
	v_cvt_u32_f32_e32 v1, v1
	s_delay_alu instid0(VALU_DEP_1) | instskip(NEXT) | instid1(VALU_DEP_1)
	v_readfirstlane_b32 s3, v1
	s_mul_i32 s4, s4, s3
	s_delay_alu instid0(SALU_CYCLE_1) | instskip(NEXT) | instid1(SALU_CYCLE_1)
	s_mul_hi_u32 s4, s3, s4
	s_add_i32 s3, s3, s4
	s_xor_b32 s4, s55, s59
	s_mul_hi_u32 s3, s7, s3
	s_ashr_i32 s4, s4, 31
	s_mul_i32 s5, s3, s2
	s_add_i32 s6, s3, 1
	s_sub_i32 s5, s7, s5
	s_delay_alu instid0(SALU_CYCLE_1)
	s_sub_i32 s7, s5, s2
	s_cmp_ge_u32 s5, s2
	s_cselect_b32 s3, s6, s3
	s_cselect_b32 s5, s7, s5
	s_add_i32 s6, s3, 1
	s_cmp_ge_u32 s5, s2
	s_cselect_b32 s2, s6, s3
	s_delay_alu instid0(SALU_CYCLE_1) | instskip(NEXT) | instid1(SALU_CYCLE_1)
	s_xor_b32 s2, s2, s4
	s_sub_i32 s9, s2, s4
	s_clause 0x1
	s_load_b512 s[36:51], s[0:1], 0x0
	s_load_b64 s[2:3], s[0:1], 0xb8
	s_abs_i32 s8, s9
	s_delay_alu instid0(SALU_CYCLE_1) | instskip(NEXT) | instid1(VALU_DEP_1)
	v_cvt_f32_u32_e32 v1, s8
	v_rcp_iflag_f32_e32 v1, v1
	s_waitcnt_depctr 0xfff
	v_mul_f32_e32 v1, 0x4f7ffffe, v1
	s_waitcnt lgkmcnt(0)
	s_cmp_eq_u64 s[42:43], 0
	s_delay_alu instid0(VALU_DEP_1) | instskip(NEXT) | instid1(VALU_DEP_1)
	v_cvt_u32_f32_e32 v1, v1
	v_readfirstlane_b32 s10, v1
	s_cbranch_scc1 .LBB21_2
; %bb.1:
	s_abs_i32 s2, s2
	s_abs_i32 s6, s62
	v_cvt_f32_u32_e32 v1, s2
	s_sub_i32 s5, 0, s2
	s_delay_alu instid0(VALU_DEP_1) | instskip(SKIP_2) | instid1(VALU_DEP_1)
	v_rcp_iflag_f32_e32 v1, v1
	s_waitcnt_depctr 0xfff
	v_mul_f32_e32 v1, 0x4f7ffffe, v1
	v_cvt_u32_f32_e32 v1, v1
	s_delay_alu instid0(VALU_DEP_1) | instskip(NEXT) | instid1(VALU_DEP_1)
	v_readfirstlane_b32 s4, v1
	s_mul_i32 s5, s5, s4
	s_delay_alu instid0(SALU_CYCLE_1) | instskip(NEXT) | instid1(SALU_CYCLE_1)
	s_mul_hi_u32 s5, s4, s5
	s_add_i32 s7, s4, s5
	s_load_b64 s[4:5], s[0:1], 0xc8
	s_mul_hi_u32 s7, s6, s7
	s_delay_alu instid0(SALU_CYCLE_1) | instskip(NEXT) | instid1(SALU_CYCLE_1)
	s_mul_i32 s7, s7, s2
	s_sub_i32 s6, s6, s7
	s_ashr_i32 s7, s62, 31
	s_sub_i32 s11, s6, s2
	s_cmp_ge_u32 s6, s2
	s_cselect_b32 s6, s11, s6
	s_delay_alu instid0(SALU_CYCLE_1) | instskip(SKIP_2) | instid1(SALU_CYCLE_1)
	s_sub_i32 s11, s6, s2
	s_cmp_ge_u32 s6, s2
	s_cselect_b32 s2, s11, s6
	s_xor_b32 s2, s2, s7
	s_delay_alu instid0(SALU_CYCLE_1)
	s_sub_i32 s2, s2, s7
	s_waitcnt lgkmcnt(0)
	s_mul_i32 s5, s2, s5
	s_mul_hi_u32 s6, s2, s4
	s_ashr_i32 s7, s2, 31
	s_add_i32 s5, s6, s5
	s_mul_i32 s7, s7, s4
	s_mul_i32 s2, s2, s4
	s_add_i32 s5, s5, s7
	s_add_u32 s60, s42, s2
	s_addc_u32 s61, s43, s5
.LBB21_2:
	v_bfe_u32 v4, v0, 10, 10
	s_load_b128 s[4:7], s[0:1], 0x70
	v_and_b32_e32 v169, 0x3ff, v0
	s_delay_alu instid0(VALU_DEP_2) | instskip(SKIP_1) | instid1(VALU_DEP_2)
	v_lshl_add_u32 v168, s13, 3, v4
	v_lshlrev_b32_e32 v18, 8, v4
	v_mul_hi_u32 v1, s52, v168
	s_delay_alu instid0(VALU_DEP_1) | instskip(SKIP_3) | instid1(VALU_DEP_1)
	v_add_nc_u32_e32 v1, v168, v1
	s_waitcnt lgkmcnt(0)
	s_mul_i32 s2, s62, s6
	s_mul_i32 s6, s56, s5
	v_lshrrev_b32_e32 v1, s53, v1
	s_ashr_i32 s7, s2, 31
	s_add_u32 s2, s36, s2
	s_addc_u32 s7, s37, s7
	s_ashr_i32 s11, s6, 31
	v_mul_lo_u32 v1, v1, s54
	s_add_u32 s2, s2, s6
	s_addc_u32 s6, s7, s11
	s_ashr_i32 s7, s4, 31
	s_delay_alu instid0(SALU_CYCLE_1) | instskip(SKIP_2) | instid1(VALU_DEP_2)
	v_alignbit_b32 v3, s7, s4, 2
	s_lshr_b32 s4, s7, 2
	s_ashr_i32 s7, s5, 31
	v_sub_nc_u32_e32 v5, v168, v1
	s_delay_alu instid0(VALU_DEP_1) | instskip(NEXT) | instid1(VALU_DEP_1)
	v_mad_u64_u32 v[1:2], null, v3, v5, 0
	v_mad_u64_u32 v[6:7], null, s4, v5, v[2:3]
	v_alignbit_b32 v3, s7, s5, 2
	s_delay_alu instid0(VALU_DEP_2) | instskip(NEXT) | instid1(VALU_DEP_1)
	v_mov_b32_e32 v2, v6
	v_lshlrev_b64 v[0:1], 2, v[1:2]
	v_lshlrev_b32_e32 v2, 4, v169
	s_delay_alu instid0(VALU_DEP_2) | instskip(NEXT) | instid1(VALU_DEP_3)
	v_add_co_u32 v0, vcc_lo, s2, v0
	v_add_co_ci_u32_e32 v1, vcc_lo, s6, v1, vcc_lo
	s_mov_b32 s6, s5
	s_delay_alu instid0(VALU_DEP_2) | instskip(NEXT) | instid1(VALU_DEP_2)
	v_add_co_u32 v6, vcc_lo, v0, v2
	v_add_co_ci_u32_e32 v7, vcc_lo, 0, v1, vcc_lo
	s_and_b32 s2, s5, -4
	s_lshr_b64 s[4:5], s[6:7], 2
	s_lshr_b32 s6, s7, 2
	s_delay_alu instid0(VALU_DEP_1) | instskip(SKIP_4) | instid1(VALU_DEP_1)
	v_mad_u64_u32 v[14:15], null, v3, 12, v[6:7]
	s_lshl_b64 s[4:5], s[4:5], 3
	global_load_b128 v[0:3], v[6:7], off
	s_cmp_eq_u64 s[46:47], 0
	v_dual_mov_b32 v8, v15 :: v_dual_lshlrev_b32 v19, 1, v169
	v_mad_u64_u32 v[10:11], null, s6, 12, v[8:9]
	v_add_co_u32 v8, vcc_lo, v6, s2
	v_add_co_ci_u32_e32 v9, vcc_lo, s7, v7, vcc_lo
	v_add_co_u32 v11, vcc_lo, v6, s4
	s_delay_alu instid0(VALU_DEP_4)
	v_mov_b32_e32 v15, v10
	v_add_co_ci_u32_e32 v12, vcc_lo, s5, v7, vcc_lo
	s_clause 0x2
	global_load_b128 v[6:9], v[8:9], off
	global_load_b128 v[10:13], v[11:12], off
	;; [unrolled: 1-line block ×3, first 2 shown]
	s_load_b32 s2, s[0:1], 0x40
	v_add_lshl_u32 v20, v19, v18, 2
	s_waitcnt vmcnt(3) lgkmcnt(0)
	v_fma_mixlo_f16 v18, v0, s2, 0
	v_fma_mixlo_f16 v19, v2, s2, 0
	s_delay_alu instid0(VALU_DEP_3) | instskip(NEXT) | instid1(VALU_DEP_3)
	v_add_nc_u32_e32 v0, 0x6800, v20
	v_fma_mixhi_f16 v18, v1, s2, 0
	s_delay_alu instid0(VALU_DEP_3)
	v_fma_mixhi_f16 v19, v3, s2, 0
	s_waitcnt vmcnt(2)
	v_fma_mixlo_f16 v2, v8, s2, 0
	v_fma_mixlo_f16 v1, v6, s2, 0
	s_waitcnt vmcnt(1)
	v_fma_mixlo_f16 v20, v10, s2, 0
	v_fma_mixlo_f16 v21, v12, s2, 0
	s_waitcnt vmcnt(0)
	v_fma_mixlo_f16 v8, v14, s2, 0
	v_fma_mixhi_f16 v2, v9, s2, 0
	v_fma_mixlo_f16 v9, v16, s2, 0
	v_fma_mixhi_f16 v1, v7, s2, 0
	v_fma_mixhi_f16 v21, v13, s2, 0
	;; [unrolled: 1-line block ×5, first 2 shown]
	ds_store_2addr_b64 v0, v[18:19], v[1:2] offset1:32
	ds_store_2addr_b64 v0, v[20:21], v[8:9] offset0:64 offset1:96
	s_waitcnt lgkmcnt(0)
	s_barrier
	buffer_gl0_inv
	s_cbranch_scc1 .LBB21_4
; %bb.3:
	s_load_b32 s2, s[0:1], 0xd0
	s_mov_b32 s5, 0
	s_waitcnt lgkmcnt(0)
	s_mul_i32 s2, s2, s62
	s_delay_alu instid0(SALU_CYCLE_1) | instskip(NEXT) | instid1(SALU_CYCLE_1)
	s_add_i32 s4, s2, s13
	s_lshl_b64 s[4:5], s[4:5], 2
	s_delay_alu instid0(SALU_CYCLE_1)
	s_add_u32 s4, s46, s4
	s_addc_u32 s5, s47, s5
	s_load_b32 s58, s[4:5], 0x0
.LBB21_4:
	v_mbcnt_lo_u32_b32 v188, -1, 0
	s_lshl_b32 s43, s14, 7
	s_waitcnt lgkmcnt(0)
	s_cmp_lt_i32 s43, s58
	s_cbranch_scc1 .LBB21_6
; %bb.5:
	v_mbcnt_lo_u32_b32 v6, -1, 0
	v_mov_b32_e32 v189, 32
	s_mov_b32 s2, 0
	s_mov_b32 s4, 0xfeffffff
	s_delay_alu instid0(VALU_DEP_2)
	v_xor_b32_e32 v194, 16, v6
	v_xor_b32_e32 v193, 8, v6
	;; [unrolled: 1-line block ×5, first 2 shown]
	s_branch .LBB21_7
.LBB21_6:
	s_mov_b32 s2, -1
                                        ; implicit-def: $sgpr4
                                        ; implicit-def: $vgpr6
                                        ; implicit-def: $vgpr189
                                        ; implicit-def: $vgpr194
                                        ; implicit-def: $vgpr193
                                        ; implicit-def: $vgpr192
                                        ; implicit-def: $vgpr191
                                        ; implicit-def: $vgpr190
.LBB21_7:
	s_delay_alu instid0(SALU_CYCLE_1) | instskip(SKIP_2) | instid1(VALU_DEP_3)
	v_cndmask_b32_e64 v0, 0, 1, s2
	v_dual_mov_b32 v3, s4 :: v_dual_mov_b32 v34, s2
	v_dual_mov_b32 v2, s4 :: v_dual_lshlrev_b32 v187, 2, v169
	v_cmp_ne_u32_e32 vcc_lo, 1, v0
	v_dual_mov_b32 v217, s2 :: v_dual_mov_b32 v0, s4
	v_dual_mov_b32 v1, s4 :: v_dual_mov_b32 v220, s2
	;; [unrolled: 1-line block ×6, first 2 shown]
	v_mov_b32_e32 v29, s2
	s_cbranch_vccnz .LBB21_11
; %bb.8:
	s_clause 0x1
	s_load_b128 s[4:7], s[0:1], 0x98
	s_load_b64 s[12:13], s[0:1], 0x8c
	s_sub_i32 s2, 0, s8
	s_abs_i32 s11, s56
	s_mul_i32 s2, s2, s10
	s_ashr_i32 s15, s56, 31
	s_mul_hi_u32 s2, s10, s2
	s_ashr_i32 s9, s9, 31
	s_add_i32 s10, s10, s2
	s_ashr_i32 s2, s3, 1
	s_mul_hi_u32 s3, s11, s10
	s_ashr_i32 s10, s62, 31
	s_load_b64 s[16:17], s[0:1], 0xa8
	s_mul_i32 s18, s3, s8
	v_lshrrev_b32_e32 v0, 3, v169
	v_dual_mov_b32 v189, 32 :: v_dual_and_b32 v18, 28, v187
	v_mov_b32_e32 v29, 0
	v_and_b32_e32 v19, 60, v187
	s_delay_alu instid0(VALU_DEP_4)
	v_lshl_add_u32 v0, v4, 2, v0
	s_waitcnt lgkmcnt(0)
	s_ashr_i32 s52, s6, 2
	s_mul_i32 s5, s62, s5
	s_mul_hi_u32 s6, s62, s4
	s_ashr_i32 s53, s12, 2
	s_mul_i32 s12, s10, s4
	s_add_i32 s5, s6, s5
	s_mul_i32 s4, s62, s4
	s_add_i32 s5, s5, s12
	s_add_u32 s4, s38, s4
	s_addc_u32 s5, s39, s5
	s_xor_b32 s6, s15, s9
	s_sub_i32 s9, s11, s18
	s_add_i32 s11, s3, 1
	s_sub_i32 s12, s9, s8
	s_cmp_ge_u32 s9, s8
	v_lshlrev_b32_e32 v2, 2, v18
	s_cselect_b32 s3, s11, s3
	s_cselect_b32 s9, s12, s9
	s_add_i32 s11, s3, 1
	s_cmp_ge_u32 s9, s8
	s_mul_i32 s8, s62, s17
	s_cselect_b32 s3, s11, s3
	s_mul_hi_u32 s9, s62, s16
	s_xor_b32 s3, s3, s6
	s_mul_i32 s10, s10, s16
	s_sub_i32 s3, s3, s6
	v_mul_lo_u32 v1, s53, v0
	s_mul_i32 s6, s3, s13
	s_mul_i32 s11, s62, s16
	s_ashr_i32 s12, s6, 31
	s_add_u32 s57, s4, s6
	s_addc_u32 s59, s5, s12
	s_add_i32 s4, s9, s8
	s_mul_i32 s3, s3, s7
	s_add_i32 s4, s4, s10
	v_mad_u32_u24 v195, 0x90, v0, v2
	v_lshrrev_b32_e32 v0, 4, v169
	s_add_u32 s5, s40, s11
	s_addc_u32 s4, s41, s4
	s_ashr_i32 s6, s3, 31
	s_add_u32 s63, s5, s3
	s_addc_u32 s64, s4, s6
	s_lshl_b32 s3, s53, 5
	v_lshl_add_u32 v0, v4, 1, v0
	v_dual_mov_b32 v31, 0 :: v_dual_add_nc_u32 v6, s3, v1
	v_mov_b32_e32 v33, 0
	v_mov_b32_e32 v217, 0
	s_delay_alu instid0(VALU_DEP_4) | instskip(NEXT) | instid1(VALU_DEP_4)
	v_mul_lo_u32 v3, s52, v0
	v_add_nc_u32_e32 v8, s3, v6
	v_ashrrev_i32_e32 v2, 31, v1
	v_lshlrev_b32_e32 v4, 10, v4
	v_dual_mov_b32 v30, 0 :: v_dual_lshlrev_b32 v13, 2, v19
	s_delay_alu instid0(VALU_DEP_4)
	v_add_nc_u32_e32 v10, s3, v8
	s_lshl_b32 s3, s52, 4
	v_mad_u64_u32 v[170:171], null, v5, s2, v[169:170]
	v_add_nc_u32_e32 v12, s3, v3
	v_ashrrev_i32_e32 v7, 31, v6
	v_ashrrev_i32_e32 v9, 31, v8
	v_add_nc_u32_e32 v200, 0x6800, v4
	v_lshl_or_b32 v201, v0, 8, v13
	v_add_nc_u32_e32 v14, s3, v12
	v_add_nc_u32_e32 v202, 0x4800, v4
	v_ashrrev_i32_e32 v4, 31, v3
	v_ashrrev_i32_e32 v13, 31, v12
	v_lshlrev_b64 v[171:172], 2, v[1:2]
	v_add_nc_u32_e32 v16, s3, v14
	v_ashrrev_i32_e32 v15, 31, v14
	v_mov_b32_e32 v1, 0xfeffffff
	v_ashrrev_i32_e32 v11, 31, v10
	v_dual_mov_b32 v32, 0 :: v_dual_lshlrev_b32 v203, 3, v169
	v_ashrrev_i32_e32 v17, 31, v16
	v_lshlrev_b64 v[173:174], 2, v[6:7]
	v_lshlrev_b64 v[175:176], 2, v[8:9]
	;; [unrolled: 1-line block ×7, first 2 shown]
	v_dual_mov_b32 v28, 0 :: v_dual_add_nc_u32 v197, 0x2400, v195
	v_dual_mov_b32 v35, 0 :: v_dual_add_nc_u32 v196, 0x1200, v195
	v_dual_mov_b32 v219, 0 :: v_dual_add_nc_u32 v198, 0x3600, v195
	v_mul_u32_u24_e32 v199, 0x90, v169
	v_add_nc_u32_e32 v204, 0x1000, v201
	v_dual_mov_b32 v34, 0 :: v_dual_add_nc_u32 v205, 0x2000, v201
	v_add_nc_u32_e32 v206, 0x3000, v201
	v_dual_mov_b32 v0, 0xfeffffff :: v_dual_lshlrev_b32 v207, 2, v18
	v_mov_b32_e32 v2, 0xfeffffff
	v_xor_b32_e32 v194, 16, v188
	v_xor_b32_e32 v193, 8, v188
	;; [unrolled: 1-line block ×5, first 2 shown]
	v_add_nc_u32_e32 v208, v202, v203
	v_dual_mov_b32 v218, 0 :: v_dual_lshlrev_b32 v209, 2, v19
	v_add_nc_u32_e32 v210, 0x800, v203
	v_dual_mov_b32 v220, 0 :: v_dual_add_nc_u32 v211, 0x1000, v203
	v_add_nc_u32_e32 v212, 0x1800, v203
	v_add_nc_u32_e32 v213, 0x2000, v203
	;; [unrolled: 1-line block ×5, first 2 shown]
	v_mov_b32_e32 v3, 0xfeffffff
	s_add_u32 s46, s0, 0xd0
	s_addc_u32 s47, s1, 0
.LBB21_9:                               ; =>This Inner Loop Header: Depth=1
	s_mul_hi_i32 s7, s43, s53
	s_mul_i32 s6, s43, s53
	v_cmp_gt_i32_e64 s5, 32, v190
	v_dual_mov_b32 v42, v0 :: v_dual_mov_b32 v43, 0
	v_add_nc_u32_e32 v0, s43, v170
	v_cmp_gt_i32_e64 s4, 32, v191
	v_cmp_gt_i32_e32 vcc_lo, 32, v194
	v_cmp_gt_i32_e64 s2, 32, v193
	v_cmp_gt_i32_e64 s3, 32, v192
	s_lshl_b64 s[6:7], s[6:7], 2
	s_mul_hi_i32 s9, s43, s52
	s_mul_i32 s8, s43, s52
	s_add_u32 s10, s57, s6
	v_cndmask_b32_e64 v14, v188, v190, s5
	s_addc_u32 s5, s59, s7
	s_lshl_b64 s[6:7], s[8:9], 2
	v_dual_mov_b32 v40, v2 :: v_dual_mov_b32 v41, v1
	v_cndmask_b32_e64 v13, v188, v191, s4
	v_ashrrev_i32_e32 v1, 31, v0
	v_add_co_u32 v6, s4, s10, v171
	s_delay_alu instid0(VALU_DEP_3)
	v_dual_cndmask_b32 v8, v188, v194 :: v_dual_lshlrev_b32 v61, 2, v13
	v_cndmask_b32_e64 v10, v188, v193, s2
	v_cndmask_b32_e64 v12, v188, v192, s3
	v_add_co_u32 v7, vcc_lo, s10, v173
	v_add_co_u32 v9, s2, s10, v175
	v_add_co_u32 v11, s3, s10, v177
	s_add_u32 s6, s63, s6
	v_add_co_ci_u32_e64 v2, s4, s5, v172, s4
	v_dual_mov_b32 v38, v218 :: v_dual_mov_b32 v39, v3
	v_add_co_ci_u32_e32 v3, vcc_lo, s5, v174, vcc_lo
	v_add_co_ci_u32_e64 v4, vcc_lo, s5, v176, s2
	v_add_co_ci_u32_e64 v5, vcc_lo, s5, v178, s3
	s_addc_u32 s5, s64, s7
	v_add_co_u32 v21, s4, s6, v179
	v_add_co_u32 v16, vcc_lo, s6, v181
	v_add_co_u32 v17, s2, s6, v183
	v_add_co_u32 v20, s3, s6, v185
	v_lshlrev_b64 v[18:19], 1, v[0:1]
	v_add_co_ci_u32_e64 v1, s4, s5, v180, s4
	v_lshlrev_b32_e32 v60, 2, v14
	v_add_co_ci_u32_e32 v22, vcc_lo, s5, v182, vcc_lo
	v_add_co_ci_u32_e64 v23, vcc_lo, s5, v184, s2
	v_add_co_ci_u32_e64 v24, vcc_lo, s5, v186, s3
	v_add_co_u32 v14, s4, v6, v207
	v_lshlrev_b32_e32 v64, 2, v8
	v_add_co_u32 v8, vcc_lo, v7, v207
	v_lshlrev_b32_e32 v63, 2, v10
	v_add_co_u32 v10, s2, v9, v207
	v_add_co_ci_u32_e64 v15, s4, 0, v2, s4
	v_lshlrev_b32_e32 v62, 2, v12
	v_add_co_u32 v12, s3, v11, v207
	v_add_co_ci_u32_e32 v9, vcc_lo, 0, v3, vcc_lo
	v_add_co_ci_u32_e64 v11, vcc_lo, 0, v4, s2
	v_add_co_ci_u32_e64 v13, vcc_lo, 0, v5, s3
	s_clause 0x3
	global_load_b128 v[65:68], v[14:15], off
	global_load_b128 v[69:72], v[8:9], off
	;; [unrolled: 1-line block ×4, first 2 shown]
	s_or_b32 s8, s43, 64
	v_add_co_u32 v0, vcc_lo, v16, v209
	s_mul_hi_i32 s7, s8, s52
	s_mul_i32 s6, s8, s52
	v_add_co_u32 v2, s2, v17, v209
	s_lshl_b64 s[6:7], s[6:7], 2
	v_add_co_u32 v16, s3, v20, v209
	v_add_co_u32 v4, s4, v21, v209
	s_add_u32 s5, s63, s6
	v_add_co_ci_u32_e64 v5, s4, 0, v1, s4
	v_add_co_ci_u32_e32 v1, vcc_lo, 0, v22, vcc_lo
	v_add_co_ci_u32_e64 v3, vcc_lo, 0, v23, s2
	v_add_co_ci_u32_e64 v17, vcc_lo, 0, v24, s3
	s_addc_u32 s6, s64, s7
	v_add_co_u32 v6, vcc_lo, s60, v18
	v_add_co_u32 v18, s2, s5, v179
	v_add_co_u32 v20, s3, s5, v181
	;; [unrolled: 1-line block ×4, first 2 shown]
	v_add_co_ci_u32_e32 v7, vcc_lo, s61, v19, vcc_lo
	v_add_co_ci_u32_e64 v25, vcc_lo, s6, v182, s3
	v_add_co_ci_u32_e64 v81, vcc_lo, s6, v184, s4
	;; [unrolled: 1-line block ×4, first 2 shown]
	v_add_co_u32 v22, vcc_lo, v20, v209
	v_add_co_u32 v24, s2, v21, v209
	v_add_co_u32 v20, s3, v23, v209
	v_add_co_ci_u32_e32 v23, vcc_lo, 0, v25, vcc_lo
	v_add_co_ci_u32_e64 v25, vcc_lo, 0, v81, s2
	v_add_co_ci_u32_e64 v21, vcc_lo, 0, v82, s3
	v_dual_mov_b32 v44, 0 :: v_dual_mov_b32 v45, 0
	v_dual_mov_b32 v46, 0 :: v_dual_mov_b32 v47, 0
	;; [unrolled: 1-line block ×8, first 2 shown]
	v_add_co_u32 v26, s4, v18, v209
	s_delay_alu instid0(VALU_DEP_1)
	v_add_co_ci_u32_e64 v27, s4, 0, v19, s4
	v_dual_mov_b32 v36, v220 :: v_dual_mov_b32 v37, v219
	s_waitcnt vmcnt(3)
	ds_store_b128 v195, v[65:68]
	s_waitcnt vmcnt(2)
	ds_store_b128 v196, v[69:72]
	;; [unrolled: 2-line block ×4, first 2 shown]
	s_waitcnt lgkmcnt(0)
	s_barrier
	buffer_gl0_inv
	ds_load_b128 v[65:68], v199
	ds_load_b128 v[69:72], v200
	ds_load_b128 v[73:76], v200 offset:256
	ds_load_b128 v[77:80], v200 offset:512
	;; [unrolled: 1-line block ×6, first 2 shown]
	s_waitcnt lgkmcnt(6)
	;;#ASMSTART
	v_dot2_f32_f16 v43, v65, v69, v43
	;;#ASMEND
	;;#ASMSTART
	v_dot2_f32_f16 v43, v66, v70, v43
	;;#ASMEND
	;;#ASMSTART
	v_dot2_f32_f16 v43, v67, v71, v43
	;;#ASMEND
	;;#ASMSTART
	v_dot2_f32_f16 v43, v68, v72, v43
	;;#ASMEND
	s_waitcnt lgkmcnt(5)
	;;#ASMSTART
	v_dot2_f32_f16 v44, v65, v73, v44
	;;#ASMEND
	;;#ASMSTART
	v_dot2_f32_f16 v44, v66, v74, v44
	;;#ASMEND
	;;#ASMSTART
	v_dot2_f32_f16 v44, v67, v75, v44
	;;#ASMEND
	;;#ASMSTART
	v_dot2_f32_f16 v44, v68, v76, v44
	;;#ASMEND
	;; [unrolled: 13-line block ×5, first 2 shown]
	;;#ASMSTART
	v_dot2_f32_f16 v48, v85, v73, v48
	;;#ASMEND
	;;#ASMSTART
	v_dot2_f32_f16 v48, v86, v74, v48
	;;#ASMEND
	;; [unrolled: 3-line block ×12, first 2 shown]
	s_waitcnt lgkmcnt(1)
	;;#ASMSTART
	v_dot2_f32_f16 v51, v89, v69, v51
	;;#ASMEND
	;;#ASMSTART
	v_dot2_f32_f16 v51, v90, v70, v51
	;;#ASMEND
	;; [unrolled: 3-line block ×16, first 2 shown]
	s_waitcnt lgkmcnt(0)
	;;#ASMSTART
	v_dot2_f32_f16 v55, v93, v69, v55
	;;#ASMEND
	;;#ASMSTART
	v_dot2_f32_f16 v55, v94, v70, v55
	;;#ASMEND
	;; [unrolled: 3-line block ×16, first 2 shown]
	ds_load_b128 v[65:68], v199 offset:16
	ds_load_b128 v[69:72], v200 offset:16
	;; [unrolled: 1-line block ×8, first 2 shown]
	s_waitcnt lgkmcnt(6)
	;;#ASMSTART
	v_dot2_f32_f16 v43, v65, v69, v43
	;;#ASMEND
	;;#ASMSTART
	v_dot2_f32_f16 v43, v66, v70, v43
	;;#ASMEND
	;;#ASMSTART
	v_dot2_f32_f16 v43, v67, v71, v43
	;;#ASMEND
	;;#ASMSTART
	v_dot2_f32_f16 v43, v68, v72, v43
	;;#ASMEND
	s_waitcnt lgkmcnt(5)
	;;#ASMSTART
	v_dot2_f32_f16 v44, v65, v73, v44
	;;#ASMEND
	;;#ASMSTART
	v_dot2_f32_f16 v44, v66, v74, v44
	;;#ASMEND
	;;#ASMSTART
	v_dot2_f32_f16 v44, v67, v75, v44
	;;#ASMEND
	;;#ASMSTART
	v_dot2_f32_f16 v44, v68, v76, v44
	;;#ASMEND
	;; [unrolled: 13-line block ×5, first 2 shown]
	;;#ASMSTART
	v_dot2_f32_f16 v48, v85, v73, v48
	;;#ASMEND
	;;#ASMSTART
	v_dot2_f32_f16 v48, v86, v74, v48
	;;#ASMEND
	;; [unrolled: 3-line block ×12, first 2 shown]
	s_waitcnt lgkmcnt(1)
	;;#ASMSTART
	v_dot2_f32_f16 v51, v89, v69, v51
	;;#ASMEND
	;;#ASMSTART
	v_dot2_f32_f16 v51, v90, v70, v51
	;;#ASMEND
	;; [unrolled: 3-line block ×16, first 2 shown]
	s_waitcnt lgkmcnt(0)
	;;#ASMSTART
	v_dot2_f32_f16 v55, v93, v69, v55
	;;#ASMEND
	;;#ASMSTART
	v_dot2_f32_f16 v55, v94, v70, v55
	;;#ASMEND
	;; [unrolled: 3-line block ×16, first 2 shown]
	ds_load_b128 v[65:68], v199 offset:32
	ds_load_b128 v[69:72], v200 offset:32
	;; [unrolled: 1-line block ×8, first 2 shown]
	s_waitcnt lgkmcnt(6)
	;;#ASMSTART
	v_dot2_f32_f16 v43, v65, v69, v43
	;;#ASMEND
	;;#ASMSTART
	v_dot2_f32_f16 v43, v66, v70, v43
	;;#ASMEND
	;;#ASMSTART
	v_dot2_f32_f16 v43, v67, v71, v43
	;;#ASMEND
	;;#ASMSTART
	v_dot2_f32_f16 v43, v68, v72, v43
	;;#ASMEND
	s_waitcnt lgkmcnt(5)
	;;#ASMSTART
	v_dot2_f32_f16 v44, v65, v73, v44
	;;#ASMEND
	;;#ASMSTART
	v_dot2_f32_f16 v44, v66, v74, v44
	;;#ASMEND
	;;#ASMSTART
	v_dot2_f32_f16 v44, v67, v75, v44
	;;#ASMEND
	;;#ASMSTART
	v_dot2_f32_f16 v44, v68, v76, v44
	;;#ASMEND
	;; [unrolled: 13-line block ×5, first 2 shown]
	;;#ASMSTART
	v_dot2_f32_f16 v48, v85, v73, v48
	;;#ASMEND
	;;#ASMSTART
	v_dot2_f32_f16 v48, v86, v74, v48
	;;#ASMEND
	;; [unrolled: 3-line block ×12, first 2 shown]
	s_waitcnt lgkmcnt(1)
	;;#ASMSTART
	v_dot2_f32_f16 v51, v89, v69, v51
	;;#ASMEND
	;;#ASMSTART
	v_dot2_f32_f16 v51, v90, v70, v51
	;;#ASMEND
	;;#ASMSTART
	v_dot2_f32_f16 v51, v91, v71, v51
	;;#ASMEND
	;;#ASMSTART
	v_dot2_f32_f16 v51, v92, v72, v51
	;;#ASMEND
	;;#ASMSTART
	v_dot2_f32_f16 v52, v89, v73, v52
	;;#ASMEND
	;;#ASMSTART
	v_dot2_f32_f16 v52, v90, v74, v52
	;;#ASMEND
	;;#ASMSTART
	v_dot2_f32_f16 v52, v91, v75, v52
	;;#ASMEND
	;;#ASMSTART
	v_dot2_f32_f16 v52, v92, v76, v52
	;;#ASMEND
	;;#ASMSTART
	v_dot2_f32_f16 v53, v89, v77, v53
	;;#ASMEND
	;;#ASMSTART
	v_dot2_f32_f16 v53, v90, v78, v53
	;;#ASMEND
	;;#ASMSTART
	v_dot2_f32_f16 v53, v91, v79, v53
	;;#ASMEND
	;;#ASMSTART
	v_dot2_f32_f16 v53, v92, v80, v53
	;;#ASMEND
	;;#ASMSTART
	v_dot2_f32_f16 v54, v89, v81, v54
	;;#ASMEND
	;;#ASMSTART
	v_dot2_f32_f16 v54, v90, v82, v54
	;;#ASMEND
	;;#ASMSTART
	v_dot2_f32_f16 v54, v91, v83, v54
	;;#ASMEND
	;;#ASMSTART
	v_dot2_f32_f16 v54, v92, v84, v54
	;;#ASMEND
	s_waitcnt lgkmcnt(0)
	;;#ASMSTART
	v_dot2_f32_f16 v55, v93, v69, v55
	;;#ASMEND
	;;#ASMSTART
	v_dot2_f32_f16 v55, v94, v70, v55
	;;#ASMEND
	;; [unrolled: 3-line block ×16, first 2 shown]
	ds_load_b128 v[65:68], v199 offset:48
	ds_load_b128 v[69:72], v200 offset:48
	;; [unrolled: 1-line block ×8, first 2 shown]
	s_waitcnt lgkmcnt(6)
	;;#ASMSTART
	v_dot2_f32_f16 v43, v65, v69, v43
	;;#ASMEND
	;;#ASMSTART
	v_dot2_f32_f16 v43, v66, v70, v43
	;;#ASMEND
	;;#ASMSTART
	v_dot2_f32_f16 v43, v67, v71, v43
	;;#ASMEND
	;;#ASMSTART
	v_dot2_f32_f16 v43, v68, v72, v43
	;;#ASMEND
	s_waitcnt lgkmcnt(5)
	;;#ASMSTART
	v_dot2_f32_f16 v44, v65, v73, v44
	;;#ASMEND
	;;#ASMSTART
	v_dot2_f32_f16 v44, v66, v74, v44
	;;#ASMEND
	;;#ASMSTART
	v_dot2_f32_f16 v44, v67, v75, v44
	;;#ASMEND
	;;#ASMSTART
	v_dot2_f32_f16 v44, v68, v76, v44
	;;#ASMEND
	s_waitcnt lgkmcnt(4)
	;;#ASMSTART
	v_dot2_f32_f16 v45, v65, v77, v45
	;;#ASMEND
	;;#ASMSTART
	v_dot2_f32_f16 v45, v66, v78, v45
	;;#ASMEND
	;;#ASMSTART
	v_dot2_f32_f16 v45, v67, v79, v45
	;;#ASMEND
	;;#ASMSTART
	v_dot2_f32_f16 v45, v68, v80, v45
	;;#ASMEND
	s_waitcnt lgkmcnt(3)
	;;#ASMSTART
	v_dot2_f32_f16 v46, v65, v81, v46
	;;#ASMEND
	;;#ASMSTART
	v_dot2_f32_f16 v46, v66, v82, v46
	;;#ASMEND
	;;#ASMSTART
	v_dot2_f32_f16 v46, v67, v83, v46
	;;#ASMEND
	;;#ASMSTART
	v_dot2_f32_f16 v46, v68, v84, v46
	;;#ASMEND
	s_waitcnt lgkmcnt(2)
	;;#ASMSTART
	v_dot2_f32_f16 v47, v85, v69, v47
	;;#ASMEND
	;;#ASMSTART
	v_dot2_f32_f16 v47, v86, v70, v47
	;;#ASMEND
	;;#ASMSTART
	v_dot2_f32_f16 v47, v87, v71, v47
	;;#ASMEND
	;;#ASMSTART
	v_dot2_f32_f16 v47, v88, v72, v47
	;;#ASMEND
	;;#ASMSTART
	v_dot2_f32_f16 v48, v85, v73, v48
	;;#ASMEND
	;;#ASMSTART
	v_dot2_f32_f16 v48, v86, v74, v48
	;;#ASMEND
	;; [unrolled: 3-line block ×12, first 2 shown]
	s_waitcnt lgkmcnt(1)
	;;#ASMSTART
	v_dot2_f32_f16 v51, v89, v69, v51
	;;#ASMEND
	;;#ASMSTART
	v_dot2_f32_f16 v51, v90, v70, v51
	;;#ASMEND
	;; [unrolled: 3-line block ×16, first 2 shown]
	s_waitcnt lgkmcnt(0)
	;;#ASMSTART
	v_dot2_f32_f16 v55, v93, v69, v55
	;;#ASMEND
	;;#ASMSTART
	v_dot2_f32_f16 v55, v94, v70, v55
	;;#ASMEND
	;;#ASMSTART
	v_dot2_f32_f16 v55, v95, v71, v55
	;;#ASMEND
	;;#ASMSTART
	v_dot2_f32_f16 v55, v96, v72, v55
	;;#ASMEND
	;;#ASMSTART
	v_dot2_f32_f16 v56, v93, v73, v56
	;;#ASMEND
	;;#ASMSTART
	v_dot2_f32_f16 v56, v94, v74, v56
	;;#ASMEND
	;;#ASMSTART
	v_dot2_f32_f16 v56, v95, v75, v56
	;;#ASMEND
	;;#ASMSTART
	v_dot2_f32_f16 v56, v96, v76, v56
	;;#ASMEND
	;;#ASMSTART
	v_dot2_f32_f16 v57, v93, v77, v57
	;;#ASMEND
	;;#ASMSTART
	v_dot2_f32_f16 v57, v94, v78, v57
	;;#ASMEND
	;;#ASMSTART
	v_dot2_f32_f16 v57, v95, v79, v57
	;;#ASMEND
	;;#ASMSTART
	v_dot2_f32_f16 v57, v96, v80, v57
	;;#ASMEND
	;;#ASMSTART
	v_dot2_f32_f16 v58, v93, v81, v58
	;;#ASMEND
	;;#ASMSTART
	v_dot2_f32_f16 v58, v94, v82, v58
	;;#ASMEND
	;;#ASMSTART
	v_dot2_f32_f16 v58, v95, v83, v58
	;;#ASMEND
	;;#ASMSTART
	v_dot2_f32_f16 v58, v96, v84, v58
	;;#ASMEND
	ds_load_b128 v[65:68], v199 offset:64
	ds_load_b128 v[69:72], v200 offset:64
	;; [unrolled: 1-line block ×8, first 2 shown]
	s_waitcnt lgkmcnt(6)
	;;#ASMSTART
	v_dot2_f32_f16 v43, v65, v69, v43
	;;#ASMEND
	;;#ASMSTART
	v_dot2_f32_f16 v43, v66, v70, v43
	;;#ASMEND
	;;#ASMSTART
	v_dot2_f32_f16 v43, v67, v71, v43
	;;#ASMEND
	;;#ASMSTART
	v_dot2_f32_f16 v43, v68, v72, v43
	;;#ASMEND
	s_waitcnt lgkmcnt(5)
	;;#ASMSTART
	v_dot2_f32_f16 v44, v65, v73, v44
	;;#ASMEND
	;;#ASMSTART
	v_dot2_f32_f16 v44, v66, v74, v44
	;;#ASMEND
	;;#ASMSTART
	v_dot2_f32_f16 v44, v67, v75, v44
	;;#ASMEND
	;;#ASMSTART
	v_dot2_f32_f16 v44, v68, v76, v44
	;;#ASMEND
	;; [unrolled: 13-line block ×5, first 2 shown]
	;;#ASMSTART
	v_dot2_f32_f16 v48, v85, v73, v48
	;;#ASMEND
	;;#ASMSTART
	v_dot2_f32_f16 v48, v86, v74, v48
	;;#ASMEND
	;; [unrolled: 3-line block ×12, first 2 shown]
	s_waitcnt lgkmcnt(1)
	;;#ASMSTART
	v_dot2_f32_f16 v51, v89, v69, v51
	;;#ASMEND
	;;#ASMSTART
	v_dot2_f32_f16 v51, v90, v70, v51
	;;#ASMEND
	;; [unrolled: 3-line block ×16, first 2 shown]
	s_waitcnt lgkmcnt(0)
	;;#ASMSTART
	v_dot2_f32_f16 v55, v93, v69, v55
	;;#ASMEND
	;;#ASMSTART
	v_dot2_f32_f16 v55, v94, v70, v55
	;;#ASMEND
	;; [unrolled: 3-line block ×16, first 2 shown]
	ds_load_b128 v[65:68], v199 offset:80
	ds_load_b128 v[69:72], v200 offset:80
	;; [unrolled: 1-line block ×8, first 2 shown]
	s_waitcnt lgkmcnt(6)
	;;#ASMSTART
	v_dot2_f32_f16 v43, v65, v69, v43
	;;#ASMEND
	;;#ASMSTART
	v_dot2_f32_f16 v43, v66, v70, v43
	;;#ASMEND
	;;#ASMSTART
	v_dot2_f32_f16 v43, v67, v71, v43
	;;#ASMEND
	;;#ASMSTART
	v_dot2_f32_f16 v43, v68, v72, v43
	;;#ASMEND
	s_waitcnt lgkmcnt(5)
	;;#ASMSTART
	v_dot2_f32_f16 v44, v65, v73, v44
	;;#ASMEND
	;;#ASMSTART
	v_dot2_f32_f16 v44, v66, v74, v44
	;;#ASMEND
	;;#ASMSTART
	v_dot2_f32_f16 v44, v67, v75, v44
	;;#ASMEND
	;;#ASMSTART
	v_dot2_f32_f16 v44, v68, v76, v44
	;;#ASMEND
	;; [unrolled: 13-line block ×5, first 2 shown]
	;;#ASMSTART
	v_dot2_f32_f16 v48, v85, v73, v48
	;;#ASMEND
	;;#ASMSTART
	v_dot2_f32_f16 v48, v86, v74, v48
	;;#ASMEND
	;; [unrolled: 3-line block ×12, first 2 shown]
	s_waitcnt lgkmcnt(1)
	;;#ASMSTART
	v_dot2_f32_f16 v51, v89, v69, v51
	;;#ASMEND
	;;#ASMSTART
	v_dot2_f32_f16 v51, v90, v70, v51
	;;#ASMEND
	;; [unrolled: 3-line block ×16, first 2 shown]
	s_waitcnt lgkmcnt(0)
	;;#ASMSTART
	v_dot2_f32_f16 v55, v93, v69, v55
	;;#ASMEND
	;;#ASMSTART
	v_dot2_f32_f16 v55, v94, v70, v55
	;;#ASMEND
	;; [unrolled: 3-line block ×16, first 2 shown]
	ds_load_b128 v[65:68], v199 offset:96
	ds_load_b128 v[69:72], v200 offset:96
	;; [unrolled: 1-line block ×8, first 2 shown]
	s_waitcnt lgkmcnt(6)
	;;#ASMSTART
	v_dot2_f32_f16 v43, v65, v69, v43
	;;#ASMEND
	;;#ASMSTART
	v_dot2_f32_f16 v43, v66, v70, v43
	;;#ASMEND
	;;#ASMSTART
	v_dot2_f32_f16 v43, v67, v71, v43
	;;#ASMEND
	;;#ASMSTART
	v_dot2_f32_f16 v43, v68, v72, v43
	;;#ASMEND
	s_waitcnt lgkmcnt(5)
	;;#ASMSTART
	v_dot2_f32_f16 v44, v65, v73, v44
	;;#ASMEND
	;;#ASMSTART
	v_dot2_f32_f16 v44, v66, v74, v44
	;;#ASMEND
	;;#ASMSTART
	v_dot2_f32_f16 v44, v67, v75, v44
	;;#ASMEND
	;;#ASMSTART
	v_dot2_f32_f16 v44, v68, v76, v44
	;;#ASMEND
	;; [unrolled: 13-line block ×5, first 2 shown]
	;;#ASMSTART
	v_dot2_f32_f16 v48, v85, v73, v48
	;;#ASMEND
	;;#ASMSTART
	v_dot2_f32_f16 v48, v86, v74, v48
	;;#ASMEND
	;; [unrolled: 3-line block ×12, first 2 shown]
	s_waitcnt lgkmcnt(1)
	;;#ASMSTART
	v_dot2_f32_f16 v51, v89, v69, v51
	;;#ASMEND
	;;#ASMSTART
	v_dot2_f32_f16 v51, v90, v70, v51
	;;#ASMEND
	;; [unrolled: 3-line block ×16, first 2 shown]
	s_waitcnt lgkmcnt(0)
	;;#ASMSTART
	v_dot2_f32_f16 v55, v93, v69, v55
	;;#ASMEND
	;;#ASMSTART
	v_dot2_f32_f16 v55, v94, v70, v55
	;;#ASMEND
	;; [unrolled: 3-line block ×16, first 2 shown]
	ds_load_b128 v[65:68], v199 offset:112
	ds_load_b128 v[69:72], v200 offset:112
	;; [unrolled: 1-line block ×8, first 2 shown]
	s_waitcnt lgkmcnt(6)
	;;#ASMSTART
	v_dot2_f32_f16 v43, v65, v69, v43
	;;#ASMEND
	;;#ASMSTART
	v_dot2_f32_f16 v43, v66, v70, v43
	;;#ASMEND
	;;#ASMSTART
	v_dot2_f32_f16 v43, v67, v71, v43
	;;#ASMEND
	;;#ASMSTART
	v_dot2_f32_f16 v43, v68, v72, v43
	;;#ASMEND
	s_waitcnt lgkmcnt(5)
	;;#ASMSTART
	v_dot2_f32_f16 v44, v65, v73, v44
	;;#ASMEND
	;;#ASMSTART
	v_dot2_f32_f16 v44, v66, v74, v44
	;;#ASMEND
	;;#ASMSTART
	v_dot2_f32_f16 v44, v67, v75, v44
	;;#ASMEND
	;;#ASMSTART
	v_dot2_f32_f16 v44, v68, v76, v44
	;;#ASMEND
	;; [unrolled: 13-line block ×5, first 2 shown]
	;;#ASMSTART
	v_dot2_f32_f16 v48, v85, v73, v48
	;;#ASMEND
	;;#ASMSTART
	v_dot2_f32_f16 v48, v86, v74, v48
	;;#ASMEND
	;; [unrolled: 3-line block ×12, first 2 shown]
	s_waitcnt lgkmcnt(1)
	;;#ASMSTART
	v_dot2_f32_f16 v51, v89, v69, v51
	;;#ASMEND
	;;#ASMSTART
	v_dot2_f32_f16 v51, v90, v70, v51
	;;#ASMEND
	;; [unrolled: 3-line block ×16, first 2 shown]
	s_waitcnt lgkmcnt(0)
	;;#ASMSTART
	v_dot2_f32_f16 v55, v93, v69, v55
	;;#ASMEND
	;;#ASMSTART
	v_dot2_f32_f16 v55, v94, v70, v55
	;;#ASMEND
	;; [unrolled: 3-line block ×16, first 2 shown]
	s_barrier
	buffer_gl0_inv
	s_clause 0x3
	global_load_b128 v[65:68], v[14:15], off offset:128
	global_load_b128 v[69:72], v[8:9], off offset:128
	;; [unrolled: 1-line block ×4, first 2 shown]
	s_waitcnt vmcnt(3)
	ds_store_b128 v195, v[65:68]
	s_waitcnt vmcnt(2)
	ds_store_b128 v196, v[69:72]
	s_waitcnt vmcnt(1)
	ds_store_b128 v197, v[8:11]
	s_waitcnt vmcnt(0)
	ds_store_b128 v198, v[12:15]
	s_waitcnt lgkmcnt(0)
	s_barrier
	buffer_gl0_inv
	ds_load_b128 v[8:11], v199
	ds_load_b128 v[12:15], v200 offset:128
	ds_load_b128 v[65:68], v200 offset:384
	;; [unrolled: 1-line block ×7, first 2 shown]
	s_waitcnt lgkmcnt(6)
	;;#ASMSTART
	v_dot2_f32_f16 v43, v8, v12, v43
	;;#ASMEND
	;;#ASMSTART
	v_dot2_f32_f16 v43, v9, v13, v43
	;;#ASMEND
	;;#ASMSTART
	v_dot2_f32_f16 v43, v10, v14, v43
	;;#ASMEND
	;;#ASMSTART
	v_dot2_f32_f16 v43, v11, v15, v43
	;;#ASMEND
	s_waitcnt lgkmcnt(5)
	;;#ASMSTART
	v_dot2_f32_f16 v44, v8, v65, v44
	;;#ASMEND
	;;#ASMSTART
	v_dot2_f32_f16 v44, v9, v66, v44
	;;#ASMEND
	;;#ASMSTART
	v_dot2_f32_f16 v44, v10, v67, v44
	;;#ASMEND
	;;#ASMSTART
	v_dot2_f32_f16 v44, v11, v68, v44
	;;#ASMEND
	;; [unrolled: 13-line block ×5, first 2 shown]
	;;#ASMSTART
	v_dot2_f32_f16 v48, v77, v65, v48
	;;#ASMEND
	;;#ASMSTART
	v_dot2_f32_f16 v48, v78, v66, v48
	;;#ASMEND
	;;#ASMSTART
	v_dot2_f32_f16 v48, v79, v67, v48
	;;#ASMEND
	;;#ASMSTART
	v_dot2_f32_f16 v48, v80, v68, v48
	;;#ASMEND
	;;#ASMSTART
	v_dot2_f32_f16 v49, v77, v69, v49
	;;#ASMEND
	;;#ASMSTART
	v_dot2_f32_f16 v49, v78, v70, v49
	;;#ASMEND
	;;#ASMSTART
	v_dot2_f32_f16 v49, v79, v71, v49
	;;#ASMEND
	;;#ASMSTART
	v_dot2_f32_f16 v49, v80, v72, v49
	;;#ASMEND
	;;#ASMSTART
	v_dot2_f32_f16 v50, v77, v73, v50
	;;#ASMEND
	;;#ASMSTART
	v_dot2_f32_f16 v50, v78, v74, v50
	;;#ASMEND
	;;#ASMSTART
	v_dot2_f32_f16 v50, v79, v75, v50
	;;#ASMEND
	;;#ASMSTART
	v_dot2_f32_f16 v50, v80, v76, v50
	;;#ASMEND
	s_waitcnt lgkmcnt(1)
	;;#ASMSTART
	v_dot2_f32_f16 v51, v81, v12, v51
	;;#ASMEND
	;;#ASMSTART
	v_dot2_f32_f16 v51, v82, v13, v51
	;;#ASMEND
	;; [unrolled: 3-line block ×16, first 2 shown]
	s_waitcnt lgkmcnt(0)
	;;#ASMSTART
	v_dot2_f32_f16 v55, v85, v12, v55
	;;#ASMEND
	;;#ASMSTART
	v_dot2_f32_f16 v55, v86, v13, v55
	;;#ASMEND
	;; [unrolled: 3-line block ×16, first 2 shown]
	ds_load_b128 v[8:11], v199 offset:16
	ds_load_b128 v[12:15], v200 offset:144
	;; [unrolled: 1-line block ×8, first 2 shown]
	s_waitcnt lgkmcnt(6)
	;;#ASMSTART
	v_dot2_f32_f16 v43, v8, v12, v43
	;;#ASMEND
	;;#ASMSTART
	v_dot2_f32_f16 v43, v9, v13, v43
	;;#ASMEND
	;;#ASMSTART
	v_dot2_f32_f16 v43, v10, v14, v43
	;;#ASMEND
	;;#ASMSTART
	v_dot2_f32_f16 v43, v11, v15, v43
	;;#ASMEND
	s_waitcnt lgkmcnt(5)
	;;#ASMSTART
	v_dot2_f32_f16 v44, v8, v65, v44
	;;#ASMEND
	;;#ASMSTART
	v_dot2_f32_f16 v44, v9, v66, v44
	;;#ASMEND
	;;#ASMSTART
	v_dot2_f32_f16 v44, v10, v67, v44
	;;#ASMEND
	;;#ASMSTART
	v_dot2_f32_f16 v44, v11, v68, v44
	;;#ASMEND
	;; [unrolled: 13-line block ×5, first 2 shown]
	;;#ASMSTART
	v_dot2_f32_f16 v48, v77, v65, v48
	;;#ASMEND
	;;#ASMSTART
	v_dot2_f32_f16 v48, v78, v66, v48
	;;#ASMEND
	;; [unrolled: 3-line block ×12, first 2 shown]
	s_waitcnt lgkmcnt(1)
	;;#ASMSTART
	v_dot2_f32_f16 v51, v81, v12, v51
	;;#ASMEND
	;;#ASMSTART
	v_dot2_f32_f16 v51, v82, v13, v51
	;;#ASMEND
	;; [unrolled: 3-line block ×16, first 2 shown]
	s_waitcnt lgkmcnt(0)
	;;#ASMSTART
	v_dot2_f32_f16 v55, v85, v12, v55
	;;#ASMEND
	;;#ASMSTART
	v_dot2_f32_f16 v55, v86, v13, v55
	;;#ASMEND
	;; [unrolled: 3-line block ×16, first 2 shown]
	ds_load_b128 v[8:11], v199 offset:32
	ds_load_b128 v[12:15], v200 offset:160
	;; [unrolled: 1-line block ×8, first 2 shown]
	s_waitcnt lgkmcnt(6)
	;;#ASMSTART
	v_dot2_f32_f16 v43, v8, v12, v43
	;;#ASMEND
	;;#ASMSTART
	v_dot2_f32_f16 v43, v9, v13, v43
	;;#ASMEND
	;;#ASMSTART
	v_dot2_f32_f16 v43, v10, v14, v43
	;;#ASMEND
	;;#ASMSTART
	v_dot2_f32_f16 v43, v11, v15, v43
	;;#ASMEND
	s_waitcnt lgkmcnt(5)
	;;#ASMSTART
	v_dot2_f32_f16 v44, v8, v65, v44
	;;#ASMEND
	;;#ASMSTART
	v_dot2_f32_f16 v44, v9, v66, v44
	;;#ASMEND
	;;#ASMSTART
	v_dot2_f32_f16 v44, v10, v67, v44
	;;#ASMEND
	;;#ASMSTART
	v_dot2_f32_f16 v44, v11, v68, v44
	;;#ASMEND
	;; [unrolled: 13-line block ×5, first 2 shown]
	;;#ASMSTART
	v_dot2_f32_f16 v48, v77, v65, v48
	;;#ASMEND
	;;#ASMSTART
	v_dot2_f32_f16 v48, v78, v66, v48
	;;#ASMEND
	;; [unrolled: 3-line block ×12, first 2 shown]
	s_waitcnt lgkmcnt(1)
	;;#ASMSTART
	v_dot2_f32_f16 v51, v81, v12, v51
	;;#ASMEND
	;;#ASMSTART
	v_dot2_f32_f16 v51, v82, v13, v51
	;;#ASMEND
	;; [unrolled: 3-line block ×16, first 2 shown]
	s_waitcnt lgkmcnt(0)
	;;#ASMSTART
	v_dot2_f32_f16 v55, v85, v12, v55
	;;#ASMEND
	;;#ASMSTART
	v_dot2_f32_f16 v55, v86, v13, v55
	;;#ASMEND
	;; [unrolled: 3-line block ×16, first 2 shown]
	ds_load_b128 v[8:11], v199 offset:48
	ds_load_b128 v[12:15], v200 offset:176
	;; [unrolled: 1-line block ×8, first 2 shown]
	s_waitcnt lgkmcnt(6)
	;;#ASMSTART
	v_dot2_f32_f16 v43, v8, v12, v43
	;;#ASMEND
	;;#ASMSTART
	v_dot2_f32_f16 v43, v9, v13, v43
	;;#ASMEND
	;;#ASMSTART
	v_dot2_f32_f16 v43, v10, v14, v43
	;;#ASMEND
	;;#ASMSTART
	v_dot2_f32_f16 v43, v11, v15, v43
	;;#ASMEND
	s_waitcnt lgkmcnt(5)
	;;#ASMSTART
	v_dot2_f32_f16 v44, v8, v65, v44
	;;#ASMEND
	;;#ASMSTART
	v_dot2_f32_f16 v44, v9, v66, v44
	;;#ASMEND
	;;#ASMSTART
	v_dot2_f32_f16 v44, v10, v67, v44
	;;#ASMEND
	;;#ASMSTART
	v_dot2_f32_f16 v44, v11, v68, v44
	;;#ASMEND
	;; [unrolled: 13-line block ×5, first 2 shown]
	;;#ASMSTART
	v_dot2_f32_f16 v48, v77, v65, v48
	;;#ASMEND
	;;#ASMSTART
	v_dot2_f32_f16 v48, v78, v66, v48
	;;#ASMEND
	;; [unrolled: 3-line block ×12, first 2 shown]
	s_waitcnt lgkmcnt(1)
	;;#ASMSTART
	v_dot2_f32_f16 v51, v81, v12, v51
	;;#ASMEND
	;;#ASMSTART
	v_dot2_f32_f16 v51, v82, v13, v51
	;;#ASMEND
	;; [unrolled: 3-line block ×16, first 2 shown]
	s_waitcnt lgkmcnt(0)
	;;#ASMSTART
	v_dot2_f32_f16 v55, v85, v12, v55
	;;#ASMEND
	;;#ASMSTART
	v_dot2_f32_f16 v55, v86, v13, v55
	;;#ASMEND
	;; [unrolled: 3-line block ×16, first 2 shown]
	ds_load_b128 v[8:11], v199 offset:64
	ds_load_b128 v[12:15], v200 offset:192
	;; [unrolled: 1-line block ×8, first 2 shown]
	s_waitcnt lgkmcnt(6)
	;;#ASMSTART
	v_dot2_f32_f16 v43, v8, v12, v43
	;;#ASMEND
	;;#ASMSTART
	v_dot2_f32_f16 v43, v9, v13, v43
	;;#ASMEND
	;;#ASMSTART
	v_dot2_f32_f16 v43, v10, v14, v43
	;;#ASMEND
	;;#ASMSTART
	v_dot2_f32_f16 v43, v11, v15, v43
	;;#ASMEND
	s_waitcnt lgkmcnt(5)
	;;#ASMSTART
	v_dot2_f32_f16 v44, v8, v65, v44
	;;#ASMEND
	;;#ASMSTART
	v_dot2_f32_f16 v44, v9, v66, v44
	;;#ASMEND
	;;#ASMSTART
	v_dot2_f32_f16 v44, v10, v67, v44
	;;#ASMEND
	;;#ASMSTART
	v_dot2_f32_f16 v44, v11, v68, v44
	;;#ASMEND
	;; [unrolled: 13-line block ×5, first 2 shown]
	;;#ASMSTART
	v_dot2_f32_f16 v48, v77, v65, v48
	;;#ASMEND
	;;#ASMSTART
	v_dot2_f32_f16 v48, v78, v66, v48
	;;#ASMEND
	;; [unrolled: 3-line block ×12, first 2 shown]
	s_waitcnt lgkmcnt(1)
	;;#ASMSTART
	v_dot2_f32_f16 v51, v81, v12, v51
	;;#ASMEND
	;;#ASMSTART
	v_dot2_f32_f16 v51, v82, v13, v51
	;;#ASMEND
	;; [unrolled: 3-line block ×16, first 2 shown]
	s_waitcnt lgkmcnt(0)
	;;#ASMSTART
	v_dot2_f32_f16 v55, v85, v12, v55
	;;#ASMEND
	;;#ASMSTART
	v_dot2_f32_f16 v55, v86, v13, v55
	;;#ASMEND
	;; [unrolled: 3-line block ×16, first 2 shown]
	ds_load_b128 v[8:11], v199 offset:80
	ds_load_b128 v[12:15], v200 offset:208
	ds_load_b128 v[65:68], v200 offset:464
	ds_load_b128 v[69:72], v200 offset:720
	ds_load_b128 v[73:76], v200 offset:976
	ds_load_b128 v[77:80], v199 offset:4688
	ds_load_b128 v[81:84], v199 offset:9296
	ds_load_b128 v[85:88], v199 offset:13904
	s_waitcnt lgkmcnt(6)
	;;#ASMSTART
	v_dot2_f32_f16 v43, v8, v12, v43
	;;#ASMEND
	;;#ASMSTART
	v_dot2_f32_f16 v43, v9, v13, v43
	;;#ASMEND
	;;#ASMSTART
	v_dot2_f32_f16 v43, v10, v14, v43
	;;#ASMEND
	;;#ASMSTART
	v_dot2_f32_f16 v43, v11, v15, v43
	;;#ASMEND
	s_waitcnt lgkmcnt(5)
	;;#ASMSTART
	v_dot2_f32_f16 v44, v8, v65, v44
	;;#ASMEND
	;;#ASMSTART
	v_dot2_f32_f16 v44, v9, v66, v44
	;;#ASMEND
	;;#ASMSTART
	v_dot2_f32_f16 v44, v10, v67, v44
	;;#ASMEND
	;;#ASMSTART
	v_dot2_f32_f16 v44, v11, v68, v44
	;;#ASMEND
	;; [unrolled: 13-line block ×5, first 2 shown]
	;;#ASMSTART
	v_dot2_f32_f16 v48, v77, v65, v48
	;;#ASMEND
	;;#ASMSTART
	v_dot2_f32_f16 v48, v78, v66, v48
	;;#ASMEND
	;; [unrolled: 3-line block ×12, first 2 shown]
	s_waitcnt lgkmcnt(1)
	;;#ASMSTART
	v_dot2_f32_f16 v51, v81, v12, v51
	;;#ASMEND
	;;#ASMSTART
	v_dot2_f32_f16 v51, v82, v13, v51
	;;#ASMEND
	;; [unrolled: 3-line block ×16, first 2 shown]
	s_waitcnt lgkmcnt(0)
	;;#ASMSTART
	v_dot2_f32_f16 v55, v85, v12, v55
	;;#ASMEND
	;;#ASMSTART
	v_dot2_f32_f16 v55, v86, v13, v55
	;;#ASMEND
	;; [unrolled: 3-line block ×16, first 2 shown]
	ds_load_b128 v[8:11], v199 offset:96
	ds_load_b128 v[12:15], v200 offset:224
	;; [unrolled: 1-line block ×8, first 2 shown]
	s_waitcnt lgkmcnt(6)
	;;#ASMSTART
	v_dot2_f32_f16 v43, v8, v12, v43
	;;#ASMEND
	;;#ASMSTART
	v_dot2_f32_f16 v43, v9, v13, v43
	;;#ASMEND
	;;#ASMSTART
	v_dot2_f32_f16 v43, v10, v14, v43
	;;#ASMEND
	;;#ASMSTART
	v_dot2_f32_f16 v43, v11, v15, v43
	;;#ASMEND
	s_waitcnt lgkmcnt(5)
	;;#ASMSTART
	v_dot2_f32_f16 v44, v8, v65, v44
	;;#ASMEND
	;;#ASMSTART
	v_dot2_f32_f16 v44, v9, v66, v44
	;;#ASMEND
	;;#ASMSTART
	v_dot2_f32_f16 v44, v10, v67, v44
	;;#ASMEND
	;;#ASMSTART
	v_dot2_f32_f16 v44, v11, v68, v44
	;;#ASMEND
	;; [unrolled: 13-line block ×5, first 2 shown]
	;;#ASMSTART
	v_dot2_f32_f16 v48, v77, v65, v48
	;;#ASMEND
	;;#ASMSTART
	v_dot2_f32_f16 v48, v78, v66, v48
	;;#ASMEND
	;; [unrolled: 3-line block ×12, first 2 shown]
	s_waitcnt lgkmcnt(1)
	;;#ASMSTART
	v_dot2_f32_f16 v51, v81, v12, v51
	;;#ASMEND
	;;#ASMSTART
	v_dot2_f32_f16 v51, v82, v13, v51
	;;#ASMEND
	;; [unrolled: 3-line block ×16, first 2 shown]
	s_waitcnt lgkmcnt(0)
	;;#ASMSTART
	v_dot2_f32_f16 v55, v85, v12, v55
	;;#ASMEND
	;;#ASMSTART
	v_dot2_f32_f16 v55, v86, v13, v55
	;;#ASMEND
	;; [unrolled: 3-line block ×16, first 2 shown]
	ds_load_b128 v[8:11], v199 offset:112
	ds_load_b128 v[12:15], v200 offset:240
	;; [unrolled: 1-line block ×8, first 2 shown]
	s_waitcnt lgkmcnt(6)
	;;#ASMSTART
	v_dot2_f32_f16 v43, v8, v12, v43
	;;#ASMEND
	;;#ASMSTART
	v_dot2_f32_f16 v43, v9, v13, v43
	;;#ASMEND
	;;#ASMSTART
	v_dot2_f32_f16 v43, v10, v14, v43
	;;#ASMEND
	;;#ASMSTART
	v_dot2_f32_f16 v43, v11, v15, v43
	;;#ASMEND
	s_waitcnt lgkmcnt(5)
	;;#ASMSTART
	v_dot2_f32_f16 v44, v8, v65, v44
	;;#ASMEND
	;;#ASMSTART
	v_dot2_f32_f16 v44, v9, v66, v44
	;;#ASMEND
	;;#ASMSTART
	v_dot2_f32_f16 v44, v10, v67, v44
	;;#ASMEND
	;;#ASMSTART
	v_dot2_f32_f16 v44, v11, v68, v44
	;;#ASMEND
	;; [unrolled: 13-line block ×5, first 2 shown]
	;;#ASMSTART
	v_dot2_f32_f16 v48, v77, v65, v48
	;;#ASMEND
	;;#ASMSTART
	v_dot2_f32_f16 v48, v78, v66, v48
	;;#ASMEND
	;; [unrolled: 3-line block ×12, first 2 shown]
	s_waitcnt lgkmcnt(1)
	;;#ASMSTART
	v_dot2_f32_f16 v51, v81, v12, v51
	;;#ASMEND
	;;#ASMSTART
	v_dot2_f32_f16 v51, v82, v13, v51
	;;#ASMEND
	;; [unrolled: 3-line block ×16, first 2 shown]
	s_waitcnt lgkmcnt(0)
	;;#ASMSTART
	v_dot2_f32_f16 v55, v85, v12, v55
	;;#ASMEND
	;;#ASMSTART
	v_dot2_f32_f16 v55, v86, v13, v55
	;;#ASMEND
	;; [unrolled: 3-line block ×16, first 2 shown]
	s_clause 0x3
	flat_load_u16 v65, v[6:7] offset:64
	flat_load_u16 v66, v[6:7] offset:128
	flat_load_u16 v67, v[6:7]
	flat_load_u16 v68, v[6:7] offset:192
	s_waitcnt vmcnt(0) lgkmcnt(0)
	s_barrier
	buffer_gl0_inv
	s_clause 0x3
	global_load_b128 v[4:7], v[4:5], off
	global_load_b128 v[8:11], v[0:1], off
	;; [unrolled: 1-line block ×4, first 2 shown]
	v_cvt_f32_f16_e32 v0, v65
	v_cvt_f32_f16_e32 v1, v66
	;; [unrolled: 1-line block ×4, first 2 shown]
	s_delay_alu instid0(VALU_DEP_4) | instskip(NEXT) | instid1(VALU_DEP_4)
	v_add_f32_e32 v47, v47, v0
	v_add_f32_e32 v51, v51, v1
	s_delay_alu instid0(VALU_DEP_4)
	v_dual_add_f32 v43, v43, v2 :: v_dual_add_f32 v48, v48, v0
	v_dual_add_f32 v52, v52, v1 :: v_dual_add_f32 v49, v49, v0
	;; [unrolled: 1-line block ×6, first 2 shown]
	s_delay_alu instid0(VALU_DEP_3) | instskip(SKIP_1) | instid1(VALU_DEP_4)
	v_dual_add_f32 v0, 0x40051340, v47 :: v_dual_add_f32 v71, 0x40051340, v45
	v_dual_add_f32 v2, 0x40051340, v49 :: v_dual_add_f32 v67, 0x40051340, v51
	;; [unrolled: 1-line block ×3, first 2 shown]
	s_delay_alu instid0(VALU_DEP_3) | instskip(SKIP_3) | instid1(VALU_DEP_4)
	v_max3_f32 v0, v42, v65, v0
	v_dual_add_f32 v53, v53, v1 :: v_dual_add_f32 v56, v56, v3
	v_dual_add_f32 v1, 0x40051340, v48 :: v_dual_add_f32 v58, v58, v3
	v_add_f32_e32 v3, 0x40051340, v50
	v_max3_f32 v0, v0, v67, v69
	s_delay_alu instid0(VALU_DEP_4)
	v_dual_add_f32 v68, 0x40051340, v52 :: v_dual_add_f32 v73, 0x40051340, v53
	v_dual_add_f32 v70, 0x40051340, v56 :: v_dual_add_f32 v75, 0x40051340, v57
	ds_bpermute_b32 v65, v64, v0
	v_add_f32_e32 v72, 0x40051340, v46
	v_max3_f32 v1, v41, v66, v1
	v_add_f32_e32 v74, 0x40051340, v54
	v_add_f32_e32 v76, 0x40051340, v58
	v_max3_f32 v2, v40, v71, v2
	s_delay_alu instid0(VALU_DEP_4) | instskip(NEXT) | instid1(VALU_DEP_2)
	v_max3_f32 v1, v1, v68, v70
	v_max3_f32 v2, v2, v73, v75
	ds_bpermute_b32 v66, v64, v1
	s_waitcnt lgkmcnt(1)
	v_max_f32_e32 v65, v65, v65
	v_max3_f32 v3, v39, v72, v3
	s_delay_alu instid0(VALU_DEP_2) | instskip(NEXT) | instid1(VALU_DEP_2)
	v_max_f32_e32 v0, v0, v65
	v_max3_f32 v3, v3, v74, v76
	ds_bpermute_b32 v67, v64, v3
	ds_bpermute_b32 v64, v64, v2
	s_waitcnt lgkmcnt(2)
	v_max_f32_e32 v66, v66, v66
	s_delay_alu instid0(VALU_DEP_1) | instskip(SKIP_3) | instid1(VALU_DEP_1)
	v_max_f32_e32 v1, v1, v66
	ds_bpermute_b32 v65, v63, v1
	s_waitcnt lgkmcnt(1)
	v_dual_max_f32 v67, v67, v67 :: v_dual_max_f32 v64, v64, v64
	v_max_f32_e32 v3, v3, v67
	ds_bpermute_b32 v66, v63, v3
	s_waitcnt lgkmcnt(1)
	v_dual_max_f32 v65, v65, v65 :: v_dual_max_f32 v2, v2, v64
	ds_bpermute_b32 v64, v63, v0
	v_max_f32_e32 v1, v1, v65
	ds_bpermute_b32 v63, v63, v2
	s_waitcnt lgkmcnt(2)
	v_max_f32_e32 v66, v66, v66
	s_waitcnt lgkmcnt(1)
	s_delay_alu instid0(VALU_DEP_1)
	v_dual_max_f32 v64, v64, v64 :: v_dual_max_f32 v3, v3, v66
	s_waitcnt lgkmcnt(0)
	v_max_f32_e32 v63, v63, v63
	ds_bpermute_b32 v65, v62, v3
	v_max_f32_e32 v0, v0, v64
	ds_bpermute_b32 v64, v62, v1
	s_waitcnt lgkmcnt(0)
	v_dual_max_f32 v65, v65, v65 :: v_dual_max_f32 v64, v64, v64
	s_delay_alu instid0(VALU_DEP_1) | instskip(NEXT) | instid1(VALU_DEP_2)
	v_dual_max_f32 v3, v3, v65 :: v_dual_max_f32 v2, v2, v63
	v_max_f32_e32 v1, v1, v64
	ds_bpermute_b32 v63, v62, v0
	ds_bpermute_b32 v64, v61, v3
	;; [unrolled: 1-line block ×3, first 2 shown]
	s_waitcnt lgkmcnt(1)
	v_dual_max_f32 v63, v63, v63 :: v_dual_max_f32 v64, v64, v64
	s_delay_alu instid0(VALU_DEP_1) | instskip(SKIP_4) | instid1(VALU_DEP_1)
	v_max_f32_e32 v0, v0, v63
	ds_bpermute_b32 v63, v61, v1
	s_waitcnt lgkmcnt(1)
	v_dual_max_f32 v62, v62, v62 :: v_dual_max_f32 v3, v3, v64
	s_waitcnt lgkmcnt(0)
	v_dual_max_f32 v63, v63, v63 :: v_dual_max_f32 v2, v2, v62
	ds_bpermute_b32 v62, v61, v0
	v_max_f32_e32 v1, v1, v63
	ds_bpermute_b32 v61, v61, v2
	ds_bpermute_b32 v63, v60, v3
	s_waitcnt lgkmcnt(1)
	v_dual_max_f32 v62, v62, v62 :: v_dual_max_f32 v61, v61, v61
	s_waitcnt lgkmcnt(0)
	s_delay_alu instid0(VALU_DEP_1) | instskip(SKIP_2) | instid1(VALU_DEP_1)
	v_dual_max_f32 v0, v0, v62 :: v_dual_max_f32 v63, v63, v63
	ds_bpermute_b32 v62, v60, v1
	v_max_f32_e32 v3, v3, v63
	v_sub_f32_e32 v39, v39, v3
	v_sub_f32_e32 v50, v50, v3
	s_delay_alu instid0(VALU_DEP_2) | instskip(SKIP_2) | instid1(VALU_DEP_4)
	v_mul_f32_e32 v79, 0x3fb8aa3b, v39
	v_cmp_ngt_f32_e64 s20, 0xc2ce8ed0, v39
	v_cmp_nlt_f32_e64 s41, 0x42b17218, v39
	v_cmp_ngt_f32_e64 s17, 0xc2ce8ed0, v50
	v_cmp_nlt_f32_e64 s38, 0x42b17218, v50
	v_fma_f32 v118, 0x3fb8aa3b, v39, -v79
	s_waitcnt lgkmcnt(0)
	v_max_f32_e32 v62, v62, v62
	v_max_f32_e32 v2, v2, v61
	ds_bpermute_b32 v61, v60, v0
	v_rndne_f32_e32 v119, v79
	v_dual_fmac_f32 v118, 0x32a5705f, v39 :: v_dual_max_f32 v1, v1, v62
	ds_bpermute_b32 v60, v60, v2
	v_sub_f32_e32 v39, v79, v119
	v_cvt_i32_f32_e32 v79, v119
	v_sub_f32_e32 v41, v41, v1
	v_sub_f32_e32 v48, v48, v1
	;; [unrolled: 1-line block ×4, first 2 shown]
	s_delay_alu instid0(VALU_DEP_4) | instskip(NEXT) | instid1(VALU_DEP_4)
	v_dual_sub_f32 v58, v58, v3 :: v_dual_mul_f32 v69, 0x3fb8aa3b, v41
	v_mul_f32_e32 v66, 0x3fb8aa3b, v48
	v_cmp_ngt_f32_e64 s9, 0xc2ce8ed0, v41
	s_delay_alu instid0(VALU_DEP_4)
	v_mul_f32_e32 v67, 0x3fb8aa3b, v52
	v_cmp_nlt_f32_e64 s30, 0x42b17218, v41
	v_fma_f32 v98, 0x3fb8aa3b, v41, -v69
	v_fma_f32 v92, 0x3fb8aa3b, v48, -v66
	s_waitcnt lgkmcnt(1)
	v_max_f32_e32 v61, v61, v61
	v_rndne_f32_e32 v99, v69
	v_fma_f32 v94, 0x3fb8aa3b, v52, -v67
	s_waitcnt lgkmcnt(0)
	v_dual_add_f32 v39, v39, v118 :: v_dual_max_f32 v60, v60, v60
	v_fmac_f32_e32 v92, 0x32a5705f, v48
	v_sub_f32_e32 v56, v56, v1
	v_rndne_f32_e32 v93, v66
	s_delay_alu instid0(VALU_DEP_4) | instskip(SKIP_4) | instid1(VALU_DEP_4)
	v_exp_f32_e32 v39, v39
	v_max_f32_e32 v2, v2, v60
	v_max_f32_e32 v0, v0, v61
	v_dual_sub_f32 v46, v46, v3 :: v_dual_mul_f32 v61, 0x3fb8aa3b, v44
	v_cmp_ngt_f32_e32 vcc_lo, 0xc2ce8ed0, v44
	v_sub_f32_e32 v53, v53, v2
	s_delay_alu instid0(VALU_DEP_4) | instskip(SKIP_4) | instid1(VALU_DEP_4)
	v_dual_sub_f32 v49, v49, v2 :: v_dual_sub_f32 v42, v42, v0
	v_sub_f32_e32 v45, v45, v2
	v_sub_f32_e32 v43, v43, v0
	;; [unrolled: 1-line block ×3, first 2 shown]
	v_dual_sub_f32 v47, v47, v0 :: v_dual_sub_f32 v40, v40, v2
	v_mul_f32_e32 v72, 0x3fb8aa3b, v45
	s_delay_alu instid0(VALU_DEP_4) | instskip(NEXT) | instid1(VALU_DEP_4)
	v_dual_mul_f32 v62, 0x3fb8aa3b, v43 :: v_dual_mul_f32 v71, 0x3fb8aa3b, v46
	v_mul_f32_e32 v63, 0x3fb8aa3b, v51
	s_delay_alu instid0(VALU_DEP_4) | instskip(SKIP_1) | instid1(VALU_DEP_4)
	v_mul_f32_e32 v60, 0x3fb8aa3b, v47
	v_fma_f32 v82, 0x3fb8aa3b, v44, -v61
	v_fma_f32 v84, 0x3fb8aa3b, v43, -v62
	;; [unrolled: 1-line block ×3, first 2 shown]
	v_rndne_f32_e32 v105, v72
	v_cmp_ngt_f32_e64 s12, 0xc2ce8ed0, v45
	v_cmp_nlt_f32_e64 s34, 0x42b17218, v45
	v_fmac_f32_e32 v82, 0x32a5705f, v44
	v_fmac_f32_e32 v84, 0x32a5705f, v43
	;; [unrolled: 1-line block ×3, first 2 shown]
	v_sub_f32_e32 v45, v72, v105
	v_dual_fmac_f32 v98, 0x32a5705f, v41 :: v_dual_sub_f32 v41, v69, v99
	v_sub_f32_e32 v55, v55, v0
	v_sub_f32_e32 v57, v57, v2
	s_delay_alu instid0(VALU_DEP_4) | instskip(NEXT) | instid1(VALU_DEP_4)
	v_add_f32_e32 v45, v45, v104
	v_dual_fmac_f32 v94, 0x32a5705f, v52 :: v_dual_add_f32 v41, v41, v98
	v_dual_sub_f32 v54, v54, v3 :: v_dual_mul_f32 v65, 0x3fb8aa3b, v42
	v_cvt_i32_f32_e32 v69, v99
	v_dual_mul_f32 v64, 0x3fb8aa3b, v55 :: v_dual_mul_f32 v73, 0x3fb8aa3b, v53
	s_delay_alu instid0(VALU_DEP_4) | instskip(NEXT) | instid1(VALU_DEP_3)
	v_exp_f32_e32 v41, v41
	v_dual_mul_f32 v68, 0x3fb8aa3b, v56 :: v_dual_mul_f32 v77, 0x3fb8aa3b, v54
	v_dual_mul_f32 v70, 0x3fb8aa3b, v49 :: v_dual_mul_f32 v75, 0x3fb8aa3b, v40
	v_fma_f32 v80, 0x3fb8aa3b, v47, -v60
	v_rndne_f32_e32 v81, v60
	v_mul_f32_e32 v76, 0x3fb8aa3b, v50
	v_ldexp_f32 v39, v39, v79
	v_cmp_ngt_f32_e64 s28, 0xc2ce8ed0, v47
	s_delay_alu instid0(TRANS32_DEP_1)
	v_ldexp_f32 v41, v41, v69
	v_cmp_nlt_f32_e64 s42, 0x42b17218, v47
	v_rndne_f32_e32 v89, v64
	v_fma_f32 v110, 0x3fb8aa3b, v40, -v75
	v_rndne_f32_e32 v111, v75
	v_fma_f32 v114, 0x3fb8aa3b, v54, -v77
	v_rndne_f32_e32 v115, v77
	v_dual_fmac_f32 v80, 0x32a5705f, v47 :: v_dual_sub_f32 v47, v60, v81
	v_fma_f32 v112, 0x3fb8aa3b, v50, -v76
	v_rndne_f32_e32 v113, v76
	v_cndmask_b32_e64 v41, 0, v41, s9
	v_cndmask_b32_e64 v39, 0, v39, s20
	v_cmp_ngt_f32_e64 s16, 0xc2ce8ed0, v40
	v_cmp_ngt_f32_e64 s18, 0xc2ce8ed0, v54
	v_cmp_nlt_f32_e64 s37, 0x42b17218, v40
	v_cmp_nlt_f32_e64 s39, 0x42b17218, v54
	v_fmac_f32_e32 v110, 0x32a5705f, v40
	v_sub_f32_e32 v40, v75, v111
	v_fmac_f32_e32 v112, 0x32a5705f, v50
	v_cndmask_b32_e64 v237, 0x7f800000, v41, s30
	v_fmac_f32_e32 v114, 0x32a5705f, v54
	v_sub_f32_e32 v54, v77, v115
	v_cndmask_b32_e64 v239, 0x7f800000, v39, s41
	v_sub_f32_e32 v50, v76, v113
	v_add_f32_e32 v40, v40, v110
	v_cvt_i32_f32_e32 v75, v111
	v_add_f32_e32 v54, v54, v114
	v_cvt_i32_f32_e32 v76, v113
	v_add_f32_e32 v50, v50, v112
	v_exp_f32_e32 v40, v40
	v_cvt_i32_f32_e32 v77, v115
	v_exp_f32_e32 v54, v54
	v_rndne_f32_e32 v85, v62
	v_exp_f32_e32 v50, v50
	v_fma_f32 v86, 0x3fb8aa3b, v51, -v63
	v_rndne_f32_e32 v87, v63
	v_mul_f32_e32 v74, 0x3fb8aa3b, v57
	v_mul_f32_e32 v78, 0x3fb8aa3b, v58
	v_cmp_ngt_f32_e64 s2, 0xc2ce8ed0, v43
	v_ldexp_f32 v40, v40, v75
	v_cmp_nlt_f32_e64 s22, 0x42b17218, v43
	v_sub_f32_e32 v43, v62, v85
	v_ldexp_f32 v54, v54, v77
	v_ldexp_f32 v50, v50, v76
	v_fma_f32 v88, 0x3fb8aa3b, v55, -v64
	v_fma_f32 v90, 0x3fb8aa3b, v42, -v65
	v_rndne_f32_e32 v91, v65
	v_cmp_ngt_f32_e64 s3, 0xc2ce8ed0, v51
	v_cmp_nlt_f32_e64 s23, 0x42b17218, v51
	v_rndne_f32_e32 v83, v61
	v_fma_f32 v100, 0x3fb8aa3b, v49, -v70
	v_rndne_f32_e32 v101, v70
	v_fmac_f32_e32 v86, 0x32a5705f, v51
	v_sub_f32_e32 v51, v63, v87
	v_fma_f32 v108, 0x3fb8aa3b, v57, -v74
	v_rndne_f32_e32 v109, v74
	v_cndmask_b32_e64 v40, 0, v40, s16
	v_cndmask_b32_e64 v50, 0, v50, s17
	;; [unrolled: 1-line block ×3, first 2 shown]
	v_cmp_ngt_f32_e64 s4, 0xc2ce8ed0, v55
	v_cmp_ngt_f32_e64 s5, 0xc2ce8ed0, v42
	v_cmp_nlt_f32_e64 s24, 0x42b17218, v55
	v_cmp_nlt_f32_e64 s25, 0x42b17218, v42
	v_rndne_f32_e32 v107, v73
	v_dual_fmac_f32 v88, 0x32a5705f, v55 :: v_dual_sub_f32 v55, v64, v89
	v_dual_add_f32 v47, v47, v80 :: v_dual_fmac_f32 v90, 0x32a5705f, v42
	v_dual_sub_f32 v42, v65, v91 :: v_dual_add_f32 v43, v43, v84
	v_cmp_ngt_f32_e64 s10, 0xc2ce8ed0, v49
	v_cmp_ngt_f32_e64 s15, 0xc2ce8ed0, v57
	v_cmp_nlt_f32_e64 s21, 0x42b17218, v44
	v_cmp_nlt_f32_e64 s31, 0x42b17218, v49
	;; [unrolled: 1-line block ×3, first 2 shown]
	v_rndne_f32_e32 v95, v67
	v_sub_f32_e32 v44, v61, v83
	v_cndmask_b32_e64 v238, 0x7f800000, v40, s37
	v_cndmask_b32_e64 v40, 0x7f800000, v50, s38
	;; [unrolled: 1-line block ×3, first 2 shown]
	v_fmac_f32_e32 v108, 0x32a5705f, v57
	v_sub_f32_e32 v57, v74, v109
	v_fmac_f32_e32 v100, 0x32a5705f, v49
	v_sub_f32_e32 v49, v70, v101
	v_cmp_ngt_f32_e64 s6, 0xc2ce8ed0, v48
	v_cmp_nlt_f32_e64 s26, 0x42b17218, v48
	v_dual_add_f32 v57, v57, v108 :: v_dual_sub_f32 v48, v66, v93
	v_add_f32_e32 v51, v51, v86
	v_exp_f32_e32 v47, v47
	v_exp_f32_e32 v43, v43
	v_cmp_ngt_f32_e64 s7, 0xc2ce8ed0, v52
	v_cmp_nlt_f32_e64 s27, 0x42b17218, v52
	v_dual_sub_f32 v52, v67, v95 :: v_dual_add_f32 v49, v49, v100
	v_cvt_i32_f32_e32 v60, v81
	v_cvt_i32_f32_e32 v62, v85
	v_exp_f32_e32 v51, v51
	v_exp_f32_e32 v45, v45
	;; [unrolled: 1-line block ×3, first 2 shown]
	v_cvt_i32_f32_e32 v63, v87
	v_ldexp_f32 v47, v47, v60
	v_ldexp_f32 v43, v43, v62
	v_cvt_i32_f32_e32 v70, v101
	v_cvt_i32_f32_e32 v72, v105
	v_add_f32_e32 v44, v44, v82
	v_cndmask_b32_e64 v47, 0, v47, s28
	v_ldexp_f32 v51, v51, v63
	v_cndmask_b32_e64 v43, 0, v43, s2
	v_ldexp_f32 v49, v49, v70
	v_ldexp_f32 v45, v45, v72
	v_fma_f32 v102, 0x3fb8aa3b, v46, -v71
	v_cndmask_b32_e64 v51, 0, v51, s3
	v_cndmask_b32_e64 v47, 0x7f800000, v47, s42
	;; [unrolled: 1-line block ×3, first 2 shown]
	v_rndne_f32_e32 v103, v71
	v_exp_f32_e32 v44, v44
	v_cndmask_b32_e64 v49, 0, v49, s10
	v_cndmask_b32_e64 v45, 0, v45, s12
	v_fma_f32 v96, 0x3fb8aa3b, v56, -v68
	v_rndne_f32_e32 v97, v68
	v_fma_f32 v106, 0x3fb8aa3b, v53, -v73
	v_fma_f32 v116, 0x3fb8aa3b, v58, -v78
	v_rndne_f32_e32 v117, v78
	v_dual_fmac_f32 v102, 0x32a5705f, v46 :: v_dual_add_f32 v39, v43, v47
	v_cndmask_b32_e64 v51, 0x7f800000, v51, s23
	v_cmp_ngt_f32_e64 s11, 0xc2ce8ed0, v46
	v_cmp_nlt_f32_e64 s33, 0x42b17218, v46
	v_cvt_i32_f32_e32 v61, v83
	v_cndmask_b32_e64 v41, 0x7f800000, v49, s31
	v_cndmask_b32_e64 v45, 0x7f800000, v45, s34
	v_sub_f32_e32 v46, v71, v103
	v_cmp_ngt_f32_e64 s8, 0xc2ce8ed0, v56
	v_cmp_ngt_f32_e64 s13, 0xc2ce8ed0, v53
	;; [unrolled: 1-line block ×3, first 2 shown]
	v_cmp_nlt_f32_e64 s29, 0x42b17218, v56
	v_cmp_nlt_f32_e64 s35, 0x42b17218, v53
	;; [unrolled: 1-line block ×3, first 2 shown]
	v_dual_fmac_f32 v106, 0x32a5705f, v53 :: v_dual_sub_f32 v53, v73, v107
	v_fmac_f32_e32 v116, 0x32a5705f, v58
	v_sub_f32_e32 v58, v78, v117
	v_cvt_f16_f32_e32 v54, v51
	v_dual_add_f32 v51, v51, v39 :: v_dual_fmac_f32 v96, 0x32a5705f, v56
	v_dual_add_f32 v53, v53, v106 :: v_dual_sub_f32 v56, v68, v97
	v_dual_add_f32 v55, v55, v88 :: v_dual_add_f32 v42, v42, v90
	v_add_f32_e32 v48, v48, v92
	v_ldexp_f32 v44, v44, v61
	v_dual_add_f32 v61, v45, v41 :: v_dual_add_f32 v46, v46, v102
	v_add_f32_e32 v52, v52, v94
	v_add_f32_e32 v56, v56, v96
	;; [unrolled: 1-line block ×3, first 2 shown]
	v_exp_f32_e32 v42, v42
	v_exp_f32_e32 v48, v48
	;; [unrolled: 1-line block ×9, first 2 shown]
	v_cvt_i32_f32_e32 v65, v91
	v_cvt_i32_f32_e32 v66, v93
	;; [unrolled: 1-line block ×9, first 2 shown]
	v_ldexp_f32 v42, v42, v65
	v_ldexp_f32 v48, v48, v66
	;; [unrolled: 1-line block ×9, first 2 shown]
	v_cndmask_b32_e32 v44, 0, v44, vcc_lo
	v_cndmask_b32_e64 v42, 0, v42, s5
	v_cndmask_b32_e64 v48, 0, v48, s6
	;; [unrolled: 1-line block ×19, first 2 shown]
	v_cvt_f16_f32_e32 v47, v47
	v_cvt_f16_f32_e32 v57, v44
	;; [unrolled: 1-line block ×3, first 2 shown]
	v_add_f32_e32 v44, v44, v42
	v_cvt_f16_f32_e32 v42, v42
	v_cvt_f16_f32_e32 v41, v41
	v_cvt_f16_f32_e64 v223, v238
	v_cvt_f16_f32_e32 v64, v46
	v_cvt_f16_f32_e32 v45, v45
	v_add_f32_e32 v46, v46, v40
	v_cvt_f16_f32_e32 v40, v40
	v_cvt_f16_f32_e64 v67, v239
	v_cvt_f16_f32_e32 v56, v55
	v_cvt_f16_f32_e32 v58, v48
	;; [unrolled: 1-line block ×4, first 2 shown]
	v_cvt_f16_f32_e64 v63, v220
	v_cvt_f16_f32_e32 v65, v50
	v_cvt_f16_f32_e32 v66, v53
	v_cvt_f16_f32_e64 v221, v217
	v_cvt_f16_f32_e64 v222, v237
	v_add_f32_e32 v48, v48, v44
	v_pk_mul_f16 v225, v223, v31 op_sel_hi:[0,1]
	v_add_f32_e32 v31, v50, v46
	v_pk_mul_f16 v226, v67, v29 op_sel_hi:[0,1]
	v_pk_mul_f16 v227, v67, v28 op_sel_hi:[0,1]
	v_pack_b32_f16 v29, v45, v64
	v_pack_b32_f16 v28, v43, v57
	;; [unrolled: 1-line block ×8, first 2 shown]
	v_pk_mul_f16 v35, v221, v35 op_sel_hi:[0,1]
	v_pk_mul_f16 v224, v222, v33 op_sel_hi:[0,1]
	v_add_f32_e32 v240, v49, v61
	v_dual_add_f32 v218, v55, v51 :: v_dual_add_f32 v219, v52, v48
	v_add_f32_e32 v241, v53, v31
	ds_store_2addr_b64 v208, v[28:29], v[39:40] offset1:32
	ds_store_2addr_b64 v208, v[41:42], v[43:44] offset0:64 offset1:96
	s_waitcnt vmcnt(3)
	ds_store_b128 v201, v[4:7]
	s_waitcnt vmcnt(2)
	ds_store_b128 v204, v[8:11]
	;; [unrolled: 2-line block ×4, first 2 shown]
	s_waitcnt lgkmcnt(0)
	s_barrier
	buffer_gl0_inv
	ds_load_2addr_b64 v[4:7], v203 offset1:32
	ds_load_b128 v[8:11], v202
	ds_load_b128 v[12:15], v202 offset:16
	ds_load_b128 v[16:19], v202 offset:32
	;; [unrolled: 1-line block ×3, first 2 shown]
	ds_load_2addr_b64 v[43:46], v203 offset0:64 offset1:96
	ds_load_2addr_b64 v[47:50], v203 offset0:128 offset1:160
	;; [unrolled: 1-line block ×3, first 2 shown]
	ds_load_2addr_b64 v[55:58], v210 offset1:32
	ds_load_2addr_b64 v[60:63], v210 offset0:64 offset1:96
	ds_load_b128 v[64:67], v202 offset:64
	ds_load_b128 v[68:71], v202 offset:80
	ds_load_2addr_b64 v[72:75], v210 offset0:128 offset1:160
	ds_load_2addr_b64 v[76:79], v210 offset0:192 offset1:224
	ds_load_b128 v[80:83], v202 offset:96
	ds_load_b128 v[84:87], v202 offset:112
	ds_load_2addr_b64 v[88:91], v211 offset1:32
	ds_load_2addr_b64 v[92:95], v211 offset0:64 offset1:96
	ds_load_b128 v[96:99], v202 offset:128
	ds_load_b128 v[100:103], v202 offset:144
	ds_load_2addr_b64 v[104:107], v211 offset0:128 offset1:160
	ds_load_2addr_b64 v[108:111], v211 offset0:192 offset1:224
	ds_load_b128 v[112:115], v202 offset:160
	ds_load_b128 v[116:119], v202 offset:176
	;; [unrolled: 8-line block ×3, first 2 shown]
	ds_load_2addr_b64 v[152:155], v213 offset1:32
	ds_load_2addr_b64 v[156:159], v213 offset0:64 offset1:96
	ds_load_b128 v[160:163], v202 offset:256
	ds_load_b128 v[164:167], v202 offset:272
	s_waitcnt lgkmcnt(34)
	v_pk_mul_f16 v28, v4, v8 op_sel_hi:[1,0]
	v_pk_mul_f16 v29, v4, v8 op_sel:[0,1]
	v_pk_fma_f16 v35, v5, v8, v35 op_sel_hi:[1,0,1]
	v_pk_fma_f16 v8, v5, v8, v224 op_sel:[0,1,0]
	v_fmac_f32_e32 v218, v38, v217
	v_pk_fma_f16 v28, v221, v34, v28 op_sel_hi:[0,1,1]
	v_pk_fma_f16 v29, v222, v32, v29 op_sel_hi:[0,1,1]
	v_pk_mul_f16 v221, v4, v9 op_sel_hi:[1,0]
	v_pk_fma_f16 v4, v4, v9, v226 op_sel:[0,1,0]
	v_pk_fma_f16 v222, v5, v9, v225 op_sel_hi:[1,0,1]
	v_pk_fma_f16 v5, v5, v9, v227 op_sel:[0,1,0]
	v_pk_fma_f16 v8, v7, v10, v8 op_sel:[0,1,0]
	v_pk_fma_f16 v9, v223, v30, v221 op_sel_hi:[0,1,1]
	v_pk_fma_f16 v4, v6, v11, v4 op_sel:[0,1,0]
	v_pk_fma_f16 v30, v7, v10, v35 op_sel_hi:[1,0,1]
	v_pk_fma_f16 v35, v7, v11, v222 op_sel_hi:[1,0,1]
	v_pk_fma_f16 v5, v7, v11, v5 op_sel:[0,1,0]
	v_pk_fma_f16 v7, v6, v10, v28 op_sel_hi:[1,0,1]
	v_pk_fma_f16 v10, v6, v10, v29 op_sel:[0,1,0]
	v_pk_fma_f16 v6, v6, v11, v9 op_sel_hi:[1,0,1]
	s_waitcnt lgkmcnt(30)
	v_pk_fma_f16 v4, v43, v13, v4 op_sel:[0,1,0]
	v_pk_fma_f16 v9, v44, v12, v30 op_sel_hi:[1,0,1]
	v_pk_fma_f16 v8, v44, v12, v8 op_sel:[0,1,0]
	v_pk_fma_f16 v11, v44, v13, v35 op_sel_hi:[1,0,1]
	v_pk_fma_f16 v5, v44, v13, v5 op_sel:[0,1,0]
	v_pk_fma_f16 v10, v43, v12, v10 op_sel:[0,1,0]
	v_pk_fma_f16 v7, v43, v12, v7 op_sel_hi:[1,0,1]
	v_pk_fma_f16 v6, v43, v13, v6 op_sel_hi:[1,0,1]
	v_pk_fma_f16 v4, v45, v15, v4 op_sel:[0,1,0]
	v_pk_fma_f16 v9, v46, v14, v9 op_sel_hi:[1,0,1]
	v_pk_fma_f16 v8, v46, v14, v8 op_sel:[0,1,0]
	v_pk_fma_f16 v11, v46, v15, v11 op_sel_hi:[1,0,1]
	v_pk_fma_f16 v5, v46, v15, v5 op_sel:[0,1,0]
	v_pk_fma_f16 v10, v45, v14, v10 op_sel:[0,1,0]
	v_pk_fma_f16 v7, v45, v14, v7 op_sel_hi:[1,0,1]
	v_pk_fma_f16 v6, v45, v15, v6 op_sel_hi:[1,0,1]
	s_waitcnt lgkmcnt(29)
	v_pk_fma_f16 v4, v47, v17, v4 op_sel:[0,1,0]
	v_pk_fma_f16 v9, v48, v16, v9 op_sel_hi:[1,0,1]
	v_pk_fma_f16 v8, v48, v16, v8 op_sel:[0,1,0]
	v_pk_fma_f16 v11, v48, v17, v11 op_sel_hi:[1,0,1]
	v_pk_fma_f16 v5, v48, v17, v5 op_sel:[0,1,0]
	v_pk_fma_f16 v10, v47, v16, v10 op_sel:[0,1,0]
	v_pk_fma_f16 v7, v47, v16, v7 op_sel_hi:[1,0,1]
	v_pk_fma_f16 v6, v47, v17, v6 op_sel_hi:[1,0,1]
	v_pk_fma_f16 v4, v49, v19, v4 op_sel:[0,1,0]
	v_pk_fma_f16 v9, v50, v18, v9 op_sel_hi:[1,0,1]
	v_pk_fma_f16 v8, v50, v18, v8 op_sel:[0,1,0]
	v_pk_fma_f16 v11, v50, v19, v11 op_sel_hi:[1,0,1]
	v_pk_fma_f16 v5, v50, v19, v5 op_sel:[0,1,0]
	v_pk_fma_f16 v10, v49, v18, v10 op_sel:[0,1,0]
	v_pk_fma_f16 v7, v49, v18, v7 op_sel_hi:[1,0,1]
	;; [unrolled: 17-line block ×12, first 2 shown]
	v_pk_fma_f16 v35, v122, v131, v6 op_sel_hi:[1,0,1]
	s_waitcnt lgkmcnt(8)
	v_pk_fma_f16 v28, v124, v133, v28 op_sel:[0,1,0]
	v_pk_fma_f16 v12, v125, v132, v12 op_sel_hi:[1,0,1]
	v_pk_fma_f16 v13, v125, v132, v13 op_sel:[0,1,0]
	v_pk_fma_f16 v14, v125, v133, v14 op_sel_hi:[1,0,1]
	v_pk_fma_f16 v29, v125, v133, v29 op_sel:[0,1,0]
	v_pk_fma_f16 v15, v124, v132, v15 op_sel:[0,1,0]
	ds_load_2addr_b64 v[31:34], v213 offset0:128 offset1:160
	ds_load_2addr_b64 v[221:224], v213 offset0:192 offset1:224
	ds_load_b128 v[225:228], v202 offset:288
	ds_load_b128 v[43:46], v202 offset:304
	ds_load_2addr_b64 v[229:232], v214 offset1:32
	ds_load_2addr_b64 v[47:50], v214 offset0:64 offset1:96
	ds_load_b128 v[233:236], v202 offset:320
	ds_load_b128 v[39:42], v202 offset:336
	ds_load_2addr_b64 v[51:54], v214 offset0:128 offset1:160
	ds_load_2addr_b64 v[55:58], v214 offset0:192 offset1:224
	ds_load_b128 v[64:67], v202 offset:352
	ds_load_b128 v[60:63], v202 offset:368
	ds_load_2addr_b64 v[68:71], v215 offset1:32
	ds_load_2addr_b64 v[72:75], v215 offset0:64 offset1:96
	ds_load_b128 v[80:83], v202 offset:384
	ds_load_b128 v[76:79], v202 offset:400
	;; [unrolled: 8-line block ×3, first 2 shown]
	ds_load_2addr_b64 v[8:11], v216 offset0:128 offset1:160
	ds_load_2addr_b64 v[4:7], v216 offset0:192 offset1:224
	ds_load_b128 v[16:19], v202 offset:480
	v_pk_fma_f16 v30, v124, v132, v30 op_sel_hi:[1,0,1]
	v_pk_fma_f16 v35, v124, v133, v35 op_sel_hi:[1,0,1]
	v_pk_fma_f16 v124, v126, v135, v28 op_sel:[0,1,0]
	v_pk_fma_f16 v125, v127, v134, v12 op_sel_hi:[1,0,1]
	v_pk_fma_f16 v128, v127, v134, v13 op_sel:[0,1,0]
	v_pk_fma_f16 v129, v127, v135, v14 op_sel_hi:[1,0,1]
	v_pk_fma_f16 v127, v127, v135, v29 op_sel:[0,1,0]
	v_pk_fma_f16 v130, v126, v134, v15 op_sel:[0,1,0]
	ds_load_b128 v[12:15], v202 offset:496
	s_waitcnt lgkmcnt(0)
	s_barrier
	buffer_gl0_inv
	s_clause 0x3
	global_load_b128 v[26:29], v[26:27], off
	global_load_b128 v[116:119], v[22:23], off
	;; [unrolled: 1-line block ×4, first 2 shown]
	v_pk_fma_f16 v30, v126, v134, v30 op_sel_hi:[1,0,1]
	v_pk_fma_f16 v35, v126, v135, v35 op_sel_hi:[1,0,1]
	v_dual_add_f32 v220, v220, v240 :: v_dual_mov_b32 v217, v241
	v_fmac_f32_e32 v219, v37, v237
	v_pk_fma_f16 v20, v136, v145, v124 op_sel:[0,1,0]
	v_pk_fma_f16 v21, v137, v144, v125 op_sel_hi:[1,0,1]
	s_delay_alu instid0(VALU_DEP_4)
	v_dual_fmac_f32 v220, v36, v238 :: v_dual_fmac_f32 v217, v59, v239
	v_pk_fma_f16 v36, v137, v144, v128 op_sel:[0,1,0]
	v_pk_fma_f16 v37, v137, v145, v129 op_sel_hi:[1,0,1]
	v_pk_fma_f16 v38, v137, v145, v127 op_sel:[0,1,0]
	v_pk_fma_f16 v30, v136, v144, v30 op_sel_hi:[1,0,1]
	;; [unrolled: 2-line block ×143, first 2 shown]
	s_waitcnt vmcnt(3)
	ds_store_b128 v201, v[26:29]
	s_waitcnt vmcnt(2)
	ds_store_b128 v204, v[116:119]
	;; [unrolled: 2-line block ×4, first 2 shown]
	s_waitcnt lgkmcnt(0)
	s_barrier
	buffer_gl0_inv
	ds_load_2addr_b64 v[112:115], v203 offset1:32
	ds_load_b128 v[124:127], v202 offset:512
	ds_load_b128 v[128:131], v202 offset:528
	;; [unrolled: 1-line block ×4, first 2 shown]
	ds_load_2addr_b64 v[144:147], v203 offset0:64 offset1:96
	ds_load_2addr_b64 v[156:159], v203 offset0:128 offset1:160
	ds_load_2addr_b64 v[160:163], v203 offset0:192 offset1:224
	ds_load_2addr_b64 v[148:151], v210 offset1:32
	ds_load_2addr_b64 v[132:135], v210 offset0:64 offset1:96
	ds_load_b128 v[164:167], v202 offset:576
	ds_load_b128 v[140:143], v202 offset:592
	ds_load_2addr_b64 v[116:119], v210 offset0:128 offset1:160
	ds_load_2addr_b64 v[100:103], v210 offset0:192 offset1:224
	ds_load_b128 v[136:139], v202 offset:608
	ds_load_b128 v[108:111], v202 offset:624
	ds_load_2addr_b64 v[96:99], v211 offset1:32
	ds_load_2addr_b64 v[84:87], v211 offset0:64 offset1:96
	ds_load_b128 v[104:107], v202 offset:640
	ds_load_b128 v[92:95], v202 offset:656
	ds_load_2addr_b64 v[64:67], v211 offset0:128 offset1:160
	ds_load_2addr_b64 v[24:27], v211 offset0:192 offset1:224
	ds_load_b128 v[88:91], v202 offset:672
	ds_load_b128 v[32:35], v202 offset:688
	;; [unrolled: 8-line block ×3, first 2 shown]
	ds_load_2addr_b64 v[52:55], v213 offset1:32
	ds_load_2addr_b64 v[60:63], v213 offset0:64 offset1:96
	ds_load_b128 v[80:83], v202 offset:768
	ds_load_b128 v[68:71], v202 offset:784
	ds_load_2addr_b64 v[72:75], v213 offset0:128 offset1:160
	s_waitcnt lgkmcnt(35)
	v_pk_fma_f16 v222, v112, v125, v222 op_sel:[0,1,0]
	v_pk_fma_f16 v223, v113, v124, v223 op_sel_hi:[1,0,1]
	v_pk_fma_f16 v224, v113, v124, v224 op_sel:[0,1,0]
	v_pk_fma_f16 v225, v113, v125, v225 op_sel_hi:[1,0,1]
	v_pk_fma_f16 v113, v113, v125, v226 op_sel:[0,1,0]
	v_pk_fma_f16 v221, v112, v124, v221 op_sel_hi:[1,0,1]
	v_pk_fma_f16 v124, v112, v124, v227 op_sel:[0,1,0]
	v_pk_fma_f16 v112, v112, v125, v228 op_sel_hi:[1,0,1]
	v_pk_fma_f16 v222, v114, v127, v222 op_sel:[0,1,0]
	v_pk_fma_f16 v223, v115, v126, v223 op_sel_hi:[1,0,1]
	v_pk_fma_f16 v224, v115, v126, v224 op_sel:[0,1,0]
	v_pk_fma_f16 v225, v115, v127, v225 op_sel_hi:[1,0,1]
	v_pk_fma_f16 v226, v115, v127, v113 op_sel:[0,1,0]
	v_pk_fma_f16 v221, v114, v126, v221 op_sel_hi:[1,0,1]
	v_pk_fma_f16 v227, v114, v126, v124 op_sel:[0,1,0]
	v_pk_fma_f16 v228, v114, v127, v112 op_sel_hi:[1,0,1]
	s_waitcnt lgkmcnt(31)
	v_pk_fma_f16 v222, v144, v129, v222 op_sel:[0,1,0]
	v_pk_fma_f16 v223, v145, v128, v223 op_sel_hi:[1,0,1]
	v_pk_fma_f16 v224, v145, v128, v224 op_sel:[0,1,0]
	v_pk_fma_f16 v225, v145, v129, v225 op_sel_hi:[1,0,1]
	v_pk_fma_f16 v145, v145, v129, v226 op_sel:[0,1,0]
	v_pk_fma_f16 v221, v144, v128, v221 op_sel_hi:[1,0,1]
	v_pk_fma_f16 v128, v144, v128, v227 op_sel:[0,1,0]
	v_pk_fma_f16 v129, v144, v129, v228 op_sel_hi:[1,0,1]
	v_pk_fma_f16 v222, v146, v131, v222 op_sel:[0,1,0]
	v_pk_fma_f16 v223, v147, v130, v223 op_sel_hi:[1,0,1]
	v_pk_fma_f16 v224, v147, v130, v224 op_sel:[0,1,0]
	v_pk_fma_f16 v225, v147, v131, v225 op_sel_hi:[1,0,1]
	v_pk_fma_f16 v226, v147, v131, v145 op_sel:[0,1,0]
	v_pk_fma_f16 v221, v146, v130, v221 op_sel_hi:[1,0,1]
	v_pk_fma_f16 v227, v146, v130, v128 op_sel:[0,1,0]
	v_pk_fma_f16 v228, v146, v131, v129 op_sel_hi:[1,0,1]
	;; [unrolled: 17-line block ×16, first 2 shown]
	ds_load_2addr_b64 v[8:11], v213 offset0:192 offset1:224
	ds_load_b128 v[16:19], v202 offset:800
	s_waitcnt lgkmcnt(4)
	v_pk_fma_f16 v22, v52, v81, v22 op_sel:[0,1,0]
	v_pk_fma_f16 v28, v53, v80, v28 op_sel_hi:[1,0,1]
	v_pk_fma_f16 v30, v53, v80, v30 op_sel:[0,1,0]
	v_pk_fma_f16 v31, v53, v81, v31 op_sel_hi:[1,0,1]
	;; [unrolled: 2-line block ×8, first 2 shown]
	s_waitcnt lgkmcnt(3)
	v_pk_fma_f16 v22, v60, v69, v22 op_sel:[0,1,0]
	v_pk_fma_f16 v28, v61, v68, v28 op_sel_hi:[1,0,1]
	v_pk_fma_f16 v30, v61, v68, v30 op_sel:[0,1,0]
	v_pk_fma_f16 v31, v61, v69, v31 op_sel_hi:[1,0,1]
	;; [unrolled: 2-line block ×4, first 2 shown]
	ds_load_b128 v[12:15], v202 offset:816
	ds_load_2addr_b64 v[4:7], v214 offset1:32
	v_pk_fma_f16 v22, v62, v71, v22 op_sel:[0,1,0]
	v_pk_fma_f16 v28, v63, v70, v28 op_sel_hi:[1,0,1]
	v_pk_fma_f16 v30, v63, v70, v30 op_sel:[0,1,0]
	v_pk_fma_f16 v31, v63, v71, v31 op_sel_hi:[1,0,1]
	v_pk_fma_f16 v21, v63, v71, v21 op_sel:[0,1,0]
	v_pk_fma_f16 v23, v62, v70, v23 op_sel_hi:[1,0,1]
	v_pk_fma_f16 v29, v62, v70, v29 op_sel:[0,1,0]
	v_pk_fma_f16 v20, v62, v71, v20 op_sel_hi:[1,0,1]
	ds_load_2addr_b64 v[112:115], v214 offset0:64 offset1:96
	ds_load_b128 v[124:127], v202 offset:832
	s_waitcnt lgkmcnt(4)
	v_pk_fma_f16 v22, v72, v17, v22 op_sel:[0,1,0]
	v_pk_fma_f16 v28, v73, v16, v28 op_sel_hi:[1,0,1]
	v_pk_fma_f16 v30, v73, v16, v30 op_sel:[0,1,0]
	v_pk_fma_f16 v31, v73, v17, v31 op_sel_hi:[1,0,1]
	v_pk_fma_f16 v21, v73, v17, v21 op_sel:[0,1,0]
	v_pk_fma_f16 v23, v72, v16, v23 op_sel_hi:[1,0,1]
	v_pk_fma_f16 v16, v72, v16, v29 op_sel:[0,1,0]
	v_pk_fma_f16 v17, v72, v17, v20 op_sel_hi:[1,0,1]
	v_pk_fma_f16 v20, v74, v19, v22 op_sel:[0,1,0]
	v_pk_fma_f16 v22, v75, v18, v28 op_sel_hi:[1,0,1]
	v_pk_fma_f16 v28, v75, v18, v30 op_sel:[0,1,0]
	v_pk_fma_f16 v29, v75, v19, v31 op_sel_hi:[1,0,1]
	v_pk_fma_f16 v21, v75, v19, v21 op_sel:[0,1,0]
	v_pk_fma_f16 v23, v74, v18, v23 op_sel_hi:[1,0,1]
	v_pk_fma_f16 v16, v74, v18, v16 op_sel:[0,1,0]
	v_pk_fma_f16 v17, v74, v19, v17 op_sel_hi:[1,0,1]
	s_waitcnt lgkmcnt(3)
	v_pk_fma_f16 v18, v8, v13, v20 op_sel:[0,1,0]
	v_pk_fma_f16 v19, v9, v12, v22 op_sel_hi:[1,0,1]
	v_pk_fma_f16 v20, v9, v12, v28 op_sel:[0,1,0]
	v_pk_fma_f16 v22, v9, v13, v29 op_sel_hi:[1,0,1]
	;; [unrolled: 2-line block ×4, first 2 shown]
	ds_load_b128 v[144:147], v202 offset:848
	ds_load_2addr_b64 v[128:131], v214 offset0:128 offset1:160
	v_pk_fma_f16 v13, v10, v15, v18 op_sel:[0,1,0]
	v_pk_fma_f16 v16, v11, v14, v19 op_sel_hi:[1,0,1]
	v_pk_fma_f16 v17, v11, v14, v20 op_sel:[0,1,0]
	v_pk_fma_f16 v18, v11, v15, v22 op_sel_hi:[1,0,1]
	v_pk_fma_f16 v9, v11, v15, v9 op_sel:[0,1,0]
	v_pk_fma_f16 v11, v10, v14, v21 op_sel_hi:[1,0,1]
	v_pk_fma_f16 v12, v10, v14, v12 op_sel:[0,1,0]
	v_pk_fma_f16 v8, v10, v15, v8 op_sel_hi:[1,0,1]
	ds_load_2addr_b64 v[152:155], v214 offset0:192 offset1:224
	ds_load_b128 v[156:159], v202 offset:864
	s_waitcnt lgkmcnt(4)
	v_pk_fma_f16 v10, v4, v125, v13 op_sel:[0,1,0]
	v_pk_fma_f16 v13, v5, v124, v16 op_sel_hi:[1,0,1]
	v_pk_fma_f16 v14, v5, v124, v17 op_sel:[0,1,0]
	v_pk_fma_f16 v15, v5, v125, v18 op_sel_hi:[1,0,1]
	;; [unrolled: 2-line block ×8, first 2 shown]
	s_waitcnt lgkmcnt(3)
	v_pk_fma_f16 v6, v112, v145, v8 op_sel:[0,1,0]
	v_pk_fma_f16 v8, v113, v144, v10 op_sel_hi:[1,0,1]
	v_pk_fma_f16 v10, v113, v144, v12 op_sel:[0,1,0]
	v_pk_fma_f16 v11, v113, v145, v13 op_sel_hi:[1,0,1]
	;; [unrolled: 2-line block ×4, first 2 shown]
	ds_load_b128 v[160:163], v202 offset:880
	ds_load_2addr_b64 v[120:123], v215 offset1:32
	v_pk_fma_f16 v6, v114, v147, v6 op_sel:[0,1,0]
	v_pk_fma_f16 v8, v115, v146, v8 op_sel_hi:[1,0,1]
	v_pk_fma_f16 v10, v115, v146, v10 op_sel:[0,1,0]
	v_pk_fma_f16 v11, v115, v147, v11 op_sel_hi:[1,0,1]
	;; [unrolled: 2-line block ×4, first 2 shown]
	ds_load_2addr_b64 v[148:151], v215 offset0:64 offset1:96
	ds_load_b128 v[164:167], v202 offset:896
	s_waitcnt lgkmcnt(4)
	v_pk_fma_f16 v6, v128, v157, v6 op_sel:[0,1,0]
	v_pk_fma_f16 v8, v129, v156, v8 op_sel_hi:[1,0,1]
	v_pk_fma_f16 v10, v129, v156, v10 op_sel:[0,1,0]
	v_pk_fma_f16 v11, v129, v157, v11 op_sel_hi:[1,0,1]
	v_pk_fma_f16 v5, v129, v157, v5 op_sel:[0,1,0]
	v_pk_fma_f16 v7, v128, v156, v7 op_sel_hi:[1,0,1]
	v_pk_fma_f16 v9, v128, v156, v9 op_sel:[0,1,0]
	v_pk_fma_f16 v4, v128, v157, v4 op_sel_hi:[1,0,1]
	v_pk_fma_f16 v6, v130, v159, v6 op_sel:[0,1,0]
	v_pk_fma_f16 v8, v131, v158, v8 op_sel_hi:[1,0,1]
	v_pk_fma_f16 v10, v131, v158, v10 op_sel:[0,1,0]
	v_pk_fma_f16 v11, v131, v159, v11 op_sel_hi:[1,0,1]
	v_pk_fma_f16 v5, v131, v159, v5 op_sel:[0,1,0]
	v_pk_fma_f16 v7, v130, v158, v7 op_sel_hi:[1,0,1]
	v_pk_fma_f16 v9, v130, v158, v9 op_sel:[0,1,0]
	v_pk_fma_f16 v4, v130, v159, v4 op_sel_hi:[1,0,1]
	s_waitcnt lgkmcnt(3)
	v_pk_fma_f16 v6, v152, v161, v6 op_sel:[0,1,0]
	v_pk_fma_f16 v8, v153, v160, v8 op_sel_hi:[1,0,1]
	v_pk_fma_f16 v10, v153, v160, v10 op_sel:[0,1,0]
	v_pk_fma_f16 v11, v153, v161, v11 op_sel_hi:[1,0,1]
	;; [unrolled: 2-line block ×4, first 2 shown]
	ds_load_b128 v[132:135], v202 offset:912
	ds_load_2addr_b64 v[140:143], v215 offset0:128 offset1:160
	v_pk_fma_f16 v6, v154, v163, v6 op_sel:[0,1,0]
	v_pk_fma_f16 v8, v155, v162, v8 op_sel_hi:[1,0,1]
	v_pk_fma_f16 v10, v155, v162, v10 op_sel:[0,1,0]
	v_pk_fma_f16 v11, v155, v163, v11 op_sel_hi:[1,0,1]
	v_pk_fma_f16 v5, v155, v163, v5 op_sel:[0,1,0]
	v_pk_fma_f16 v7, v154, v162, v7 op_sel_hi:[1,0,1]
	v_pk_fma_f16 v9, v154, v162, v9 op_sel:[0,1,0]
	v_pk_fma_f16 v4, v154, v163, v4 op_sel_hi:[1,0,1]
	ds_load_2addr_b64 v[116:119], v215 offset0:192 offset1:224
	ds_load_b128 v[136:139], v202 offset:928
	s_waitcnt lgkmcnt(4)
	v_pk_fma_f16 v6, v120, v165, v6 op_sel:[0,1,0]
	v_pk_fma_f16 v8, v121, v164, v8 op_sel_hi:[1,0,1]
	v_pk_fma_f16 v10, v121, v164, v10 op_sel:[0,1,0]
	v_pk_fma_f16 v11, v121, v165, v11 op_sel_hi:[1,0,1]
	;; [unrolled: 2-line block ×8, first 2 shown]
	s_waitcnt lgkmcnt(3)
	v_pk_fma_f16 v6, v148, v133, v6 op_sel:[0,1,0]
	v_pk_fma_f16 v8, v149, v132, v8 op_sel_hi:[1,0,1]
	v_pk_fma_f16 v10, v149, v132, v10 op_sel:[0,1,0]
	v_pk_fma_f16 v11, v149, v133, v11 op_sel_hi:[1,0,1]
	;; [unrolled: 2-line block ×4, first 2 shown]
	ds_load_b128 v[100:103], v202 offset:944
	ds_load_2addr_b64 v[108:111], v216 offset1:32
	v_pk_fma_f16 v6, v150, v135, v6 op_sel:[0,1,0]
	v_pk_fma_f16 v8, v151, v134, v8 op_sel_hi:[1,0,1]
	v_pk_fma_f16 v10, v151, v134, v10 op_sel:[0,1,0]
	v_pk_fma_f16 v11, v151, v135, v11 op_sel_hi:[1,0,1]
	;; [unrolled: 2-line block ×4, first 2 shown]
	ds_load_2addr_b64 v[96:99], v216 offset0:64 offset1:96
	ds_load_b128 v[104:107], v202 offset:960
	s_waitcnt lgkmcnt(4)
	v_pk_fma_f16 v6, v140, v137, v6 op_sel:[0,1,0]
	v_pk_fma_f16 v8, v141, v136, v8 op_sel_hi:[1,0,1]
	v_pk_fma_f16 v10, v141, v136, v10 op_sel:[0,1,0]
	v_pk_fma_f16 v11, v141, v137, v11 op_sel_hi:[1,0,1]
	;; [unrolled: 2-line block ×8, first 2 shown]
	s_waitcnt lgkmcnt(3)
	v_pk_fma_f16 v6, v116, v101, v6 op_sel:[0,1,0]
	v_pk_fma_f16 v8, v117, v100, v8 op_sel_hi:[1,0,1]
	v_pk_fma_f16 v10, v117, v100, v10 op_sel:[0,1,0]
	v_pk_fma_f16 v11, v117, v101, v11 op_sel_hi:[1,0,1]
	;; [unrolled: 2-line block ×4, first 2 shown]
	ds_load_b128 v[84:87], v202 offset:976
	ds_load_2addr_b64 v[92:95], v216 offset0:128 offset1:160
	v_pk_fma_f16 v6, v118, v103, v6 op_sel:[0,1,0]
	v_pk_fma_f16 v8, v119, v102, v8 op_sel_hi:[1,0,1]
	v_pk_fma_f16 v10, v119, v102, v10 op_sel:[0,1,0]
	v_pk_fma_f16 v11, v119, v103, v11 op_sel_hi:[1,0,1]
	;; [unrolled: 2-line block ×4, first 2 shown]
	ds_load_2addr_b64 v[64:67], v216 offset0:192 offset1:224
	ds_load_b128 v[88:91], v202 offset:992
	s_waitcnt lgkmcnt(4)
	v_pk_fma_f16 v6, v108, v105, v6 op_sel:[0,1,0]
	v_pk_fma_f16 v8, v109, v104, v8 op_sel_hi:[1,0,1]
	v_pk_fma_f16 v10, v109, v104, v10 op_sel:[0,1,0]
	v_pk_fma_f16 v11, v109, v105, v11 op_sel_hi:[1,0,1]
	;; [unrolled: 2-line block ×8, first 2 shown]
	ds_load_b128 v[24:27], v202 offset:1008
	s_waitcnt lgkmcnt(4)
	v_pk_fma_f16 v6, v96, v85, v6 op_sel:[0,1,0]
	v_pk_fma_f16 v8, v97, v84, v8 op_sel_hi:[1,0,1]
	v_pk_fma_f16 v10, v97, v84, v10 op_sel:[0,1,0]
	v_pk_fma_f16 v11, v97, v85, v11 op_sel_hi:[1,0,1]
	;; [unrolled: 2-line block ×4, first 2 shown]
	s_waitcnt lgkmcnt(0)
	s_barrier
	buffer_gl0_inv
	s_load_b32 s2, s[46:47], 0x4
	v_pk_fma_f16 v6, v98, v87, v6 op_sel:[0,1,0]
	v_pk_fma_f16 v8, v99, v86, v8 op_sel_hi:[1,0,1]
	v_pk_fma_f16 v10, v99, v86, v10 op_sel:[0,1,0]
	v_pk_fma_f16 v11, v99, v87, v11 op_sel_hi:[1,0,1]
	;; [unrolled: 2-line block ×16, first 2 shown]
	s_waitcnt lgkmcnt(0)
	s_lshl_b32 s2, s2, 7
	v_pk_fma_f16 v29, v66, v27, v6 op_sel:[0,1,0]
	v_pk_fma_f16 v35, v67, v26, v8 op_sel_hi:[1,0,1]
	v_pk_fma_f16 v33, v67, v26, v10 op_sel:[0,1,0]
	v_pk_fma_f16 v31, v67, v27, v11 op_sel_hi:[1,0,1]
	;; [unrolled: 2-line block ×4, first 2 shown]
	s_add_i32 s43, s2, s43
	s_delay_alu instid0(SALU_CYCLE_1)
	s_cmp_ge_i32 s43, s58
	s_cbranch_scc0 .LBB21_9
; %bb.10:
	v_mov_b32_e32 v6, v188
.LBB21_11:
	v_cmp_lt_i32_e32 vcc_lo, v194, v189
	s_cmp_lg_u64 s[44:45], 0
	s_cselect_b32 s2, -1, 0
	s_cmp_eq_u32 s14, 0
	v_cndmask_b32_e32 v4, v6, v194, vcc_lo
	v_cmp_lt_i32_e32 vcc_lo, v193, v189
	s_cselect_b32 s3, -1, 0
	s_delay_alu instid0(SALU_CYCLE_1) | instskip(SKIP_2) | instid1(VALU_DEP_2)
	s_and_b32 s2, s3, s2
	v_cndmask_b32_e32 v9, v6, v193, vcc_lo
	v_cmp_lt_i32_e32 vcc_lo, v192, v189
	v_lshlrev_b32_e32 v9, 2, v9
	v_lshlrev_b32_e32 v4, 2, v4
	ds_bpermute_b32 v5, v4, v218
	s_waitcnt lgkmcnt(0)
	v_add_f32_e32 v5, v218, v5
	ds_bpermute_b32 v7, v4, v219
	ds_bpermute_b32 v8, v4, v220
	;; [unrolled: 1-line block ×4, first 2 shown]
	s_waitcnt lgkmcnt(2)
	v_dual_add_f32 v7, v219, v7 :: v_dual_add_f32 v8, v220, v8
	s_waitcnt lgkmcnt(1)
	v_add_f32_e32 v4, v217, v4
	ds_bpermute_b32 v11, v9, v7
	ds_bpermute_b32 v12, v9, v8
	;; [unrolled: 1-line block ×3, first 2 shown]
	v_cndmask_b32_e32 v13, v6, v192, vcc_lo
	v_cmp_lt_i32_e32 vcc_lo, v191, v189
	s_waitcnt lgkmcnt(1)
	v_add_f32_e32 v8, v8, v12
	s_waitcnt lgkmcnt(0)
	v_add_f32_e32 v4, v4, v9
	v_lshlrev_b32_e32 v13, 2, v13
	ds_bpermute_b32 v12, v13, v4
	v_add_f32_e32 v7, v7, v11
	ds_bpermute_b32 v11, v13, v8
	s_waitcnt lgkmcnt(1)
	v_dual_add_f32 v5, v5, v10 :: v_dual_add_f32 v4, v4, v12
	ds_bpermute_b32 v10, v13, v7
	s_waitcnt lgkmcnt(1)
	v_add_f32_e32 v8, v8, v11
	ds_bpermute_b32 v9, v13, v5
	v_cndmask_b32_e32 v13, v6, v191, vcc_lo
	v_cmp_lt_i32_e32 vcc_lo, v190, v189
	v_cndmask_b32_e32 v6, v6, v190, vcc_lo
	s_and_b32 vcc_lo, exec_lo, s2
	s_delay_alu instid0(VALU_DEP_1)
	v_lshlrev_b32_e32 v6, 2, v6
	v_lshlrev_b32_e32 v13, 2, v13
	ds_bpermute_b32 v11, v13, v8
	s_waitcnt lgkmcnt(0)
	v_dual_add_f32 v5, v5, v9 :: v_dual_add_f32 v8, v8, v11
	ds_bpermute_b32 v9, v13, v5
	ds_bpermute_b32 v12, v13, v4
	;; [unrolled: 1-line block ×3, first 2 shown]
	s_waitcnt lgkmcnt(2)
	v_add_f32_e32 v5, v5, v9
	s_waitcnt lgkmcnt(1)
	v_add_f32_e32 v9, v4, v12
	ds_bpermute_b32 v4, v6, v5
	v_add_f32_e32 v7, v7, v10
	ds_bpermute_b32 v12, v6, v9
	s_waitcnt lgkmcnt(1)
	v_add_f32_e32 v4, v5, v4
	ds_bpermute_b32 v10, v13, v7
	s_waitcnt lgkmcnt(0)
	;; [unrolled: 3-line block ×3, first 2 shown]
	v_dual_add_f32 v6, v8, v11 :: v_dual_add_f32 v5, v7, v10
	v_add_f32_e32 v7, v9, v12
	s_cbranch_vccz .LBB21_14
; %bb.12:
	s_ashr_i32 s57, s56, 31
	v_dual_mov_b32 v8, 0 :: v_dual_max_f32 v13, v1, v1
	s_lshl_b64 s[2:3], s[56:57], 2
	s_delay_alu instid0(SALU_CYCLE_1)
	s_add_u32 s2, s44, s2
	s_addc_u32 s3, s45, s3
	global_load_b128 v[8:11], v8, s[2:3]
	v_max_f32_e32 v12, v0, v0
	s_waitcnt vmcnt(0)
	v_dual_max_f32 v14, v2, v2 :: v_dual_max_f32 v15, v8, v8
	v_dual_max_f32 v17, v9, v9 :: v_dual_max_f32 v16, v3, v3
	;; [unrolled: 1-line block ×3, first 2 shown]
	s_delay_alu instid0(VALU_DEP_2) | instskip(NEXT) | instid1(VALU_DEP_2)
	v_dual_max_f32 v13, v13, v17 :: v_dual_max_f32 v12, v12, v15
	v_dual_max_f32 v14, v14, v18 :: v_dual_max_f32 v15, v16, v19
	s_delay_alu instid0(VALU_DEP_2) | instskip(SKIP_1) | instid1(VALU_DEP_3)
	v_dual_sub_f32 v17, v1, v13 :: v_dual_sub_f32 v16, v0, v12
	v_dual_sub_f32 v9, v9, v13 :: v_dual_sub_f32 v8, v8, v12
	;; [unrolled: 1-line block ×3, first 2 shown]
	v_dual_sub_f32 v11, v11, v15 :: v_dual_mov_b32 v0, v12
	v_dual_mov_b32 v3, v15 :: v_dual_sub_f32 v10, v10, v14
	v_dual_mov_b32 v1, v13 :: v_dual_mov_b32 v2, v14
	v_mul_f32_e32 v13, 0x3fb8aa3b, v8
	v_dual_mul_f32 v12, 0x3fb8aa3b, v16 :: v_dual_mul_f32 v15, 0x3fb8aa3b, v9
	s_delay_alu instid0(VALU_DEP_4) | instskip(NEXT) | instid1(VALU_DEP_3)
	v_dual_mul_f32 v14, 0x3fb8aa3b, v17 :: v_dual_mul_f32 v21, 0x3fb8aa3b, v10
	v_fma_f32 v26, 0x3fb8aa3b, v8, -v13
	s_delay_alu instid0(VALU_DEP_3)
	v_fma_f32 v24, 0x3fb8aa3b, v16, -v12
	v_rndne_f32_e32 v25, v12
	v_rndne_f32_e32 v27, v13
	;; [unrolled: 1-line block ×3, first 2 shown]
	v_fma_f32 v38, 0x3fb8aa3b, v9, -v15
	v_fmac_f32_e32 v24, 0x32a5705f, v16
	v_sub_f32_e32 v12, v12, v25
	v_fma_f32 v42, 0x3fb8aa3b, v10, -v21
	v_sub_f32_e32 v15, v15, v39
	v_rndne_f32_e32 v43, v21
	v_dual_fmac_f32 v26, 0x32a5705f, v8 :: v_dual_sub_f32 v13, v13, v27
	v_add_f32_e32 v12, v12, v24
	v_dual_mul_f32 v20, 0x3fb8aa3b, v18 :: v_dual_mul_f32 v23, 0x3fb8aa3b, v11
	v_fma_f32 v36, 0x3fb8aa3b, v17, -v14
	v_rndne_f32_e32 v37, v14
	v_dual_fmac_f32 v42, 0x32a5705f, v10 :: v_dual_sub_f32 v21, v21, v43
	v_dual_mul_f32 v22, 0x3fb8aa3b, v19 :: v_dual_add_f32 v13, v13, v26
	v_exp_f32_e32 v12, v12
	v_rndne_f32_e32 v47, v23
	v_cvt_i32_f32_e32 v25, v25
	v_fmac_f32_e32 v36, 0x32a5705f, v17
	v_dual_fmac_f32 v38, 0x32a5705f, v9 :: v_dual_add_f32 v21, v21, v42
	v_sub_f32_e32 v14, v14, v37
	v_exp_f32_e32 v13, v13
	v_fma_f32 v40, 0x3fb8aa3b, v18, -v20
	s_delay_alu instid0(VALU_DEP_3)
	v_add_f32_e32 v15, v15, v38
	v_rndne_f32_e32 v41, v20
	v_fma_f32 v46, 0x3fb8aa3b, v11, -v23
	v_cvt_i32_f32_e32 v27, v27
	v_dual_sub_f32 v23, v23, v47 :: v_dual_add_f32 v14, v14, v36
	v_ldexp_f32 v12, v12, v25
	v_cmp_ngt_f32_e32 vcc_lo, 0xc2ce8ed0, v16
	v_fmac_f32_e32 v46, 0x32a5705f, v11
	v_sub_f32_e32 v20, v20, v41
	v_exp_f32_e32 v14, v14
	v_ldexp_f32 v13, v13, v27
	v_cndmask_b32_e32 v12, 0, v12, vcc_lo
	v_cmp_ngt_f32_e32 vcc_lo, 0xc2ce8ed0, v8
	v_fmac_f32_e32 v40, 0x32a5705f, v18
	v_cvt_i32_f32_e32 v37, v37
	v_add_f32_e32 v23, v23, v46
	v_exp_f32_e32 v15, v15
	s_delay_alu instid0(VALU_DEP_3)
	v_dual_cndmask_b32 v13, 0, v13 :: v_dual_add_f32 v20, v20, v40
	v_cvt_i32_f32_e32 v39, v39
	v_ldexp_f32 v14, v14, v37
	v_cmp_ngt_f32_e32 vcc_lo, 0xc2ce8ed0, v17
	v_cvt_i32_f32_e32 v41, v41
	v_exp_f32_e32 v20, v20
	v_exp_f32_e32 v21, v21
	;; [unrolled: 1-line block ×3, first 2 shown]
	v_ldexp_f32 v15, v15, v39
	v_cndmask_b32_e32 v14, 0, v14, vcc_lo
	v_cmp_ngt_f32_e32 vcc_lo, 0xc2ce8ed0, v9
	v_fma_f32 v44, 0x3fb8aa3b, v19, -v22
	v_rndne_f32_e32 v45, v22
	v_cvt_i32_f32_e32 v43, v43
	v_cvt_i32_f32_e32 v26, v47
	v_ldexp_f32 v20, v20, v41
	v_cndmask_b32_e32 v15, 0, v15, vcc_lo
	v_cmp_ngt_f32_e32 vcc_lo, 0xc2ce8ed0, v18
	v_ldexp_f32 v21, v21, v43
	v_ldexp_f32 v23, v23, v26
	v_sub_f32_e32 v22, v22, v45
	v_cvt_i32_f32_e32 v24, v45
	v_cndmask_b32_e32 v20, 0, v20, vcc_lo
	v_cmp_ngt_f32_e32 vcc_lo, 0xc2ce8ed0, v10
	v_dual_fmac_f32 v44, 0x32a5705f, v19 :: v_dual_cndmask_b32 v21, 0, v21
	s_delay_alu instid0(VALU_DEP_1) | instskip(SKIP_1) | instid1(VALU_DEP_2)
	v_add_f32_e32 v22, v22, v44
	v_cmp_ngt_f32_e32 vcc_lo, 0xc2ce8ed0, v19
	v_exp_f32_e32 v22, v22
	s_waitcnt_depctr 0xfff
	v_ldexp_f32 v22, v22, v24
	s_delay_alu instid0(VALU_DEP_1)
	v_cndmask_b32_e32 v22, 0, v22, vcc_lo
	v_cmp_ngt_f32_e32 vcc_lo, 0xc2ce8ed0, v11
	v_cndmask_b32_e32 v23, 0, v23, vcc_lo
	v_cmp_nlt_f32_e32 vcc_lo, 0x42b17218, v16
	v_cndmask_b32_e32 v12, 0x7f800000, v12, vcc_lo
	v_cmp_nlt_f32_e32 vcc_lo, 0x42b17218, v8
	;; [unrolled: 2-line block ×3, first 2 shown]
	s_delay_alu instid0(VALU_DEP_2) | instskip(SKIP_4) | instid1(VALU_DEP_3)
	v_dual_fmac_f32 v8, v4, v12 :: v_dual_cndmask_b32 v13, 0x7f800000, v14
	v_cmp_nlt_f32_e32 vcc_lo, 0x42b17218, v9
	v_cvt_f16_f32_e32 v4, v12
	v_cndmask_b32_e32 v9, 0x7f800000, v15, vcc_lo
	v_cmp_nlt_f32_e32 vcc_lo, 0x42b17218, v18
	v_pk_mul_f16 v34, v4, v34 op_sel_hi:[0,1]
	v_pk_mul_f16 v35, v4, v35 op_sel_hi:[0,1]
	s_delay_alu instid0(VALU_DEP_4)
	v_dual_mov_b32 v4, v8 :: v_dual_fmac_f32 v9, v5, v13
	v_cndmask_b32_e32 v14, 0x7f800000, v20, vcc_lo
	v_cmp_nlt_f32_e32 vcc_lo, 0x42b17218, v10
	v_cvt_f16_f32_e32 v5, v13
	v_cndmask_b32_e32 v10, 0x7f800000, v21, vcc_lo
	v_cmp_nlt_f32_e32 vcc_lo, 0x42b17218, v19
	s_delay_alu instid0(VALU_DEP_3) | instskip(SKIP_1) | instid1(VALU_DEP_4)
	v_pk_mul_f16 v32, v5, v32 op_sel_hi:[0,1]
	v_pk_mul_f16 v33, v5, v33 op_sel_hi:[0,1]
	v_dual_mov_b32 v5, v9 :: v_dual_fmac_f32 v10, v6, v14
	v_cndmask_b32_e32 v15, 0x7f800000, v22, vcc_lo
	v_cmp_nlt_f32_e32 vcc_lo, 0x42b17218, v11
	v_cvt_f16_f32_e32 v6, v14
	v_cndmask_b32_e32 v11, 0x7f800000, v23, vcc_lo
	s_delay_alu instid0(VALU_DEP_2) | instskip(SKIP_1) | instid1(VALU_DEP_3)
	v_pk_mul_f16 v30, v6, v30 op_sel_hi:[0,1]
	v_pk_mul_f16 v31, v6, v31 op_sel_hi:[0,1]
	v_dual_mov_b32 v6, v10 :: v_dual_fmac_f32 v11, v7, v15
	v_cvt_f16_f32_e32 v7, v15
	s_delay_alu instid0(VALU_DEP_1) | instskip(SKIP_1) | instid1(VALU_DEP_4)
	v_pk_mul_f16 v29, v7, v29 op_sel_hi:[0,1]
	v_pk_mul_f16 v28, v7, v28 op_sel_hi:[0,1]
	v_mov_b32_e32 v7, v11
	s_mov_b32 s2, exec_lo
	v_cmpx_gt_i32_e64 s54, v168
	s_cbranch_execnz .LBB21_15
.LBB21_13:
	s_nop 0
	s_sendmsg sendmsg(MSG_DEALLOC_VGPRS)
	s_endpgm
.LBB21_14:
	s_delay_alu instid0(VALU_DEP_1) | instskip(NEXT) | instid1(VALU_DEP_3)
	v_dual_mov_b32 v11, v7 :: v_dual_mov_b32 v10, v6
	v_dual_mov_b32 v9, v5 :: v_dual_mov_b32 v8, v4
	s_mov_b32 s2, exec_lo
	v_cmpx_gt_i32_e64 s54, v168
	s_cbranch_execz .LBB21_13
.LBB21_15:
	s_load_b32 s1, s[0:1], 0xd4
	v_mov_b32_e32 v14, 1.0
	s_waitcnt lgkmcnt(0)
	s_cmp_lg_u32 s1, 1
	s_cselect_b32 s3, -1, 0
	s_cmp_eq_u32 s1, 1
	s_cselect_b32 s2, -1, 0
	s_and_b32 vcc_lo, exec_lo, s3
	s_cbranch_vccnz .LBB21_17
; %bb.16:
	v_div_scale_f32 v12, null, v4, v4, 1.0
	s_delay_alu instid0(VALU_DEP_1) | instskip(SKIP_2) | instid1(VALU_DEP_1)
	v_rcp_f32_e32 v13, v12
	s_waitcnt_depctr 0xfff
	v_fma_f32 v14, -v12, v13, 1.0
	v_fmac_f32_e32 v13, v14, v13
	v_div_scale_f32 v14, vcc_lo, 1.0, v4, 1.0
	s_delay_alu instid0(VALU_DEP_1) | instskip(NEXT) | instid1(VALU_DEP_1)
	v_mul_f32_e32 v15, v14, v13
	v_fma_f32 v16, -v12, v15, v14
	s_delay_alu instid0(VALU_DEP_1) | instskip(NEXT) | instid1(VALU_DEP_1)
	v_fmac_f32_e32 v15, v16, v13
	v_fma_f32 v12, -v12, v15, v14
	s_delay_alu instid0(VALU_DEP_1) | instskip(NEXT) | instid1(VALU_DEP_1)
	v_div_fmas_f32 v12, v12, v13, v15
	v_div_fixup_f32 v14, v12, v4, 1.0
.LBB21_17:
	v_mad_u64_u32 v[12:13], null, s62, s54, v[168:169]
	v_cvt_f32_f16_e32 v17, v34
	v_lshrrev_b32_e32 v4, 16, v34
	v_cvt_f32_f16_e32 v18, v35
	v_cmp_eq_u32_e32 vcc_lo, 0, v169
	s_delay_alu instid0(VALU_DEP_3) | instskip(SKIP_2) | instid1(VALU_DEP_2)
	v_cvt_f32_f16_e32 v4, v4
	v_mad_u64_u32 v[15:16], null, v12, s55, s[56:57]
	v_mov_b32_e32 v16, 0
	v_mad_u64_u32 v[12:13], null, s1, v15, s[14:15]
	v_lshrrev_b32_e32 v13, 16, v35
	s_delay_alu instid0(VALU_DEP_1) | instskip(NEXT) | instid1(VALU_DEP_3)
	v_cvt_f32_f16_e32 v13, v13
	v_lshl_add_u32 v15, v12, 7, v187
	s_delay_alu instid0(VALU_DEP_1)
	v_lshlrev_b64 v[19:20], 2, v[15:16]
	v_mul_f32_e32 v15, v14, v17
	v_mul_f32_e32 v17, v14, v18
	v_mul_f32_e32 v18, v14, v13
	v_mul_f32_e32 v16, v14, v4
	v_add_co_u32 v13, s0, s48, v19
	s_delay_alu instid0(VALU_DEP_1)
	v_add_co_ci_u32_e64 v14, s0, s49, v20, s0
	s_and_b32 s0, vcc_lo, s3
	global_store_b128 v[13:14], v[15:18], off
	s_and_saveexec_b32 s3, s0
	s_cbranch_execz .LBB21_19
; %bb.18:
	v_ashrrev_i32_e32 v13, 31, v12
	v_mov_b32_e32 v15, v0
	v_mov_b32_e32 v16, v8
	s_delay_alu instid0(VALU_DEP_3) | instskip(NEXT) | instid1(VALU_DEP_1)
	v_lshlrev_b64 v[13:14], 3, v[12:13]
	v_add_co_u32 v13, vcc_lo, s50, v13
	s_delay_alu instid0(VALU_DEP_2)
	v_add_co_ci_u32_e32 v14, vcc_lo, s51, v14, vcc_lo
	global_store_b64 v[13:14], v[15:16], off
.LBB21_19:
	s_or_b32 exec_lo, exec_lo, s3
	v_cndmask_b32_e64 v13, 0, 1, s2
	v_mov_b32_e32 v0, 1.0
	s_and_not1_b32 vcc_lo, exec_lo, s2
	s_cbranch_vccnz .LBB21_21
; %bb.20:
	v_div_scale_f32 v0, null, v5, v5, 1.0
	s_delay_alu instid0(VALU_DEP_1) | instskip(SKIP_2) | instid1(VALU_DEP_1)
	v_rcp_f32_e32 v4, v0
	s_waitcnt_depctr 0xfff
	v_fma_f32 v8, -v0, v4, 1.0
	v_fmac_f32_e32 v4, v8, v4
	v_div_scale_f32 v8, vcc_lo, 1.0, v5, 1.0
	s_delay_alu instid0(VALU_DEP_1) | instskip(NEXT) | instid1(VALU_DEP_1)
	v_mul_f32_e32 v14, v8, v4
	v_fma_f32 v15, -v0, v14, v8
	s_delay_alu instid0(VALU_DEP_1) | instskip(NEXT) | instid1(VALU_DEP_1)
	v_fmac_f32_e32 v14, v15, v4
	v_fma_f32 v0, -v0, v14, v8
	s_delay_alu instid0(VALU_DEP_1) | instskip(NEXT) | instid1(VALU_DEP_1)
	v_div_fmas_f32 v0, v0, v4, v14
	v_div_fixup_f32 v0, v0, v5, 1.0
.LBB21_21:
	v_dual_mov_b32 v15, 0 :: v_dual_add_nc_u32 v4, s1, v12
	v_lshrrev_b32_e32 v5, 16, v32
	v_lshrrev_b32_e32 v8, 16, v33
	v_cvt_f32_f16_e32 v12, v32
	s_delay_alu instid0(VALU_DEP_4) | instskip(SKIP_3) | instid1(VALU_DEP_4)
	v_lshl_add_u32 v14, v4, 7, v187
	v_cvt_f32_f16_e32 v16, v33
	v_cvt_f32_f16_e32 v5, v5
	;; [unrolled: 1-line block ×3, first 2 shown]
	v_lshlrev_b64 v[18:19], 2, v[14:15]
	v_mul_f32_e32 v14, v0, v12
	v_mul_f32_e32 v16, v0, v16
	;; [unrolled: 1-line block ×4, first 2 shown]
	v_add_co_u32 v18, vcc_lo, s48, v18
	v_add_co_ci_u32_e32 v19, vcc_lo, s49, v19, vcc_lo
	global_store_b128 v[18:19], v[14:17], off
	s_and_saveexec_b32 s2, s0
	s_cbranch_execz .LBB21_23
; %bb.22:
	v_ashrrev_i32_e32 v5, 31, v4
	v_mov_b32_e32 v8, v1
	s_delay_alu instid0(VALU_DEP_2) | instskip(NEXT) | instid1(VALU_DEP_1)
	v_lshlrev_b64 v[14:15], 3, v[4:5]
	v_add_co_u32 v14, vcc_lo, s50, v14
	s_delay_alu instid0(VALU_DEP_2)
	v_add_co_ci_u32_e32 v15, vcc_lo, s51, v15, vcc_lo
	global_store_b64 v[14:15], v[8:9], off
.LBB21_23:
	s_or_b32 exec_lo, exec_lo, s2
	v_cmp_ne_u32_e32 vcc_lo, 1, v13
	v_mov_b32_e32 v1, 1.0
	s_cbranch_vccnz .LBB21_25
; %bb.24:
	v_div_scale_f32 v0, null, v6, v6, 1.0
	s_delay_alu instid0(VALU_DEP_1) | instskip(SKIP_2) | instid1(VALU_DEP_1)
	v_rcp_f32_e32 v1, v0
	s_waitcnt_depctr 0xfff
	v_fma_f32 v5, -v0, v1, 1.0
	v_fmac_f32_e32 v1, v5, v1
	v_div_scale_f32 v5, vcc_lo, 1.0, v6, 1.0
	s_delay_alu instid0(VALU_DEP_1) | instskip(NEXT) | instid1(VALU_DEP_1)
	v_mul_f32_e32 v8, v5, v1
	v_fma_f32 v9, -v0, v8, v5
	s_delay_alu instid0(VALU_DEP_1) | instskip(NEXT) | instid1(VALU_DEP_1)
	v_fmac_f32_e32 v8, v9, v1
	v_fma_f32 v0, -v0, v8, v5
	s_delay_alu instid0(VALU_DEP_1) | instskip(NEXT) | instid1(VALU_DEP_1)
	v_div_fmas_f32 v0, v0, v1, v8
	v_div_fixup_f32 v1, v0, v6, 1.0
.LBB21_25:
	v_dual_mov_b32 v5, 0 :: v_dual_add_nc_u32 v0, s1, v4
	v_lshrrev_b32_e32 v6, 16, v30
	v_lshrrev_b32_e32 v8, 16, v31
	v_cvt_f32_f16_e32 v9, v30
	s_delay_alu instid0(VALU_DEP_4)
	v_lshl_add_u32 v4, v0, 7, v187
	v_cvt_f32_f16_e32 v12, v31
	v_cvt_f32_f16_e32 v6, v6
	;; [unrolled: 1-line block ×3, first 2 shown]
	v_mul_f32_e32 v14, v1, v9
	v_lshlrev_b64 v[4:5], 2, v[4:5]
	v_mul_f32_e32 v16, v1, v12
	v_mul_f32_e32 v15, v1, v6
	v_mul_f32_e32 v17, v1, v8
	s_delay_alu instid0(VALU_DEP_4)
	v_add_co_u32 v4, vcc_lo, s48, v4
	v_add_co_ci_u32_e32 v5, vcc_lo, s49, v5, vcc_lo
	global_store_b128 v[4:5], v[14:17], off
	s_and_saveexec_b32 s2, s0
	s_cbranch_execz .LBB21_27
; %bb.26:
	v_ashrrev_i32_e32 v1, 31, v0
	v_mov_b32_e32 v9, v2
	s_delay_alu instid0(VALU_DEP_2) | instskip(NEXT) | instid1(VALU_DEP_1)
	v_lshlrev_b64 v[4:5], 3, v[0:1]
	v_add_co_u32 v4, vcc_lo, s50, v4
	s_delay_alu instid0(VALU_DEP_2)
	v_add_co_ci_u32_e32 v5, vcc_lo, s51, v5, vcc_lo
	global_store_b64 v[4:5], v[9:10], off
.LBB21_27:
	s_or_b32 exec_lo, exec_lo, s2
	v_cmp_ne_u32_e32 vcc_lo, 1, v13
	v_mov_b32_e32 v1, 1.0
	s_cbranch_vccnz .LBB21_29
; %bb.28:
	v_div_scale_f32 v1, null, v7, v7, 1.0
	s_delay_alu instid0(VALU_DEP_1) | instskip(SKIP_2) | instid1(VALU_DEP_1)
	v_rcp_f32_e32 v2, v1
	s_waitcnt_depctr 0xfff
	v_fma_f32 v4, -v1, v2, 1.0
	v_fmac_f32_e32 v2, v4, v2
	v_div_scale_f32 v4, vcc_lo, 1.0, v7, 1.0
	s_delay_alu instid0(VALU_DEP_1) | instskip(NEXT) | instid1(VALU_DEP_1)
	v_mul_f32_e32 v5, v4, v2
	v_fma_f32 v6, -v1, v5, v4
	s_delay_alu instid0(VALU_DEP_1) | instskip(NEXT) | instid1(VALU_DEP_1)
	v_fmac_f32_e32 v5, v6, v2
	v_fma_f32 v1, -v1, v5, v4
	s_delay_alu instid0(VALU_DEP_1) | instskip(NEXT) | instid1(VALU_DEP_1)
	v_div_fmas_f32 v1, v1, v2, v5
	v_div_fixup_f32 v1, v1, v7, 1.0
.LBB21_29:
	v_dual_mov_b32 v5, 0 :: v_dual_add_nc_u32 v0, s1, v0
	v_lshrrev_b32_e32 v2, 16, v29
	v_lshrrev_b32_e32 v6, 16, v28
	v_cvt_f32_f16_e32 v7, v29
	s_delay_alu instid0(VALU_DEP_4) | instskip(SKIP_3) | instid1(VALU_DEP_4)
	v_lshl_add_u32 v4, v0, 7, v187
	v_cvt_f32_f16_e32 v10, v28
	v_cvt_f32_f16_e32 v2, v2
	;; [unrolled: 1-line block ×3, first 2 shown]
	v_lshlrev_b64 v[8:9], 2, v[4:5]
	v_mul_f32_e32 v4, v1, v7
	v_mul_f32_e32 v6, v1, v10
	;; [unrolled: 1-line block ×4, first 2 shown]
	v_add_co_u32 v1, vcc_lo, s48, v8
	v_add_co_ci_u32_e32 v2, vcc_lo, s49, v9, vcc_lo
	global_store_b128 v[1:2], v[4:7], off
	s_and_b32 exec_lo, exec_lo, s0
	s_cbranch_execz .LBB21_13
; %bb.30:
	v_ashrrev_i32_e32 v1, 31, v0
	v_mov_b32_e32 v10, v3
	s_delay_alu instid0(VALU_DEP_2) | instskip(NEXT) | instid1(VALU_DEP_1)
	v_lshlrev_b64 v[0:1], 3, v[0:1]
	v_add_co_u32 v0, vcc_lo, s50, v0
	s_delay_alu instid0(VALU_DEP_2)
	v_add_co_ci_u32_e32 v1, vcc_lo, s51, v1, vcc_lo
	global_store_b64 v[0:1], v[10:11], off
	s_nop 0
	s_sendmsg sendmsg(MSG_DEALLOC_VGPRS)
	s_endpgm
	.section	.rodata,"a",@progbits
	.p2align	6, 0x0
	.amdhsa_kernel _ZL15flash_attn_tileILi128ELi128ELi8ELi4ELb0EEvPKcS1_S1_S1_S1_PKiPfP15HIP_vector_typeIfLj2EEffffjfiS5_IjLj3EEiiiiiiiiiiiliiliiiiil
		.amdhsa_group_segment_fixed_size 34816
		.amdhsa_private_segment_fixed_size 0
		.amdhsa_kernarg_size 464
		.amdhsa_user_sgpr_count 13
		.amdhsa_user_sgpr_dispatch_ptr 0
		.amdhsa_user_sgpr_queue_ptr 0
		.amdhsa_user_sgpr_kernarg_segment_ptr 1
		.amdhsa_user_sgpr_dispatch_id 0
		.amdhsa_user_sgpr_private_segment_size 0
		.amdhsa_wavefront_size32 1
		.amdhsa_uses_dynamic_stack 0
		.amdhsa_enable_private_segment 0
		.amdhsa_system_sgpr_workgroup_id_x 1
		.amdhsa_system_sgpr_workgroup_id_y 1
		.amdhsa_system_sgpr_workgroup_id_z 1
		.amdhsa_system_sgpr_workgroup_info 0
		.amdhsa_system_vgpr_workitem_id 1
		.amdhsa_next_free_vgpr 242
		.amdhsa_next_free_sgpr 65
		.amdhsa_reserve_vcc 1
		.amdhsa_float_round_mode_32 0
		.amdhsa_float_round_mode_16_64 0
		.amdhsa_float_denorm_mode_32 3
		.amdhsa_float_denorm_mode_16_64 3
		.amdhsa_dx10_clamp 1
		.amdhsa_ieee_mode 1
		.amdhsa_fp16_overflow 0
		.amdhsa_workgroup_processor_mode 1
		.amdhsa_memory_ordered 1
		.amdhsa_forward_progress 0
		.amdhsa_shared_vgpr_count 0
		.amdhsa_exception_fp_ieee_invalid_op 0
		.amdhsa_exception_fp_denorm_src 0
		.amdhsa_exception_fp_ieee_div_zero 0
		.amdhsa_exception_fp_ieee_overflow 0
		.amdhsa_exception_fp_ieee_underflow 0
		.amdhsa_exception_fp_ieee_inexact 0
		.amdhsa_exception_int_div_zero 0
	.end_amdhsa_kernel
	.section	.text._ZL15flash_attn_tileILi128ELi128ELi8ELi4ELb0EEvPKcS1_S1_S1_S1_PKiPfP15HIP_vector_typeIfLj2EEffffjfiS5_IjLj3EEiiiiiiiiiiiliiliiiiil,"axG",@progbits,_ZL15flash_attn_tileILi128ELi128ELi8ELi4ELb0EEvPKcS1_S1_S1_S1_PKiPfP15HIP_vector_typeIfLj2EEffffjfiS5_IjLj3EEiiiiiiiiiiiliiliiiiil,comdat
.Lfunc_end21:
	.size	_ZL15flash_attn_tileILi128ELi128ELi8ELi4ELb0EEvPKcS1_S1_S1_S1_PKiPfP15HIP_vector_typeIfLj2EEffffjfiS5_IjLj3EEiiiiiiiiiiiliiliiiiil, .Lfunc_end21-_ZL15flash_attn_tileILi128ELi128ELi8ELi4ELb0EEvPKcS1_S1_S1_S1_PKiPfP15HIP_vector_typeIfLj2EEffffjfiS5_IjLj3EEiiiiiiiiiiiliiliiiiil
                                        ; -- End function
	.section	.AMDGPU.csdata,"",@progbits
; Kernel info:
; codeLenInByte = 40152
; NumSgprs: 67
; NumVgprs: 242
; ScratchSize: 0
; MemoryBound: 0
; FloatMode: 240
; IeeeMode: 1
; LDSByteSize: 34816 bytes/workgroup (compile time only)
; SGPRBlocks: 8
; VGPRBlocks: 30
; NumSGPRsForWavesPerEU: 67
; NumVGPRsForWavesPerEU: 242
; Occupancy: 5
; WaveLimiterHint : 1
; COMPUTE_PGM_RSRC2:SCRATCH_EN: 0
; COMPUTE_PGM_RSRC2:USER_SGPR: 13
; COMPUTE_PGM_RSRC2:TRAP_HANDLER: 0
; COMPUTE_PGM_RSRC2:TGID_X_EN: 1
; COMPUTE_PGM_RSRC2:TGID_Y_EN: 1
; COMPUTE_PGM_RSRC2:TGID_Z_EN: 1
; COMPUTE_PGM_RSRC2:TIDIG_COMP_CNT: 1
	.section	.text._ZL33flash_attn_stream_k_fixup_uniformILi128ELi8ELi4EEvPfPK15HIP_vector_typeIfLj2EEiiiiiiS1_IjLj3EES5_S5_,"axG",@progbits,_ZL33flash_attn_stream_k_fixup_uniformILi128ELi8ELi4EEvPfPK15HIP_vector_typeIfLj2EEiiiiiiS1_IjLj3EES5_S5_,comdat
	.globl	_ZL33flash_attn_stream_k_fixup_uniformILi128ELi8ELi4EEvPfPK15HIP_vector_typeIfLj2EEiiiiiiS1_IjLj3EES5_S5_ ; -- Begin function _ZL33flash_attn_stream_k_fixup_uniformILi128ELi8ELi4EEvPfPK15HIP_vector_typeIfLj2EEiiiiiiS1_IjLj3EES5_S5_
	.p2align	8
	.type	_ZL33flash_attn_stream_k_fixup_uniformILi128ELi8ELi4EEvPfPK15HIP_vector_typeIfLj2EEiiiiiiS1_IjLj3EES5_S5_,@function
_ZL33flash_attn_stream_k_fixup_uniformILi128ELi8ELi4EEvPfPK15HIP_vector_typeIfLj2EEiiiiiiS1_IjLj3EES5_S5_: ; @_ZL33flash_attn_stream_k_fixup_uniformILi128ELi8ELi4EEvPfPK15HIP_vector_typeIfLj2EEiiiiiiS1_IjLj3EES5_S5_
; %bb.0:
	s_clause 0x1
	s_load_b256 s[4:11], s[0:1], 0x1c
	s_load_b128 s[16:19], s[0:1], 0x3c
	s_waitcnt lgkmcnt(0)
	s_mul_hi_u32 s2, s7, s13
	s_delay_alu instid0(SALU_CYCLE_1) | instskip(NEXT) | instid1(SALU_CYCLE_1)
	s_add_i32 s2, s13, s2
	s_lshr_b32 s2, s2, s8
	s_delay_alu instid0(SALU_CYCLE_1) | instskip(SKIP_2) | instid1(SALU_CYCLE_1)
	s_mul_i32 s3, s2, s9
	s_load_b64 s[8:9], s[0:1], 0x10
	s_sub_i32 s7, s13, s3
	s_mul_hi_u32 s3, s7, s10
	s_delay_alu instid0(SALU_CYCLE_1) | instskip(NEXT) | instid1(SALU_CYCLE_1)
	s_add_i32 s3, s7, s3
	s_lshr_b32 s3, s3, s11
	s_delay_alu instid0(SALU_CYCLE_1) | instskip(NEXT) | instid1(SALU_CYCLE_1)
	s_mul_i32 s10, s3, s16
	s_sub_i32 s7, s7, s10
	s_delay_alu instid0(SALU_CYCLE_1) | instskip(NEXT) | instid1(SALU_CYCLE_1)
	s_mul_hi_u32 s10, s7, s17
	s_add_i32 s10, s7, s10
	s_delay_alu instid0(SALU_CYCLE_1) | instskip(NEXT) | instid1(SALU_CYCLE_1)
	s_lshr_b32 s10, s10, s18
	s_mul_i32 s11, s10, s19
	s_lshl_b32 s10, s10, 2
	s_sub_i32 s7, s7, s11
	s_delay_alu instid0(SALU_CYCLE_1) | instskip(NEXT) | instid1(SALU_CYCLE_1)
	s_lshl_b32 s11, s7, 3
	s_add_i32 s11, s11, s14
	s_waitcnt lgkmcnt(0)
	s_cmp_lt_i32 s11, s8
	s_cselect_b32 s11, -1, 0
	s_add_i32 s12, s10, s15
	s_delay_alu instid0(SALU_CYCLE_1) | instskip(SKIP_1) | instid1(SALU_CYCLE_1)
	s_cmp_lt_i32 s12, s5
	s_cselect_b32 s12, -1, 0
	s_and_b32 s11, s11, s12
	s_delay_alu instid0(SALU_CYCLE_1)
	s_and_not1_b32 vcc_lo, exec_lo, s11
	s_cbranch_vccnz .LBB22_6
; %bb.1:
	s_mul_i32 s2, s2, s8
	s_mul_i32 s5, s3, s5
	s_add_i32 s2, s2, s14
	s_mul_i32 s7, s9, s7
	s_mul_i32 s2, s2, s9
	s_lshl_b32 s7, s7, 10
	s_add_i32 s8, s2, s15
	s_load_b128 s[0:3], s[0:1], 0x0
	s_add_i32 s5, s8, s5
	s_lshl_b32 s9, s14, 2
	s_add_i32 s5, s5, s10
	s_delay_alu instid0(SALU_CYCLE_1) | instskip(NEXT) | instid1(SALU_CYCLE_1)
	s_lshl_b32 s5, s5, 7
	s_add_i32 s7, s7, s5
	s_mul_i32 s5, s13, s6
	v_or_b32_e32 v1, s7, v0
	s_add_i32 s10, s5, s6
	s_delay_alu instid0(VALU_DEP_1) | instskip(NEXT) | instid1(VALU_DEP_1)
	v_ashrrev_i32_e32 v2, 31, v1
	v_lshlrev_b64 v[1:2], 2, v[1:2]
	s_waitcnt lgkmcnt(0)
	s_delay_alu instid0(VALU_DEP_1) | instskip(NEXT) | instid1(VALU_DEP_2)
	v_add_co_u32 v1, vcc_lo, s0, v1
	v_add_co_ci_u32_e32 v2, vcc_lo, s1, v2, vcc_lo
	s_add_i32 s0, s9, s15
	s_lshl_b32 s1, s10, 5
	s_delay_alu instid0(SALU_CYCLE_1) | instskip(SKIP_2) | instid1(SALU_CYCLE_1)
	s_add_i32 s0, s0, s1
	global_load_b32 v5, v[1:2], off
	s_sub_i32 s0, s0, 32
	s_ashr_i32 s1, s0, 31
	s_delay_alu instid0(SALU_CYCLE_1) | instskip(NEXT) | instid1(SALU_CYCLE_1)
	s_lshl_b64 s[0:1], s[0:1], 3
	s_add_u32 s0, s2, s0
	s_addc_u32 s1, s3, s1
	s_add_i32 s7, s10, -2
	s_load_b32 s11, s[0:1], 0x4
	s_cmp_lt_i32 s7, s5
	s_cbranch_scc1 .LBB22_4
; %bb.2:
	s_lshl_b32 s16, s4, 7
	s_load_b32 s12, s[0:1], 0x0
	s_ashr_i32 s17, s16, 31
	s_delay_alu instid0(SALU_CYCLE_1) | instskip(NEXT) | instid1(SALU_CYCLE_1)
	s_lshl_b64 s[0:1], s[16:17], 2
	s_add_u32 s7, s2, s0
	s_addc_u32 s8, s3, s1
	s_add_i32 s13, s13, 1
	s_lshl_b32 s0, s14, 9
	s_lshl_b32 s1, s15, 7
	s_mul_i32 s6, s6, s13
	s_add_i32 s0, s1, s0
	s_lshl_b32 s1, s6, 12
	s_delay_alu instid0(SALU_CYCLE_1)
	s_add_i32 s0, s0, s1
	s_lshl_b32 s1, s6, 5
	v_or_b32_e32 v0, s0, v0
	s_lshl_b32 s0, s4, 5
	s_add_i32 s1, s15, s1
	s_waitcnt lgkmcnt(0)
	v_mov_b32_e32 v6, s11
	s_add_i32 s0, s1, s0
	v_dual_mov_b32 v0, s12 :: v_dual_add_nc_u32 v3, 0xffffe000, v0
	s_add_i32 s0, s0, s9
	s_add_i32 s4, s10, -1
	s_sub_i32 s0, s0, 64
.LBB22_3:                               ; =>This Inner Loop Header: Depth=1
	s_delay_alu instid0(VALU_DEP_1) | instskip(SKIP_1) | instid1(SALU_CYCLE_1)
	v_ashrrev_i32_e32 v4, 31, v3
	s_ashr_i32 s1, s0, 31
	s_lshl_b64 s[10:11], s[0:1], 3
	s_delay_alu instid0(SALU_CYCLE_1) | instskip(NEXT) | instid1(VALU_DEP_1)
	s_add_u32 s10, s2, s10
	v_lshlrev_b64 v[7:8], 2, v[3:4]
	s_addc_u32 s11, s3, s11
	s_add_i32 s4, s4, -1
	s_sub_i32 s0, s0, 32
	s_cmp_le_i32 s4, s5
	s_load_b64 s[10:11], s[10:11], 0x0
	v_add_co_u32 v7, vcc_lo, s7, v7
	v_add_co_ci_u32_e32 v8, vcc_lo, s8, v8, vcc_lo
	global_load_b32 v4, v[7:8], off
	v_max_f32_e32 v7, v0, v0
	s_waitcnt lgkmcnt(0)
	v_max_f32_e64 v8, s10, s10
	s_delay_alu instid0(VALU_DEP_1) | instskip(NEXT) | instid1(VALU_DEP_1)
	v_max_f32_e32 v7, v7, v8
	v_sub_f32_e32 v8, s10, v7
	s_delay_alu instid0(VALU_DEP_1) | instskip(NEXT) | instid1(VALU_DEP_1)
	v_dual_sub_f32 v0, v0, v7 :: v_dual_mul_f32 v9, 0x3fb8aa3b, v8
	v_fma_f32 v10, 0x3fb8aa3b, v8, -v9
	v_rndne_f32_e32 v11, v9
	s_delay_alu instid0(VALU_DEP_3) | instskip(NEXT) | instid1(VALU_DEP_2)
	v_mul_f32_e32 v12, 0x3fb8aa3b, v0
	v_dual_fmac_f32 v10, 0x32a5705f, v8 :: v_dual_sub_f32 v9, v9, v11
	v_cvt_i32_f32_e32 v11, v11
	s_delay_alu instid0(VALU_DEP_3) | instskip(SKIP_1) | instid1(VALU_DEP_4)
	v_fma_f32 v13, 0x3fb8aa3b, v0, -v12
	v_rndne_f32_e32 v14, v12
	v_add_f32_e32 v9, v9, v10
	v_cmp_ngt_f32_e32 vcc_lo, 0xc2ce8ed0, v8
	s_delay_alu instid0(VALU_DEP_3) | instskip(NEXT) | instid1(VALU_DEP_3)
	v_sub_f32_e32 v10, v12, v14
	v_exp_f32_e32 v9, v9
	s_waitcnt_depctr 0xfff
	v_ldexp_f32 v9, v9, v11
	v_cvt_i32_f32_e32 v11, v14
	s_delay_alu instid0(VALU_DEP_2) | instskip(SKIP_1) | instid1(VALU_DEP_2)
	v_cndmask_b32_e32 v9, 0, v9, vcc_lo
	v_cmp_nlt_f32_e32 vcc_lo, 0x42b17218, v8
	v_cndmask_b32_e32 v9, 0x7f800000, v9, vcc_lo
	v_cmp_ngt_f32_e32 vcc_lo, 0xc2ce8ed0, v0
	v_fmac_f32_e32 v13, 0x32a5705f, v0
	s_delay_alu instid0(VALU_DEP_1) | instskip(NEXT) | instid1(VALU_DEP_1)
	v_add_f32_e32 v10, v10, v13
	v_exp_f32_e32 v10, v10
	s_waitcnt_depctr 0xfff
	v_ldexp_f32 v10, v10, v11
	s_delay_alu instid0(VALU_DEP_1)
	v_dual_mov_b32 v11, v6 :: v_dual_cndmask_b32 v10, 0, v10
	v_cmp_le_f32_e32 vcc_lo, 0xc1a00000, v8
	s_waitcnt vmcnt(1)
	v_dual_cndmask_b32 v8, 0, v9 :: v_dual_mov_b32 v9, v5
	v_cmp_nlt_f32_e32 vcc_lo, 0x42b17218, v0
	v_cndmask_b32_e32 v5, 0x7f800000, v10, vcc_lo
	s_delay_alu instid0(VALU_DEP_3) | instskip(SKIP_2) | instid1(VALU_DEP_3)
	v_mul_f32_e32 v10, s11, v8
	v_cmp_le_f32_e32 vcc_lo, 0xc1a00000, v0
	v_mov_b32_e32 v0, v7
	v_mov_b32_e32 v6, v10
	s_waitcnt vmcnt(0)
	v_dual_cndmask_b32 v12, 0, v5 :: v_dual_mul_f32 v5, v4, v8
	s_delay_alu instid0(VALU_DEP_1) | instskip(NEXT) | instid1(VALU_DEP_2)
	v_dual_fmac_f32 v6, v11, v12 :: v_dual_add_nc_u32 v3, 0xfffff000, v3
	v_fmac_f32_e32 v5, v9, v12
	s_cbranch_scc0 .LBB22_3
	s_branch .LBB22_5
.LBB22_4:
	s_waitcnt lgkmcnt(0)
	v_mov_b32_e32 v6, s11
.LBB22_5:
	s_waitcnt vmcnt(0)
	s_delay_alu instid0(VALU_DEP_1) | instskip(NEXT) | instid1(VALU_DEP_1)
	v_div_scale_f32 v0, null, v6, v6, v5
	v_rcp_f32_e32 v3, v0
	s_waitcnt_depctr 0xfff
	v_fma_f32 v4, -v0, v3, 1.0
	s_delay_alu instid0(VALU_DEP_1) | instskip(SKIP_1) | instid1(VALU_DEP_1)
	v_fmac_f32_e32 v3, v4, v3
	v_div_scale_f32 v4, vcc_lo, v5, v6, v5
	v_mul_f32_e32 v7, v4, v3
	s_delay_alu instid0(VALU_DEP_1) | instskip(NEXT) | instid1(VALU_DEP_1)
	v_fma_f32 v8, -v0, v7, v4
	v_fmac_f32_e32 v7, v8, v3
	s_delay_alu instid0(VALU_DEP_1) | instskip(NEXT) | instid1(VALU_DEP_1)
	v_fma_f32 v0, -v0, v7, v4
	v_div_fmas_f32 v0, v0, v3, v7
	s_delay_alu instid0(VALU_DEP_1)
	v_div_fixup_f32 v0, v0, v6, v5
	global_store_b32 v[1:2], v0, off
.LBB22_6:
	s_nop 0
	s_sendmsg sendmsg(MSG_DEALLOC_VGPRS)
	s_endpgm
	.section	.rodata,"a",@progbits
	.p2align	6, 0x0
	.amdhsa_kernel _ZL33flash_attn_stream_k_fixup_uniformILi128ELi8ELi4EEvPfPK15HIP_vector_typeIfLj2EEiiiiiiS1_IjLj3EES5_S5_
		.amdhsa_group_segment_fixed_size 0
		.amdhsa_private_segment_fixed_size 0
		.amdhsa_kernarg_size 76
		.amdhsa_user_sgpr_count 13
		.amdhsa_user_sgpr_dispatch_ptr 0
		.amdhsa_user_sgpr_queue_ptr 0
		.amdhsa_user_sgpr_kernarg_segment_ptr 1
		.amdhsa_user_sgpr_dispatch_id 0
		.amdhsa_user_sgpr_private_segment_size 0
		.amdhsa_wavefront_size32 1
		.amdhsa_uses_dynamic_stack 0
		.amdhsa_enable_private_segment 0
		.amdhsa_system_sgpr_workgroup_id_x 1
		.amdhsa_system_sgpr_workgroup_id_y 1
		.amdhsa_system_sgpr_workgroup_id_z 1
		.amdhsa_system_sgpr_workgroup_info 0
		.amdhsa_system_vgpr_workitem_id 0
		.amdhsa_next_free_vgpr 15
		.amdhsa_next_free_sgpr 20
		.amdhsa_reserve_vcc 1
		.amdhsa_float_round_mode_32 0
		.amdhsa_float_round_mode_16_64 0
		.amdhsa_float_denorm_mode_32 3
		.amdhsa_float_denorm_mode_16_64 3
		.amdhsa_dx10_clamp 1
		.amdhsa_ieee_mode 1
		.amdhsa_fp16_overflow 0
		.amdhsa_workgroup_processor_mode 1
		.amdhsa_memory_ordered 1
		.amdhsa_forward_progress 0
		.amdhsa_shared_vgpr_count 0
		.amdhsa_exception_fp_ieee_invalid_op 0
		.amdhsa_exception_fp_denorm_src 0
		.amdhsa_exception_fp_ieee_div_zero 0
		.amdhsa_exception_fp_ieee_overflow 0
		.amdhsa_exception_fp_ieee_underflow 0
		.amdhsa_exception_fp_ieee_inexact 0
		.amdhsa_exception_int_div_zero 0
	.end_amdhsa_kernel
	.section	.text._ZL33flash_attn_stream_k_fixup_uniformILi128ELi8ELi4EEvPfPK15HIP_vector_typeIfLj2EEiiiiiiS1_IjLj3EES5_S5_,"axG",@progbits,_ZL33flash_attn_stream_k_fixup_uniformILi128ELi8ELi4EEvPfPK15HIP_vector_typeIfLj2EEiiiiiiS1_IjLj3EES5_S5_,comdat
.Lfunc_end22:
	.size	_ZL33flash_attn_stream_k_fixup_uniformILi128ELi8ELi4EEvPfPK15HIP_vector_typeIfLj2EEiiiiiiS1_IjLj3EES5_S5_, .Lfunc_end22-_ZL33flash_attn_stream_k_fixup_uniformILi128ELi8ELi4EEvPfPK15HIP_vector_typeIfLj2EEiiiiiiS1_IjLj3EES5_S5_
                                        ; -- End function
	.section	.AMDGPU.csdata,"",@progbits
; Kernel info:
; codeLenInByte = 996
; NumSgprs: 22
; NumVgprs: 15
; ScratchSize: 0
; MemoryBound: 0
; FloatMode: 240
; IeeeMode: 1
; LDSByteSize: 0 bytes/workgroup (compile time only)
; SGPRBlocks: 2
; VGPRBlocks: 1
; NumSGPRsForWavesPerEU: 22
; NumVGPRsForWavesPerEU: 15
; Occupancy: 16
; WaveLimiterHint : 0
; COMPUTE_PGM_RSRC2:SCRATCH_EN: 0
; COMPUTE_PGM_RSRC2:USER_SGPR: 13
; COMPUTE_PGM_RSRC2:TRAP_HANDLER: 0
; COMPUTE_PGM_RSRC2:TGID_X_EN: 1
; COMPUTE_PGM_RSRC2:TGID_Y_EN: 1
; COMPUTE_PGM_RSRC2:TGID_Z_EN: 1
; COMPUTE_PGM_RSRC2:TIDIG_COMP_CNT: 0
	.section	.text._ZL33flash_attn_stream_k_fixup_generalILi128ELi8ELi4EEvPfPK15HIP_vector_typeIfLj2EEiiiiS1_IjLj3EES5_S5_S5_,"axG",@progbits,_ZL33flash_attn_stream_k_fixup_generalILi128ELi8ELi4EEvPfPK15HIP_vector_typeIfLj2EEiiiiS1_IjLj3EES5_S5_S5_,comdat
	.globl	_ZL33flash_attn_stream_k_fixup_generalILi128ELi8ELi4EEvPfPK15HIP_vector_typeIfLj2EEiiiiS1_IjLj3EES5_S5_S5_ ; -- Begin function _ZL33flash_attn_stream_k_fixup_generalILi128ELi8ELi4EEvPfPK15HIP_vector_typeIfLj2EEiiiiS1_IjLj3EES5_S5_S5_
	.p2align	8
	.type	_ZL33flash_attn_stream_k_fixup_generalILi128ELi8ELi4EEvPfPK15HIP_vector_typeIfLj2EEiiiiS1_IjLj3EES5_S5_S5_,@function
_ZL33flash_attn_stream_k_fixup_generalILi128ELi8ELi4EEvPfPK15HIP_vector_typeIfLj2EEiiiiS1_IjLj3EES5_S5_S5_: ; @_ZL33flash_attn_stream_k_fixup_generalILi128ELi8ELi4EEvPfPK15HIP_vector_typeIfLj2EEiiiiS1_IjLj3EES5_S5_S5_
; %bb.0:
	s_clause 0x1
	s_load_b128 s[4:7], s[0:1], 0x10
	s_load_b32 s20, s[0:1], 0x50
	s_mov_b32 s2, 0
	s_waitcnt lgkmcnt(0)
	s_mul_hi_i32 s3, s7, s13
	s_mul_i32 s12, s7, s13
	s_cmp_lg_u64 s[2:3], 0
	s_cbranch_scc0 .LBB23_21
; %bb.1:
	v_cvt_f32_ubyte0_e32 v1, 0
	v_cvt_f32_u32_e32 v2, s20
	s_sub_u32 s10, 0, s20
	s_subb_u32 s11, 0, 0
	s_delay_alu instid0(VALU_DEP_1) | instskip(NEXT) | instid1(VALU_DEP_1)
	v_fmamk_f32 v1, v1, 0x4f800000, v2
	v_rcp_f32_e32 v1, v1
	s_waitcnt_depctr 0xfff
	v_mul_f32_e32 v1, 0x5f7ffffc, v1
	s_delay_alu instid0(VALU_DEP_1) | instskip(NEXT) | instid1(VALU_DEP_1)
	v_mul_f32_e32 v2, 0x2f800000, v1
	v_trunc_f32_e32 v2, v2
	s_delay_alu instid0(VALU_DEP_1) | instskip(SKIP_1) | instid1(VALU_DEP_2)
	v_fmamk_f32 v1, v2, 0xcf800000, v1
	v_cvt_u32_f32_e32 v2, v2
	v_cvt_u32_f32_e32 v1, v1
	s_delay_alu instid0(VALU_DEP_2) | instskip(NEXT) | instid1(VALU_DEP_2)
	v_readfirstlane_b32 s8, v2
	v_readfirstlane_b32 s9, v1
	s_delay_alu instid0(VALU_DEP_2) | instskip(NEXT) | instid1(VALU_DEP_1)
	s_mul_i32 s16, s10, s8
	s_mul_hi_u32 s18, s10, s9
	s_mul_i32 s17, s11, s9
	s_add_i32 s16, s18, s16
	s_mul_i32 s19, s10, s9
	s_add_i32 s16, s16, s17
	s_mul_hi_u32 s18, s9, s19
	s_mul_hi_u32 s21, s8, s19
	s_mul_i32 s17, s8, s19
	s_mul_hi_u32 s19, s9, s16
	s_mul_i32 s9, s9, s16
	s_mul_hi_u32 s22, s8, s16
	s_add_u32 s9, s18, s9
	s_addc_u32 s18, 0, s19
	s_add_u32 s9, s9, s17
	s_mul_i32 s16, s8, s16
	s_addc_u32 s9, s18, s21
	s_addc_u32 s17, s22, 0
	s_add_u32 s9, s9, s16
	s_addc_u32 s16, 0, s17
	v_add_co_u32 v1, s9, v1, s9
	s_delay_alu instid0(VALU_DEP_1) | instskip(SKIP_1) | instid1(VALU_DEP_1)
	s_cmp_lg_u32 s9, 0
	s_addc_u32 s8, s8, s16
	v_readfirstlane_b32 s9, v1
	s_mul_i32 s16, s10, s8
	s_delay_alu instid0(VALU_DEP_1)
	s_mul_hi_u32 s17, s10, s9
	s_mul_i32 s11, s11, s9
	s_add_i32 s16, s17, s16
	s_mul_i32 s10, s10, s9
	s_add_i32 s16, s16, s11
	s_mul_hi_u32 s17, s8, s10
	s_mul_i32 s18, s8, s10
	s_mul_hi_u32 s10, s9, s10
	s_mul_hi_u32 s19, s9, s16
	s_mul_i32 s9, s9, s16
	s_mul_hi_u32 s11, s8, s16
	s_add_u32 s9, s10, s9
	s_addc_u32 s10, 0, s19
	s_add_u32 s9, s9, s18
	s_mul_i32 s16, s8, s16
	s_addc_u32 s9, s10, s17
	s_addc_u32 s10, s11, 0
	s_add_u32 s9, s9, s16
	s_addc_u32 s10, 0, s10
	v_add_co_u32 v1, s9, v1, s9
	s_delay_alu instid0(VALU_DEP_1) | instskip(SKIP_2) | instid1(SALU_CYCLE_1)
	s_cmp_lg_u32 s9, 0
	s_addc_u32 s16, s8, s10
	s_ashr_i32 s8, s3, 31
	s_add_u32 s10, s12, s8
	s_addc_u32 s11, s3, s8
	v_readfirstlane_b32 s3, v1
	s_mov_b32 s9, s8
	s_delay_alu instid0(SALU_CYCLE_1) | instskip(NEXT) | instid1(SALU_CYCLE_1)
	s_xor_b64 s[10:11], s[10:11], s[8:9]
	s_mul_i32 s18, s10, s16
	s_delay_alu instid0(VALU_DEP_1)
	s_mul_hi_u32 s19, s10, s3
	s_mul_hi_u32 s17, s10, s16
	;; [unrolled: 1-line block ×3, first 2 shown]
	s_mul_i32 s3, s11, s3
	s_add_u32 s18, s19, s18
	s_addc_u32 s17, 0, s17
	s_mul_hi_u32 s21, s11, s16
	s_add_u32 s3, s18, s3
	s_mul_i32 s16, s11, s16
	s_addc_u32 s3, s17, s22
	s_addc_u32 s17, s21, 0
	s_add_u32 s3, s3, s16
	s_addc_u32 s16, 0, s17
	s_mul_i32 s18, s20, s3
	s_add_u32 s17, s3, 1
	v_sub_co_u32 v1, s10, s10, s18
	s_mul_hi_u32 s18, s20, s3
	s_addc_u32 s19, s16, 0
	s_mul_i32 s21, s20, s16
	s_delay_alu instid0(VALU_DEP_1)
	v_sub_co_u32 v2, s22, v1, s20
	s_add_u32 s23, s3, 2
	s_addc_u32 s24, s16, 0
	s_add_i32 s18, s18, s21
	s_cmp_lg_u32 s10, 0
	v_readfirstlane_b32 s10, v2
	s_subb_u32 s11, s11, s18
	s_cmp_lg_u32 s22, 0
	s_subb_u32 s18, s11, 0
	s_delay_alu instid0(VALU_DEP_1) | instskip(SKIP_4) | instid1(SALU_CYCLE_1)
	s_cmp_ge_u32 s10, s20
	s_cselect_b32 s10, -1, 0
	s_cmp_eq_u32 s18, 0
	v_readfirstlane_b32 s18, v1
	s_cselect_b32 s10, s10, -1
	s_cmp_lg_u32 s10, 0
	s_cselect_b32 s10, s23, s17
	s_cselect_b32 s17, s24, s19
	s_cmp_ge_u32 s18, s20
	s_cselect_b32 s18, -1, 0
	s_cmp_eq_u32 s11, 0
	s_cselect_b32 s11, s18, -1
	s_delay_alu instid0(SALU_CYCLE_1) | instskip(SKIP_2) | instid1(SALU_CYCLE_1)
	s_cmp_lg_u32 s11, 0
	s_cselect_b32 s11, s17, s16
	s_cselect_b32 s10, s10, s3
	s_xor_b64 s[10:11], s[10:11], s[8:9]
	s_delay_alu instid0(SALU_CYCLE_1)
	s_sub_u32 s16, s10, s8
	s_load_b128 s[8:11], s[0:1], 0x44
	s_and_not1_b32 vcc_lo, exec_lo, s2
	s_cbranch_vccnz .LBB23_3
.LBB23_2:
	v_cvt_f32_u32_e32 v1, s20
	s_sub_i32 s3, 0, s20
	s_delay_alu instid0(VALU_DEP_1) | instskip(SKIP_2) | instid1(VALU_DEP_1)
	v_rcp_iflag_f32_e32 v1, v1
	s_waitcnt_depctr 0xfff
	v_mul_f32_e32 v1, 0x4f7ffffe, v1
	v_cvt_u32_f32_e32 v1, v1
	s_delay_alu instid0(VALU_DEP_1) | instskip(NEXT) | instid1(VALU_DEP_1)
	v_readfirstlane_b32 s2, v1
	s_mul_i32 s3, s3, s2
	s_delay_alu instid0(SALU_CYCLE_1) | instskip(NEXT) | instid1(SALU_CYCLE_1)
	s_mul_hi_u32 s3, s2, s3
	s_add_i32 s2, s2, s3
	s_delay_alu instid0(SALU_CYCLE_1) | instskip(NEXT) | instid1(SALU_CYCLE_1)
	s_mul_hi_u32 s2, s12, s2
	s_mul_i32 s3, s2, s20
	s_waitcnt lgkmcnt(0)
	s_add_i32 s11, s2, 1
	s_sub_i32 s3, s12, s3
	s_delay_alu instid0(SALU_CYCLE_1)
	s_sub_i32 s12, s3, s20
	s_cmp_ge_u32 s3, s20
	s_cselect_b32 s2, s11, s2
	s_cselect_b32 s3, s12, s3
	s_add_i32 s11, s2, 1
	s_cmp_ge_u32 s3, s20
	s_cselect_b32 s16, s11, s2
.LBB23_3:
	s_waitcnt lgkmcnt(0)
	s_add_i32 s11, s13, 1
	s_mov_b32 s2, 0
	s_mul_hi_i32 s3, s7, s11
	s_mul_i32 s11, s7, s11
	s_cmp_lg_u64 s[2:3], 0
	s_cbranch_scc0 .LBB23_22
; %bb.4:
	v_cvt_f32_ubyte0_e32 v1, 0
	v_cvt_f32_u32_e32 v2, s20
	s_sub_u32 s18, 0, s20
	s_subb_u32 s19, 0, 0
	s_delay_alu instid0(VALU_DEP_1) | instskip(NEXT) | instid1(VALU_DEP_1)
	v_fmamk_f32 v1, v1, 0x4f800000, v2
	v_rcp_f32_e32 v1, v1
	s_waitcnt_depctr 0xfff
	v_mul_f32_e32 v1, 0x5f7ffffc, v1
	s_delay_alu instid0(VALU_DEP_1) | instskip(NEXT) | instid1(VALU_DEP_1)
	v_mul_f32_e32 v2, 0x2f800000, v1
	v_trunc_f32_e32 v2, v2
	s_delay_alu instid0(VALU_DEP_1) | instskip(SKIP_1) | instid1(VALU_DEP_2)
	v_fmamk_f32 v1, v2, 0xcf800000, v1
	v_cvt_u32_f32_e32 v2, v2
	v_cvt_u32_f32_e32 v1, v1
	s_delay_alu instid0(VALU_DEP_2) | instskip(NEXT) | instid1(VALU_DEP_2)
	v_readfirstlane_b32 s12, v2
	v_readfirstlane_b32 s17, v1
	s_delay_alu instid0(VALU_DEP_2) | instskip(NEXT) | instid1(VALU_DEP_1)
	s_mul_i32 s21, s18, s12
	s_mul_hi_u32 s23, s18, s17
	s_mul_i32 s22, s19, s17
	s_add_i32 s21, s23, s21
	s_mul_i32 s24, s18, s17
	s_add_i32 s21, s21, s22
	s_mul_hi_u32 s23, s17, s24
	s_mul_hi_u32 s25, s12, s24
	s_mul_i32 s22, s12, s24
	s_mul_hi_u32 s24, s17, s21
	s_mul_i32 s17, s17, s21
	s_mul_hi_u32 s26, s12, s21
	s_add_u32 s17, s23, s17
	s_addc_u32 s23, 0, s24
	s_add_u32 s17, s17, s22
	s_mul_i32 s21, s12, s21
	s_addc_u32 s17, s23, s25
	s_addc_u32 s22, s26, 0
	s_add_u32 s17, s17, s21
	s_addc_u32 s21, 0, s22
	v_add_co_u32 v1, s17, v1, s17
	s_delay_alu instid0(VALU_DEP_1) | instskip(SKIP_1) | instid1(VALU_DEP_1)
	s_cmp_lg_u32 s17, 0
	s_addc_u32 s12, s12, s21
	v_readfirstlane_b32 s17, v1
	s_mul_i32 s21, s18, s12
	s_delay_alu instid0(VALU_DEP_1)
	s_mul_hi_u32 s22, s18, s17
	s_mul_i32 s19, s19, s17
	s_add_i32 s21, s22, s21
	s_mul_i32 s18, s18, s17
	s_add_i32 s21, s21, s19
	s_mul_hi_u32 s22, s12, s18
	s_mul_i32 s23, s12, s18
	s_mul_hi_u32 s18, s17, s18
	s_mul_hi_u32 s24, s17, s21
	s_mul_i32 s17, s17, s21
	s_mul_hi_u32 s19, s12, s21
	s_add_u32 s17, s18, s17
	s_addc_u32 s18, 0, s24
	s_add_u32 s17, s17, s23
	s_mul_i32 s21, s12, s21
	s_addc_u32 s17, s18, s22
	s_addc_u32 s18, s19, 0
	s_add_u32 s17, s17, s21
	s_addc_u32 s18, 0, s18
	v_add_co_u32 v1, s17, v1, s17
	s_delay_alu instid0(VALU_DEP_1) | instskip(SKIP_2) | instid1(SALU_CYCLE_1)
	s_cmp_lg_u32 s17, 0
	s_addc_u32 s12, s12, s18
	s_ashr_i32 s18, s3, 31
	s_add_u32 s22, s11, s18
	s_addc_u32 s23, s3, s18
	v_readfirstlane_b32 s3, v1
	s_mov_b32 s19, s18
	s_delay_alu instid0(SALU_CYCLE_1) | instskip(NEXT) | instid1(SALU_CYCLE_1)
	s_xor_b64 s[22:23], s[22:23], s[18:19]
	s_mul_i32 s21, s22, s12
	s_delay_alu instid0(VALU_DEP_1)
	s_mul_hi_u32 s24, s22, s3
	s_mul_hi_u32 s17, s22, s12
	;; [unrolled: 1-line block ×3, first 2 shown]
	s_mul_i32 s3, s23, s3
	s_add_u32 s21, s24, s21
	s_addc_u32 s17, 0, s17
	s_mul_hi_u32 s25, s23, s12
	s_add_u32 s3, s21, s3
	s_mul_i32 s12, s23, s12
	s_addc_u32 s3, s17, s26
	s_addc_u32 s17, s25, 0
	s_add_u32 s3, s3, s12
	s_addc_u32 s12, 0, s17
	s_mul_i32 s21, s20, s3
	s_add_u32 s17, s3, 1
	v_sub_co_u32 v1, s21, s22, s21
	s_mul_hi_u32 s22, s20, s3
	s_addc_u32 s24, s12, 0
	s_mul_i32 s25, s20, s12
	s_delay_alu instid0(VALU_DEP_1)
	v_sub_co_u32 v2, s26, v1, s20
	s_add_u32 s27, s3, 2
	s_addc_u32 s28, s12, 0
	s_add_i32 s22, s22, s25
	s_cmp_lg_u32 s21, 0
	v_readfirstlane_b32 s21, v2
	s_subb_u32 s22, s23, s22
	s_cmp_lg_u32 s26, 0
	s_subb_u32 s23, s22, 0
	s_delay_alu instid0(VALU_DEP_1) | instskip(SKIP_4) | instid1(SALU_CYCLE_1)
	s_cmp_ge_u32 s21, s20
	s_cselect_b32 s21, -1, 0
	s_cmp_eq_u32 s23, 0
	v_readfirstlane_b32 s23, v1
	s_cselect_b32 s21, s21, -1
	s_cmp_lg_u32 s21, 0
	s_cselect_b32 s17, s27, s17
	s_cselect_b32 s21, s28, s24
	s_cmp_ge_u32 s23, s20
	s_cselect_b32 s23, -1, 0
	s_cmp_eq_u32 s22, 0
	s_cselect_b32 s22, s23, -1
	s_delay_alu instid0(SALU_CYCLE_1) | instskip(SKIP_2) | instid1(SALU_CYCLE_1)
	s_cmp_lg_u32 s22, 0
	s_cselect_b32 s23, s21, s12
	s_cselect_b32 s22, s17, s3
	s_xor_b64 s[22:23], s[22:23], s[18:19]
	s_delay_alu instid0(SALU_CYCLE_1)
	s_sub_u32 s18, s22, s18
	s_and_not1_b32 vcc_lo, exec_lo, s2
	s_cbranch_vccnz .LBB23_6
.LBB23_5:
	v_cvt_f32_u32_e32 v1, s20
	s_sub_i32 s3, 0, s20
	s_delay_alu instid0(VALU_DEP_1) | instskip(SKIP_2) | instid1(VALU_DEP_1)
	v_rcp_iflag_f32_e32 v1, v1
	s_waitcnt_depctr 0xfff
	v_mul_f32_e32 v1, 0x4f7ffffe, v1
	v_cvt_u32_f32_e32 v1, v1
	s_delay_alu instid0(VALU_DEP_1) | instskip(NEXT) | instid1(VALU_DEP_1)
	v_readfirstlane_b32 s2, v1
	s_mul_i32 s3, s3, s2
	s_delay_alu instid0(SALU_CYCLE_1) | instskip(NEXT) | instid1(SALU_CYCLE_1)
	s_mul_hi_u32 s3, s2, s3
	s_add_i32 s2, s2, s3
	s_delay_alu instid0(SALU_CYCLE_1) | instskip(NEXT) | instid1(SALU_CYCLE_1)
	s_mul_hi_u32 s2, s11, s2
	s_mul_i32 s3, s2, s20
	s_delay_alu instid0(SALU_CYCLE_1)
	s_sub_i32 s3, s11, s3
	s_add_i32 s11, s2, 1
	s_sub_i32 s12, s3, s20
	s_cmp_ge_u32 s3, s20
	s_cselect_b32 s2, s11, s2
	s_cselect_b32 s3, s12, s3
	s_add_i32 s11, s2, 1
	s_cmp_ge_u32 s3, s20
	s_cselect_b32 s18, s11, s2
.LBB23_6:
	s_delay_alu instid0(SALU_CYCLE_1) | instskip(SKIP_3) | instid1(SALU_CYCLE_1)
	s_cmp_eq_u32 s16, s18
	s_mul_hi_u32 s2, s16, s8
	s_cselect_b32 s3, -1, 0
	s_add_i32 s2, s2, s16
	s_lshr_b32 s11, s2, s9
	s_delay_alu instid0(SALU_CYCLE_1) | instskip(NEXT) | instid1(SALU_CYCLE_1)
	s_mul_i32 s2, s11, s10
	s_cmp_eq_u32 s2, s16
	s_mul_hi_u32 s2, s18, s8
	s_cselect_b32 s12, -1, 0
	s_add_i32 s2, s2, s18
	s_delay_alu instid0(SALU_CYCLE_1) | instskip(NEXT) | instid1(SALU_CYCLE_1)
	s_lshr_b32 s2, s2, s9
	s_cmp_eq_u32 s11, s2
	s_mul_i32 s2, s2, s10
	s_cselect_b32 s17, -1, 0
	s_cmp_lg_u32 s2, s18
	s_cselect_b32 s2, -1, 0
	s_or_b32 s3, s3, s12
	s_and_b32 s2, s17, s2
	s_delay_alu instid0(SALU_CYCLE_1) | instskip(NEXT) | instid1(SALU_CYCLE_1)
	s_or_b32 s2, s3, s2
	s_and_b32 vcc_lo, exec_lo, s2
	s_cbranch_vccnz .LBB23_24
; %bb.7:
	s_load_b256 s[24:31], s[0:1], 0x20
	s_waitcnt lgkmcnt(0)
	s_mul_hi_u32 s2, s16, s24
	s_delay_alu instid0(SALU_CYCLE_1) | instskip(NEXT) | instid1(SALU_CYCLE_1)
	s_add_i32 s2, s2, s16
	s_lshr_b32 s17, s2, s25
	s_load_b32 s2, s[0:1], 0x40
	s_mul_i32 s3, s17, s26
	s_delay_alu instid0(SALU_CYCLE_1) | instskip(NEXT) | instid1(SALU_CYCLE_1)
	s_sub_i32 s3, s16, s3
	s_mul_hi_u32 s12, s3, s27
	s_delay_alu instid0(SALU_CYCLE_1) | instskip(NEXT) | instid1(SALU_CYCLE_1)
	s_add_i32 s12, s3, s12
	s_lshr_b32 s21, s12, s28
	s_delay_alu instid0(SALU_CYCLE_1) | instskip(NEXT) | instid1(SALU_CYCLE_1)
	s_mul_i32 s12, s21, s29
	s_sub_i32 s3, s3, s12
	s_delay_alu instid0(SALU_CYCLE_1) | instskip(NEXT) | instid1(SALU_CYCLE_1)
	s_mul_hi_u32 s12, s3, s30
	s_add_i32 s12, s3, s12
	s_delay_alu instid0(SALU_CYCLE_1)
	s_lshr_b32 s12, s12, s31
	s_waitcnt lgkmcnt(0)
	s_mul_i32 s2, s12, s2
	s_lshl_b32 s23, s12, 2
	s_sub_i32 s2, s3, s2
	s_mov_b32 s12, 0
	s_mul_hi_u32 s3, s2, s8
	s_delay_alu instid0(SALU_CYCLE_1) | instskip(NEXT) | instid1(SALU_CYCLE_1)
	s_add_i32 s2, s2, s3
	s_lshr_b32 s22, s2, s9
	s_delay_alu instid0(SALU_CYCLE_1) | instskip(NEXT) | instid1(SALU_CYCLE_1)
	s_lshl_b32 s2, s22, 3
	s_add_i32 s2, s2, s14
	s_delay_alu instid0(SALU_CYCLE_1) | instskip(SKIP_2) | instid1(SALU_CYCLE_1)
	s_cmp_lt_i32 s2, s4
	s_cselect_b32 s2, -1, 0
	s_add_i32 s3, s23, s15
	s_cmp_lt_i32 s3, s6
	s_cselect_b32 s3, -1, 0
	s_delay_alu instid0(SALU_CYCLE_1) | instskip(NEXT) | instid1(SALU_CYCLE_1)
	s_and_b32 s2, s2, s3
	s_and_not1_b32 vcc_lo, exec_lo, s2
	s_cbranch_vccnz .LBB23_24
; %bb.8:
	s_load_b128 s[0:3], s[0:1], 0x0
	s_lshl_b32 s18, s20, 7
	s_mov_b32 s19, s12
	s_lshl_b32 s24, s14, 2
	s_lshl_b64 s[18:19], s[18:19], 2
	s_mul_i32 s4, s17, s4
	s_add_i32 s17, s24, s15
	s_mul_i32 s21, s21, s6
	v_cvt_f32_ubyte0_e32 v4, 0
	v_cvt_f32_u32_e32 v5, s20
	s_waitcnt lgkmcnt(0)
	s_add_u32 s18, s2, s18
	s_addc_u32 s19, s3, s19
	s_add_i32 s4, s4, s14
	s_delay_alu instid0(SALU_CYCLE_1) | instskip(SKIP_4) | instid1(SALU_CYCLE_1)
	s_mul_i32 s4, s4, s5
	s_mul_i32 s5, s5, s22
	s_add_i32 s4, s4, s15
	s_lshl_b32 s5, s5, 10
	s_add_i32 s4, s4, s21
	s_add_i32 s4, s4, s23
	s_delay_alu instid0(SALU_CYCLE_1) | instskip(NEXT) | instid1(SALU_CYCLE_1)
	s_lshl_b32 s4, s4, 7
	s_add_i32 s5, s5, s4
	s_delay_alu instid0(SALU_CYCLE_1) | instskip(SKIP_1) | instid1(VALU_DEP_2)
	v_or_b32_e32 v1, s5, v0
	v_lshl_or_b32 v0, s17, 7, v0
	v_ashrrev_i32_e32 v2, 31, v1
	s_delay_alu instid0(VALU_DEP_1) | instskip(NEXT) | instid1(VALU_DEP_1)
	v_lshlrev_b64 v[1:2], 2, v[1:2]
	v_add_co_u32 v1, vcc_lo, s0, v1
	s_delay_alu instid0(VALU_DEP_2) | instskip(SKIP_1) | instid1(SALU_CYCLE_1)
	v_add_co_ci_u32_e32 v2, vcc_lo, s1, v2, vcc_lo
	s_lshl_b32 s0, s13, 5
	s_add_i32 s0, s17, s0
	global_load_b32 v3, v[1:2], off
	s_ashr_i32 s1, s0, 31
	s_delay_alu instid0(SALU_CYCLE_1) | instskip(NEXT) | instid1(SALU_CYCLE_1)
	s_lshl_b64 s[0:1], s[0:1], 3
	s_add_u32 s0, s2, s0
	s_addc_u32 s1, s3, s1
	s_add_i32 s14, s13, -1
	s_load_b64 s[0:1], s[0:1], 0x0
	v_fmac_f32_e32 v5, 0x4f800000, v4
	s_sub_i32 s6, 0, s20
	s_waitcnt lgkmcnt(0)
	v_mov_b32_e32 v8, s0
	s_delay_alu instid0(VALU_DEP_2) | instskip(SKIP_2) | instid1(VALU_DEP_2)
	v_rcp_f32_e32 v4, v5
	v_cvt_f32_u32_e32 v5, s20
	v_mov_b32_e32 v7, s1
	v_rcp_iflag_f32_e32 v5, v5
	s_waitcnt_depctr 0xfff
	v_mul_f32_e32 v4, 0x5f7ffffc, v4
	s_delay_alu instid0(VALU_DEP_1) | instskip(SKIP_1) | instid1(VALU_DEP_2)
	v_mul_f32_e32 v6, 0x2f800000, v4
	v_mul_f32_e32 v9, 0x4f7ffffe, v5
	v_trunc_f32_e32 v6, v6
	s_delay_alu instid0(VALU_DEP_1) | instskip(SKIP_1) | instid1(VALU_DEP_4)
	v_fmac_f32_e32 v4, 0xcf800000, v6
	v_cvt_u32_f32_e32 v5, v6
	v_cvt_u32_f32_e32 v6, v9
	s_delay_alu instid0(VALU_DEP_3)
	v_cvt_u32_f32_e32 v4, v4
.LBB23_9:                               ; =>This Inner Loop Header: Depth=1
	s_mul_hi_i32 s13, s14, s7
	s_mul_i32 s4, s14, s7
	s_cmp_lg_u64 s[12:13], 0
	s_mov_b32 s5, -1
                                        ; implicit-def: $sgpr0_sgpr1
	s_cbranch_scc0 .LBB23_11
; %bb.10:                               ;   in Loop: Header=BB23_9 Depth=1
	v_readfirstlane_b32 s0, v4
	v_readfirstlane_b32 s1, v5
	s_sub_u32 s5, 0, s20
	s_subb_u32 s15, 0, 0
	s_delay_alu instid0(VALU_DEP_2) | instskip(NEXT) | instid1(VALU_DEP_1)
	s_mul_hi_u32 s21, s5, s0
	s_mul_i32 s22, s5, s1
	s_mul_i32 s23, s15, s0
	s_add_i32 s21, s21, s22
	s_mul_i32 s22, s5, s0
	s_add_i32 s21, s21, s23
	s_mul_hi_u32 s23, s0, s22
	s_mul_i32 s24, s0, s21
	s_mul_hi_u32 s0, s0, s21
	s_add_u32 s23, s23, s24
	s_mul_i32 s25, s1, s22
	s_addc_u32 s0, 0, s0
	s_mul_hi_u32 s22, s1, s22
	s_mul_hi_u32 s24, s1, s21
	s_add_u32 s23, s23, s25
	s_addc_u32 s0, s0, s22
	s_mul_i32 s21, s1, s21
	s_addc_u32 s22, s24, 0
	s_add_u32 s0, s0, s21
	s_addc_u32 s21, 0, s22
	v_add_co_u32 v9, s0, v4, s0
	s_delay_alu instid0(VALU_DEP_1) | instskip(SKIP_1) | instid1(VALU_DEP_1)
	s_cmp_lg_u32 s0, 0
	s_addc_u32 s1, s1, s21
	v_readfirstlane_b32 s0, v9
	s_mul_i32 s21, s5, s1
	s_delay_alu instid0(VALU_DEP_1)
	s_mul_hi_u32 s22, s5, s0
	s_mul_i32 s15, s15, s0
	s_add_i32 s21, s22, s21
	s_mul_i32 s5, s5, s0
	s_add_i32 s21, s21, s15
	s_mul_hi_u32 s15, s1, s5
	s_mul_i32 s23, s1, s5
	s_mul_i32 s24, s0, s21
	s_mul_hi_u32 s5, s0, s5
	s_mul_hi_u32 s0, s0, s21
	s_add_u32 s5, s5, s24
	s_addc_u32 s0, 0, s0
	s_mul_hi_u32 s22, s1, s21
	s_add_u32 s5, s5, s23
	s_addc_u32 s0, s0, s15
	s_mul_i32 s5, s1, s21
	s_addc_u32 s15, s22, 0
	s_add_u32 s0, s0, s5
	s_addc_u32 s5, 0, s15
	v_add_co_u32 v9, s0, v9, s0
	s_delay_alu instid0(VALU_DEP_1) | instskip(SKIP_2) | instid1(SALU_CYCLE_1)
	s_cmp_lg_u32 s0, 0
	s_addc_u32 s5, s1, s5
	s_ashr_i32 s0, s13, 31
	s_add_u32 s22, s4, s0
	s_addc_u32 s23, s13, s0
	v_readfirstlane_b32 s13, v9
	s_mov_b32 s1, s0
	s_delay_alu instid0(SALU_CYCLE_1) | instskip(NEXT) | instid1(SALU_CYCLE_1)
	s_xor_b64 s[22:23], s[22:23], s[0:1]
	s_mul_i32 s15, s22, s5
	s_delay_alu instid0(VALU_DEP_1)
	s_mul_hi_u32 s21, s22, s13
	s_mul_hi_u32 s24, s22, s5
	s_add_u32 s15, s21, s15
	s_mul_i32 s25, s23, s13
	s_addc_u32 s21, 0, s24
	s_mul_hi_u32 s13, s23, s13
	s_mul_hi_u32 s24, s23, s5
	s_add_u32 s15, s15, s25
	s_addc_u32 s13, s21, s13
	s_mul_i32 s5, s23, s5
	s_addc_u32 s15, s24, 0
	s_add_u32 s5, s13, s5
	s_addc_u32 s13, 0, s15
	s_mul_i32 s21, s20, s5
	s_add_u32 s15, s5, 1
	v_sub_co_u32 v9, s21, s22, s21
	s_addc_u32 s22, s13, 0
	s_mul_i32 s25, s20, s13
	s_mul_hi_u32 s27, s20, s5
	s_delay_alu instid0(VALU_DEP_1)
	v_sub_co_u32 v10, s26, v9, s20
	s_add_u32 s24, s5, 2
	s_addc_u32 s28, s13, 0
	s_add_i32 s27, s27, s25
	s_cmp_lg_u32 s21, 0
	v_readfirstlane_b32 s21, v10
	s_subb_u32 s23, s23, s27
	s_cmp_lg_u32 s26, 0
	s_subb_u32 s25, s23, 0
	s_delay_alu instid0(VALU_DEP_1) | instskip(SKIP_4) | instid1(SALU_CYCLE_1)
	s_cmp_ge_u32 s21, s20
	s_cselect_b32 s21, -1, 0
	s_cmp_eq_u32 s25, 0
	v_readfirstlane_b32 s25, v9
	s_cselect_b32 s21, s21, -1
	s_cmp_lg_u32 s21, 0
	s_cselect_b32 s15, s24, s15
	s_cselect_b32 s21, s28, s22
	s_cmp_ge_u32 s25, s20
	s_cselect_b32 s22, -1, 0
	s_cmp_eq_u32 s23, 0
	s_cselect_b32 s22, s22, -1
	s_delay_alu instid0(SALU_CYCLE_1) | instskip(SKIP_4) | instid1(SALU_CYCLE_1)
	s_cmp_lg_u32 s22, 0
	s_cselect_b32 s23, s21, s13
	s_cselect_b32 s22, s15, s5
	s_mov_b32 s5, 0
	s_xor_b64 s[22:23], s[22:23], s[0:1]
	s_sub_u32 s0, s22, s0
.LBB23_11:                              ;   in Loop: Header=BB23_9 Depth=1
	s_and_not1_b32 vcc_lo, exec_lo, s5
	s_cbranch_vccnz .LBB23_13
; %bb.12:                               ;   in Loop: Header=BB23_9 Depth=1
	v_readfirstlane_b32 s0, v6
	s_delay_alu instid0(VALU_DEP_1) | instskip(NEXT) | instid1(SALU_CYCLE_1)
	s_mul_i32 s1, s6, s0
	s_mul_hi_u32 s1, s0, s1
	s_delay_alu instid0(SALU_CYCLE_1) | instskip(NEXT) | instid1(SALU_CYCLE_1)
	s_add_i32 s0, s0, s1
	s_mul_hi_u32 s0, s4, s0
	s_delay_alu instid0(SALU_CYCLE_1) | instskip(NEXT) | instid1(SALU_CYCLE_1)
	s_mul_i32 s1, s0, s20
	s_sub_i32 s1, s4, s1
	s_add_i32 s4, s0, 1
	s_sub_i32 s5, s1, s20
	s_cmp_ge_u32 s1, s20
	s_cselect_b32 s0, s4, s0
	s_cselect_b32 s1, s5, s1
	s_add_i32 s4, s0, 1
	s_cmp_ge_u32 s1, s20
	s_cselect_b32 s0, s4, s0
.LBB23_13:                              ;   in Loop: Header=BB23_9 Depth=1
	s_delay_alu instid0(SALU_CYCLE_1)
	s_cmp_lg_u32 s16, s0
	s_cbranch_scc0 .LBB23_17
; %bb.14:                               ;   in Loop: Header=BB23_9 Depth=1
	s_add_i32 s1, s14, s20
	s_mov_b32 s5, s12
	s_lshl_b32 s1, s1, 5
	s_mov_b32 s15, s16
	s_add_i32 s4, s1, s17
	s_mul_hi_u32 s1, s0, s8
	s_lshl_b64 s[4:5], s[4:5], 3
	s_delay_alu instid0(SALU_CYCLE_1) | instskip(SKIP_2) | instid1(SALU_CYCLE_1)
	s_add_u32 s4, s2, s4
	s_addc_u32 s5, s3, s5
	s_add_i32 s1, s1, s0
	s_lshr_b32 s1, s1, s9
	s_delay_alu instid0(SALU_CYCLE_1) | instskip(NEXT) | instid1(SALU_CYCLE_1)
	s_mul_i32 s13, s1, s10
	s_cmp_eq_u32 s13, s0
	s_cselect_b32 s13, -1, 0
	s_cmp_lt_u32 s1, s11
	s_cselect_b32 s1, -1, 0
	s_delay_alu instid0(SALU_CYCLE_1)
	s_or_b32 s1, s1, s13
	s_mov_b32 s13, -1
	s_and_b32 vcc_lo, exec_lo, s1
	s_mov_b32 s1, s14
	s_cbranch_vccnz .LBB23_16
; %bb.15:                               ;   in Loop: Header=BB23_9 Depth=1
	s_add_i32 s1, s14, -1
	s_mov_b32 s13, 0
	s_mov_b32 s15, s0
.LBB23_16:                              ;   in Loop: Header=BB23_9 Depth=1
	v_lshl_add_u32 v9, s14, 12, v0
	s_load_b64 s[4:5], s[4:5], 0x0
	s_delay_alu instid0(VALU_DEP_1) | instskip(NEXT) | instid1(VALU_DEP_1)
	v_ashrrev_i32_e32 v10, 31, v9
	v_lshlrev_b64 v[9:10], 2, v[9:10]
	s_delay_alu instid0(VALU_DEP_1) | instskip(NEXT) | instid1(VALU_DEP_2)
	v_add_co_u32 v9, vcc_lo, s18, v9
	v_add_co_ci_u32_e32 v10, vcc_lo, s19, v10, vcc_lo
	s_waitcnt lgkmcnt(0)
	v_max_f32_e64 v11, s4, s4
	global_load_b32 v10, v[9:10], off
	v_max_f32_e32 v9, v8, v8
	s_delay_alu instid0(VALU_DEP_1) | instskip(NEXT) | instid1(VALU_DEP_1)
	v_max_f32_e32 v9, v9, v11
	v_sub_f32_e32 v12, v8, v9
	s_delay_alu instid0(VALU_DEP_1) | instskip(NEXT) | instid1(VALU_DEP_1)
	v_dual_mul_f32 v14, 0x3fb8aa3b, v12 :: v_dual_sub_f32 v11, s4, v9
	v_rndne_f32_e32 v18, v14
	s_delay_alu instid0(VALU_DEP_2) | instskip(SKIP_2) | instid1(VALU_DEP_4)
	v_mul_f32_e32 v13, 0x3fb8aa3b, v11
	v_fma_f32 v17, 0x3fb8aa3b, v12, -v14
	v_cmp_ngt_f32_e32 vcc_lo, 0xc2ce8ed0, v11
	v_sub_f32_e32 v14, v14, v18
	s_delay_alu instid0(VALU_DEP_4) | instskip(SKIP_2) | instid1(VALU_DEP_3)
	v_fma_f32 v15, 0x3fb8aa3b, v11, -v13
	v_rndne_f32_e32 v16, v13
	v_fmac_f32_e32 v17, 0x32a5705f, v12
	v_fmac_f32_e32 v15, 0x32a5705f, v11
	s_delay_alu instid0(VALU_DEP_2) | instskip(NEXT) | instid1(VALU_DEP_1)
	v_dual_sub_f32 v13, v13, v16 :: v_dual_add_f32 v14, v14, v17
	v_add_f32_e32 v13, v13, v15
	s_delay_alu instid0(VALU_DEP_2) | instskip(SKIP_2) | instid1(VALU_DEP_3)
	v_exp_f32_e32 v14, v14
	v_cvt_i32_f32_e32 v15, v16
	v_cvt_i32_f32_e32 v16, v18
	v_exp_f32_e32 v13, v13
	s_waitcnt_depctr 0xfff
	v_ldexp_f32 v14, v14, v16
	v_ldexp_f32 v13, v13, v15
	s_delay_alu instid0(VALU_DEP_1) | instskip(SKIP_1) | instid1(VALU_DEP_4)
	v_cndmask_b32_e32 v13, 0, v13, vcc_lo
	v_cmp_ngt_f32_e32 vcc_lo, 0xc2ce8ed0, v12
	v_cndmask_b32_e32 v14, 0, v14, vcc_lo
	v_cmp_nlt_f32_e32 vcc_lo, 0x42b17218, v11
	s_delay_alu instid0(VALU_DEP_4) | instskip(SKIP_1) | instid1(VALU_DEP_4)
	v_cndmask_b32_e32 v13, 0x7f800000, v13, vcc_lo
	v_cmp_nlt_f32_e32 vcc_lo, 0x42b17218, v12
	v_cndmask_b32_e32 v14, 0x7f800000, v14, vcc_lo
	v_cmp_le_f32_e32 vcc_lo, 0xc1a00000, v11
	s_delay_alu instid0(VALU_DEP_4) | instskip(SKIP_1) | instid1(VALU_DEP_4)
	v_cndmask_b32_e32 v11, 0, v13, vcc_lo
	v_cmp_le_f32_e32 vcc_lo, 0xc1a00000, v12
	v_cndmask_b32_e32 v12, 0, v14, vcc_lo
	s_waitcnt vmcnt(0)
	s_delay_alu instid0(VALU_DEP_3) | instskip(NEXT) | instid1(VALU_DEP_1)
	v_mul_f32_e32 v10, v10, v11
	v_dual_mul_f32 v11, s5, v11 :: v_dual_fmac_f32 v10, v3, v12
	s_delay_alu instid0(VALU_DEP_1)
	v_fmac_f32_e32 v11, v7, v12
	s_cbranch_execz .LBB23_18
	s_branch .LBB23_19
.LBB23_17:                              ;   in Loop: Header=BB23_9 Depth=1
                                        ; implicit-def: $sgpr13
                                        ; implicit-def: $vgpr10
                                        ; implicit-def: $vgpr9
                                        ; implicit-def: $vgpr11
                                        ; implicit-def: $sgpr1
                                        ; implicit-def: $sgpr15
.LBB23_18:                              ;   in Loop: Header=BB23_9 Depth=1
	v_mov_b32_e32 v11, v7
	s_waitcnt vmcnt(0)
	v_dual_mov_b32 v9, v8 :: v_dual_mov_b32 v10, v3
	s_add_i32 s1, s14, -1
	s_mov_b32 s13, 0
	s_mov_b32 s15, s16
.LBB23_19:                              ;   in Loop: Header=BB23_9 Depth=1
	s_and_not1_b32 vcc_lo, exec_lo, s13
	s_cbranch_vccz .LBB23_23
; %bb.20:                               ;   in Loop: Header=BB23_9 Depth=1
	v_dual_mov_b32 v7, v11 :: v_dual_mov_b32 v8, v9
	s_waitcnt vmcnt(0)
	v_mov_b32_e32 v3, v10
	s_mov_b32 s16, s15
	s_mov_b32 s14, s1
	s_branch .LBB23_9
.LBB23_21:
                                        ; implicit-def: $sgpr16_sgpr17
	s_load_b128 s[8:11], s[0:1], 0x44
	s_branch .LBB23_2
.LBB23_22:
                                        ; implicit-def: $sgpr18_sgpr19
	s_branch .LBB23_5
.LBB23_23:
	v_div_scale_f32 v0, null, v11, v11, v10
	s_waitcnt vmcnt(0)
	s_delay_alu instid0(VALU_DEP_1) | instskip(SKIP_2) | instid1(VALU_DEP_1)
	v_rcp_f32_e32 v3, v0
	s_waitcnt_depctr 0xfff
	v_fma_f32 v4, -v0, v3, 1.0
	v_fmac_f32_e32 v3, v4, v3
	v_div_scale_f32 v4, vcc_lo, v10, v11, v10
	s_delay_alu instid0(VALU_DEP_1) | instskip(NEXT) | instid1(VALU_DEP_1)
	v_mul_f32_e32 v5, v4, v3
	v_fma_f32 v6, -v0, v5, v4
	s_delay_alu instid0(VALU_DEP_1) | instskip(NEXT) | instid1(VALU_DEP_1)
	v_fmac_f32_e32 v5, v6, v3
	v_fma_f32 v0, -v0, v5, v4
	s_delay_alu instid0(VALU_DEP_1) | instskip(NEXT) | instid1(VALU_DEP_1)
	v_div_fmas_f32 v0, v0, v3, v5
	v_div_fixup_f32 v0, v0, v11, v10
	global_store_b32 v[1:2], v0, off
.LBB23_24:
	s_nop 0
	s_sendmsg sendmsg(MSG_DEALLOC_VGPRS)
	s_endpgm
	.section	.rodata,"a",@progbits
	.p2align	6, 0x0
	.amdhsa_kernel _ZL33flash_attn_stream_k_fixup_generalILi128ELi8ELi4EEvPfPK15HIP_vector_typeIfLj2EEiiiiS1_IjLj3EES5_S5_S5_
		.amdhsa_group_segment_fixed_size 0
		.amdhsa_private_segment_fixed_size 0
		.amdhsa_kernarg_size 336
		.amdhsa_user_sgpr_count 13
		.amdhsa_user_sgpr_dispatch_ptr 0
		.amdhsa_user_sgpr_queue_ptr 0
		.amdhsa_user_sgpr_kernarg_segment_ptr 1
		.amdhsa_user_sgpr_dispatch_id 0
		.amdhsa_user_sgpr_private_segment_size 0
		.amdhsa_wavefront_size32 1
		.amdhsa_uses_dynamic_stack 0
		.amdhsa_enable_private_segment 0
		.amdhsa_system_sgpr_workgroup_id_x 1
		.amdhsa_system_sgpr_workgroup_id_y 1
		.amdhsa_system_sgpr_workgroup_id_z 1
		.amdhsa_system_sgpr_workgroup_info 0
		.amdhsa_system_vgpr_workitem_id 0
		.amdhsa_next_free_vgpr 19
		.amdhsa_next_free_sgpr 32
		.amdhsa_reserve_vcc 1
		.amdhsa_float_round_mode_32 0
		.amdhsa_float_round_mode_16_64 0
		.amdhsa_float_denorm_mode_32 3
		.amdhsa_float_denorm_mode_16_64 3
		.amdhsa_dx10_clamp 1
		.amdhsa_ieee_mode 1
		.amdhsa_fp16_overflow 0
		.amdhsa_workgroup_processor_mode 1
		.amdhsa_memory_ordered 1
		.amdhsa_forward_progress 0
		.amdhsa_shared_vgpr_count 0
		.amdhsa_exception_fp_ieee_invalid_op 0
		.amdhsa_exception_fp_denorm_src 0
		.amdhsa_exception_fp_ieee_div_zero 0
		.amdhsa_exception_fp_ieee_overflow 0
		.amdhsa_exception_fp_ieee_underflow 0
		.amdhsa_exception_fp_ieee_inexact 0
		.amdhsa_exception_int_div_zero 0
	.end_amdhsa_kernel
	.section	.text._ZL33flash_attn_stream_k_fixup_generalILi128ELi8ELi4EEvPfPK15HIP_vector_typeIfLj2EEiiiiS1_IjLj3EES5_S5_S5_,"axG",@progbits,_ZL33flash_attn_stream_k_fixup_generalILi128ELi8ELi4EEvPfPK15HIP_vector_typeIfLj2EEiiiiS1_IjLj3EES5_S5_S5_,comdat
.Lfunc_end23:
	.size	_ZL33flash_attn_stream_k_fixup_generalILi128ELi8ELi4EEvPfPK15HIP_vector_typeIfLj2EEiiiiS1_IjLj3EES5_S5_S5_, .Lfunc_end23-_ZL33flash_attn_stream_k_fixup_generalILi128ELi8ELi4EEvPfPK15HIP_vector_typeIfLj2EEiiiiS1_IjLj3EES5_S5_S5_
                                        ; -- End function
	.section	.AMDGPU.csdata,"",@progbits
; Kernel info:
; codeLenInByte = 3224
; NumSgprs: 34
; NumVgprs: 19
; ScratchSize: 0
; MemoryBound: 0
; FloatMode: 240
; IeeeMode: 1
; LDSByteSize: 0 bytes/workgroup (compile time only)
; SGPRBlocks: 4
; VGPRBlocks: 2
; NumSGPRsForWavesPerEU: 34
; NumVGPRsForWavesPerEU: 19
; Occupancy: 16
; WaveLimiterHint : 0
; COMPUTE_PGM_RSRC2:SCRATCH_EN: 0
; COMPUTE_PGM_RSRC2:USER_SGPR: 13
; COMPUTE_PGM_RSRC2:TRAP_HANDLER: 0
; COMPUTE_PGM_RSRC2:TGID_X_EN: 1
; COMPUTE_PGM_RSRC2:TGID_Y_EN: 1
; COMPUTE_PGM_RSRC2:TGID_Z_EN: 1
; COMPUTE_PGM_RSRC2:TIDIG_COMP_CNT: 0
	.section	.text._ZL15flash_attn_tileILi128ELi128ELi4ELi4ELb0EEvPKcS1_S1_S1_S1_PKiPfP15HIP_vector_typeIfLj2EEffffjfiS5_IjLj3EEiiiiiiiiiiiliiliiiiil,"axG",@progbits,_ZL15flash_attn_tileILi128ELi128ELi4ELi4ELb0EEvPKcS1_S1_S1_S1_PKiPfP15HIP_vector_typeIfLj2EEffffjfiS5_IjLj3EEiiiiiiiiiiiliiliiiiil,comdat
	.globl	_ZL15flash_attn_tileILi128ELi128ELi4ELi4ELb0EEvPKcS1_S1_S1_S1_PKiPfP15HIP_vector_typeIfLj2EEffffjfiS5_IjLj3EEiiiiiiiiiiiliiliiiiil ; -- Begin function _ZL15flash_attn_tileILi128ELi128ELi4ELi4ELb0EEvPKcS1_S1_S1_S1_PKiPfP15HIP_vector_typeIfLj2EEffffjfiS5_IjLj3EEiiiiiiiiiiiliiliiiiil
	.p2align	8
	.type	_ZL15flash_attn_tileILi128ELi128ELi4ELi4ELb0EEvPKcS1_S1_S1_S1_PKiPfP15HIP_vector_typeIfLj2EEffffjfiS5_IjLj3EEiiiiiiiiiiiliiliiiiil,@function
_ZL15flash_attn_tileILi128ELi128ELi4ELi4ELb0EEvPKcS1_S1_S1_S1_PKiPfP15HIP_vector_typeIfLj2EEffffjfiS5_IjLj3EEiiiiiiiiiiiliiliiiiil: ; @_ZL15flash_attn_tileILi128ELi128ELi4ELi4ELb0EEvPKcS1_S1_S1_S1_PKiPfP15HIP_vector_typeIfLj2EEffffjfiS5_IjLj3EEiiiiiiiiiiiliiliiiiil
; %bb.0:
	s_clause 0x1
	s_load_b128 s[36:39], s[0:1], 0x5c
	s_load_b64 s[34:35], s[0:1], 0x80
	s_mov_b64 s[40:41], 0
	s_waitcnt lgkmcnt(0)
	s_ashr_i32 s2, s39, 31
	s_delay_alu instid0(SALU_CYCLE_1) | instskip(NEXT) | instid1(SALU_CYCLE_1)
	s_lshr_b32 s2, s2, 30
	s_add_i32 s2, s39, s2
	s_delay_alu instid0(SALU_CYCLE_1) | instskip(NEXT) | instid1(SALU_CYCLE_1)
	s_ashr_i32 s2, s2, 2
	v_cvt_f32_u32_e32 v1, s2
	s_sub_i32 s4, 0, s2
	s_delay_alu instid0(VALU_DEP_1) | instskip(SKIP_2) | instid1(VALU_DEP_1)
	v_rcp_iflag_f32_e32 v1, v1
	s_waitcnt_depctr 0xfff
	v_mul_f32_e32 v1, 0x4f7ffffe, v1
	v_cvt_u32_f32_e32 v1, v1
	s_delay_alu instid0(VALU_DEP_1) | instskip(NEXT) | instid1(VALU_DEP_1)
	v_readfirstlane_b32 s3, v1
	s_mul_i32 s4, s4, s3
	s_delay_alu instid0(SALU_CYCLE_1) | instskip(NEXT) | instid1(SALU_CYCLE_1)
	s_mul_hi_u32 s4, s3, s4
	s_add_i32 s3, s3, s4
	s_delay_alu instid0(SALU_CYCLE_1) | instskip(NEXT) | instid1(SALU_CYCLE_1)
	s_mul_hi_u32 s3, s15, s3
	s_mul_i32 s4, s3, s2
	s_add_i32 s5, s3, 1
	s_sub_i32 s4, s15, s4
	s_delay_alu instid0(SALU_CYCLE_1)
	s_sub_i32 s6, s4, s2
	s_cmp_ge_u32 s4, s2
	s_cselect_b32 s3, s5, s3
	s_cselect_b32 s4, s6, s4
	s_add_i32 s5, s3, 1
	s_cmp_ge_u32 s4, s2
	s_cselect_b32 s11, s5, s3
	s_abs_i32 s2, s35
	s_abs_i32 s7, s39
	v_cvt_f32_u32_e32 v1, s2
	s_sub_i32 s4, 0, s2
	s_lshl_b32 s5, s15, 2
	s_mul_i32 s6, s11, s39
	s_delay_alu instid0(VALU_DEP_1) | instskip(SKIP_3) | instid1(VALU_DEP_1)
	v_rcp_iflag_f32_e32 v1, v1
	s_sub_i32 s15, s5, s6
	s_waitcnt_depctr 0xfff
	v_mul_f32_e32 v1, 0x4f7ffffe, v1
	v_cvt_u32_f32_e32 v1, v1
	s_delay_alu instid0(VALU_DEP_1) | instskip(NEXT) | instid1(VALU_DEP_1)
	v_readfirstlane_b32 s3, v1
	s_mul_i32 s4, s4, s3
	s_delay_alu instid0(SALU_CYCLE_1) | instskip(NEXT) | instid1(SALU_CYCLE_1)
	s_mul_hi_u32 s4, s3, s4
	s_add_i32 s3, s3, s4
	s_xor_b32 s4, s39, s35
	s_mul_hi_u32 s3, s7, s3
	s_ashr_i32 s4, s4, 31
	s_mul_i32 s5, s3, s2
	s_add_i32 s6, s3, 1
	s_sub_i32 s5, s7, s5
	s_delay_alu instid0(SALU_CYCLE_1)
	s_sub_i32 s7, s5, s2
	s_cmp_ge_u32 s5, s2
	s_cselect_b32 s3, s6, s3
	s_cselect_b32 s5, s7, s5
	s_add_i32 s6, s3, 1
	s_cmp_ge_u32 s5, s2
	s_cselect_b32 s2, s6, s3
	s_delay_alu instid0(SALU_CYCLE_1) | instskip(NEXT) | instid1(SALU_CYCLE_1)
	s_xor_b32 s2, s2, s4
	s_sub_i32 s9, s2, s4
	s_clause 0x1
	s_load_b512 s[16:31], s[0:1], 0x0
	s_load_b64 s[2:3], s[0:1], 0xb8
	s_abs_i32 s8, s9
	s_delay_alu instid0(SALU_CYCLE_1) | instskip(NEXT) | instid1(VALU_DEP_1)
	v_cvt_f32_u32_e32 v1, s8
	v_rcp_iflag_f32_e32 v1, v1
	s_waitcnt_depctr 0xfff
	v_mul_f32_e32 v1, 0x4f7ffffe, v1
	s_waitcnt lgkmcnt(0)
	s_cmp_eq_u64 s[22:23], 0
	s_delay_alu instid0(VALU_DEP_1) | instskip(NEXT) | instid1(VALU_DEP_1)
	v_cvt_u32_f32_e32 v1, v1
	v_readfirstlane_b32 s10, v1
	s_cbranch_scc1 .LBB24_2
; %bb.1:
	s_abs_i32 s2, s2
	s_abs_i32 s6, s11
	v_cvt_f32_u32_e32 v1, s2
	s_sub_i32 s5, 0, s2
	s_delay_alu instid0(VALU_DEP_1) | instskip(SKIP_2) | instid1(VALU_DEP_1)
	v_rcp_iflag_f32_e32 v1, v1
	s_waitcnt_depctr 0xfff
	v_mul_f32_e32 v1, 0x4f7ffffe, v1
	v_cvt_u32_f32_e32 v1, v1
	s_delay_alu instid0(VALU_DEP_1) | instskip(NEXT) | instid1(VALU_DEP_1)
	v_readfirstlane_b32 s4, v1
	s_mul_i32 s5, s5, s4
	s_delay_alu instid0(SALU_CYCLE_1) | instskip(NEXT) | instid1(SALU_CYCLE_1)
	s_mul_hi_u32 s5, s4, s5
	s_add_i32 s7, s4, s5
	s_load_b64 s[4:5], s[0:1], 0xc8
	s_mul_hi_u32 s7, s6, s7
	s_delay_alu instid0(SALU_CYCLE_1) | instskip(NEXT) | instid1(SALU_CYCLE_1)
	s_mul_i32 s7, s7, s2
	s_sub_i32 s6, s6, s7
	s_ashr_i32 s7, s11, 31
	s_sub_i32 s12, s6, s2
	s_cmp_ge_u32 s6, s2
	s_cselect_b32 s6, s12, s6
	s_delay_alu instid0(SALU_CYCLE_1) | instskip(SKIP_2) | instid1(SALU_CYCLE_1)
	s_sub_i32 s12, s6, s2
	s_cmp_ge_u32 s6, s2
	s_cselect_b32 s2, s12, s6
	s_xor_b32 s2, s2, s7
	s_delay_alu instid0(SALU_CYCLE_1)
	s_sub_i32 s2, s2, s7
	s_waitcnt lgkmcnt(0)
	s_mul_i32 s5, s2, s5
	s_mul_hi_u32 s6, s2, s4
	s_ashr_i32 s7, s2, 31
	s_add_i32 s5, s6, s5
	s_mul_i32 s7, s7, s4
	s_mul_i32 s2, s2, s4
	s_add_i32 s5, s5, s7
	s_add_u32 s40, s22, s2
	s_addc_u32 s41, s23, s5
.LBB24_2:
	v_bfe_u32 v2, v0, 10, 10
	s_load_b128 s[4:7], s[0:1], 0x70
	v_and_b32_e32 v33, 0x3ff, v0
	s_delay_alu instid0(VALU_DEP_2) | instskip(SKIP_1) | instid1(VALU_DEP_3)
	v_lshrrev_b32_e32 v1, 1, v2
	v_lshlrev_b32_e32 v3, 1, v2
	v_lshlrev_b32_e32 v0, 4, v33
	s_delay_alu instid0(VALU_DEP_3) | instskip(NEXT) | instid1(VALU_DEP_3)
	v_lshl_add_u32 v32, s13, 2, v1
	v_or_b32_e32 v13, 1, v3
	s_delay_alu instid0(VALU_DEP_2) | instskip(NEXT) | instid1(VALU_DEP_2)
	v_mul_hi_u32 v1, s36, v32
	v_lshlrev_b32_e32 v17, 6, v13
	s_waitcnt lgkmcnt(0)
	s_mul_i32 s2, s11, s6
	s_mul_i32 s6, s15, s5
	s_delay_alu instid0(VALU_DEP_2)
	v_add_nc_u32_e32 v1, v32, v1
	s_ashr_i32 s7, s2, 31
	s_add_u32 s2, s16, s2
	s_addc_u32 s7, s17, s7
	s_ashr_i32 s12, s6, 31
	v_lshrrev_b32_e32 v1, s37, v1
	s_add_u32 s2, s2, s6
	s_addc_u32 s6, s7, s12
	s_ashr_i32 s7, s4, 31
	s_delay_alu instid0(SALU_CYCLE_1) | instskip(SKIP_3) | instid1(SALU_CYCLE_1)
	v_alignbit_b32 v6, s7, s4, 2
	v_mul_lo_u32 v1, v1, s38
	s_lshr_b32 s7, s7, 2
	s_ashr_i32 s4, s5, 31
	v_alignbit_b32 v11, s4, s5, 2
	s_lshr_b32 s12, s4, 2
	s_cmp_eq_u64 s[26:27], 0
	s_delay_alu instid0(VALU_DEP_2) | instskip(NEXT) | instid1(VALU_DEP_1)
	v_sub_nc_u32_e32 v1, v32, v1
	v_mad_u64_u32 v[4:5], null, v6, v1, 0
	s_delay_alu instid0(VALU_DEP_1) | instskip(NEXT) | instid1(VALU_DEP_1)
	v_mad_u64_u32 v[6:7], null, s7, v1, v[5:6]
	v_dual_mov_b32 v5, v6 :: v_dual_and_b32 v14, 3, v13
	s_delay_alu instid0(VALU_DEP_1) | instskip(NEXT) | instid1(VALU_DEP_2)
	v_mad_u64_u32 v[7:8], null, v11, v14, 0
	v_lshlrev_b64 v[4:5], 2, v[4:5]
	s_delay_alu instid0(VALU_DEP_2) | instskip(NEXT) | instid1(VALU_DEP_2)
	v_dual_mov_b32 v6, v8 :: v_dual_and_b32 v71, 2, v3
	v_add_co_u32 v4, vcc_lo, s2, v4
	s_delay_alu instid0(VALU_DEP_3) | instskip(NEXT) | instid1(VALU_DEP_3)
	v_add_co_ci_u32_e32 v5, vcc_lo, s6, v5, vcc_lo
	v_mul_lo_u32 v12, s12, v71
	v_mad_u64_u32 v[9:10], null, v11, v71, 0
	s_delay_alu instid0(VALU_DEP_4) | instskip(SKIP_1) | instid1(VALU_DEP_2)
	v_add_co_u32 v0, vcc_lo, v4, v0
	s_load_b32 s2, s[0:1], 0x40
	v_or_b32_e32 v10, v10, v12
	v_mad_u64_u32 v[11:12], null, s12, v14, v[6:7]
	v_lshlrev_b32_e32 v12, 7, v2
	s_delay_alu instid0(VALU_DEP_3) | instskip(NEXT) | instid1(VALU_DEP_3)
	v_lshlrev_b64 v[9:10], 2, v[9:10]
	v_mov_b32_e32 v8, v11
	v_add_co_ci_u32_e32 v11, vcc_lo, 0, v5, vcc_lo
	s_delay_alu instid0(VALU_DEP_3) | instskip(NEXT) | instid1(VALU_DEP_3)
	v_add_co_u32 v6, vcc_lo, v0, v9
	v_lshlrev_b64 v[4:5], 2, v[7:8]
	s_delay_alu instid0(VALU_DEP_3) | instskip(NEXT) | instid1(VALU_DEP_2)
	v_add_co_ci_u32_e32 v7, vcc_lo, v11, v10, vcc_lo
	v_add_co_u32 v8, vcc_lo, v0, v4
	s_delay_alu instid0(VALU_DEP_3) | instskip(SKIP_4) | instid1(VALU_DEP_1)
	v_add_co_ci_u32_e32 v9, vcc_lo, v11, v5, vcc_lo
	s_clause 0x1
	global_load_b128 v[4:7], v[6:7], off
	global_load_b128 v[8:11], v[8:9], off
	v_lshlrev_b32_e32 v0, 1, v33
	v_add_lshl_u32 v16, v12, v0, 2
	v_add_lshl_u32 v0, v17, v0, 2
	s_waitcnt vmcnt(1) lgkmcnt(0)
	v_fma_mixlo_f16 v13, v6, s2, 0
	v_fma_mixlo_f16 v12, v4, s2, 0
	s_waitcnt vmcnt(0)
	v_fma_mixlo_f16 v15, v10, s2, 0
	v_fma_mixlo_f16 v14, v8, s2, 0
	v_fma_mixhi_f16 v13, v7, s2, 0
	v_fma_mixhi_f16 v12, v5, s2, 0
	s_delay_alu instid0(VALU_DEP_4) | instskip(NEXT) | instid1(VALU_DEP_4)
	v_fma_mixhi_f16 v15, v11, s2, 0
	v_fma_mixhi_f16 v14, v9, s2, 0
	ds_store_b64 v16, v[12:13] offset:38912
	ds_store_b64 v0, v[14:15] offset:38912
	s_waitcnt lgkmcnt(0)
	s_barrier
	buffer_gl0_inv
	s_cbranch_scc1 .LBB24_4
; %bb.3:
	s_load_b32 s2, s[0:1], 0xd0
	s_mov_b32 s5, 0
	s_waitcnt lgkmcnt(0)
	s_mul_i32 s2, s2, s11
	s_delay_alu instid0(SALU_CYCLE_1) | instskip(NEXT) | instid1(SALU_CYCLE_1)
	s_add_i32 s4, s2, s13
	s_lshl_b64 s[4:5], s[4:5], 2
	s_delay_alu instid0(SALU_CYCLE_1)
	s_add_u32 s4, s26, s4
	s_addc_u32 s5, s27, s5
	s_load_b32 s34, s[4:5], 0x0
.LBB24_4:
	v_mbcnt_lo_u32_b32 v73, -1, 0
	s_lshl_b32 s16, s14, 7
	s_waitcnt lgkmcnt(0)
	s_cmp_lt_i32 s16, s34
	s_cbranch_scc1 .LBB24_6
; %bb.5:
	v_mbcnt_lo_u32_b32 v0, -1, 0
	v_mov_b32_e32 v74, 32
	s_mov_b32 s2, 0
	s_mov_b32 s4, 0xfeffffff
	s_delay_alu instid0(VALU_DEP_2)
	v_xor_b32_e32 v79, 16, v0
	v_xor_b32_e32 v78, 8, v0
	;; [unrolled: 1-line block ×5, first 2 shown]
	s_branch .LBB24_7
.LBB24_6:
	s_mov_b32 s2, -1
                                        ; implicit-def: $sgpr4
                                        ; implicit-def: $vgpr0
                                        ; implicit-def: $vgpr74
                                        ; implicit-def: $vgpr79
                                        ; implicit-def: $vgpr78
                                        ; implicit-def: $vgpr77
                                        ; implicit-def: $vgpr76
                                        ; implicit-def: $vgpr75
.LBB24_7:
	s_delay_alu instid0(SALU_CYCLE_1) | instskip(SKIP_2) | instid1(VALU_DEP_3)
	v_cndmask_b32_e64 v4, 0, 1, s2
	v_dual_mov_b32 v36, s4 :: v_dual_mov_b32 v121, s2
	v_dual_mov_b32 v118, s2 :: v_dual_mov_b32 v35, s4
	v_cmp_ne_u32_e32 vcc_lo, 1, v4
	v_dual_mov_b32 v117, s2 :: v_dual_lshlrev_b32 v72, 2, v33
	v_dual_mov_b32 v122, s2 :: v_dual_mov_b32 v119, s2
	v_mov_b32_e32 v120, s2
	s_cbranch_vccnz .LBB24_11
; %bb.8:
	s_clause 0x1
	s_load_b128 s[4:7], s[0:1], 0x98
	s_load_b64 s[12:13], s[0:1], 0x8c
	s_sub_i32 s2, 0, s8
	s_abs_i32 s23, s15
	s_mul_i32 s2, s2, s10
	s_ashr_i32 s33, s15, 31
	s_mul_hi_u32 s2, s10, s2
	s_ashr_i32 s9, s9, 31
	s_add_i32 s10, s10, s2
	s_ashr_i32 s2, s3, 1
	s_mul_hi_u32 s3, s23, s10
	s_ashr_i32 s10, s11, 31
	s_load_b64 s[26:27], s[0:1], 0xa8
	s_mul_i32 s35, s3, s8
	v_lshrrev_b32_e32 v0, 4, v33
	v_mov_b32_e32 v119, 0
	v_dual_mov_b32 v74, 32 :: v_dual_and_b32 v31, 60, v72
	v_dual_mov_b32 v121, 0 :: v_dual_lshlrev_b32 v2, 9, v2
	s_waitcnt lgkmcnt(0)
	s_ashr_i32 s17, s6, 2
	s_mul_i32 s5, s11, s5
	s_mul_hi_u32 s6, s11, s4
	s_ashr_i32 s22, s12, 2
	s_mul_i32 s12, s10, s4
	s_add_i32 s5, s6, s5
	s_mul_i32 s4, s11, s4
	s_add_i32 s5, s5, s12
	s_add_u32 s4, s18, s4
	s_addc_u32 s5, s19, s5
	s_xor_b32 s6, s33, s9
	s_sub_i32 s9, s23, s35
	s_add_i32 s12, s3, 1
	s_sub_i32 s18, s9, s8
	s_cmp_ge_u32 s9, s8
	v_add_nc_u32_e32 v14, v0, v3
	s_cselect_b32 s3, s12, s3
	s_cselect_b32 s9, s18, s9
	s_add_i32 s12, s3, 1
	s_cmp_ge_u32 s9, s8
	s_mul_i32 s8, s11, s27
	s_cselect_b32 s3, s12, s3
	s_mul_hi_u32 s9, s11, s26
	s_xor_b32 s3, s3, s6
	s_mul_i32 s10, s10, s26
	s_sub_i32 s3, s3, s6
	v_mul_lo_u32 v3, s22, v14
	s_mul_i32 s6, s3, s13
	v_mul_lo_u32 v0, s17, v14
	s_ashr_i32 s13, s6, 31
	s_add_u32 s18, s4, s6
	s_addc_u32 s19, s5, s13
	s_add_i32 s4, s9, s8
	s_mul_i32 s12, s11, s26
	s_mul_i32 s3, s3, s7
	s_add_i32 s4, s4, s10
	s_add_u32 s5, s20, s12
	s_addc_u32 s4, s21, s4
	s_ashr_i32 s6, s3, 31
	s_add_u32 s20, s5, s3
	s_addc_u32 s21, s4, s6
	s_lshl_b32 s3, s22, 4
	s_lshl_b32 s4, s17, 4
	v_dual_mov_b32 v120, 0 :: v_dual_add_nc_u32 v5, s3, v3
	v_dual_mov_b32 v122, 0 :: v_dual_add_nc_u32 v13, s4, v0
	s_delay_alu instid0(VALU_DEP_2) | instskip(SKIP_1) | instid1(VALU_DEP_3)
	v_dual_mov_b32 v36, 0xfeffffff :: v_dual_add_nc_u32 v7, s3, v5
	v_lshlrev_b32_e32 v18, 2, v31
	v_add_nc_u32_e32 v17, s4, v13
	v_mad_u64_u32 v[34:35], null, v1, s2, v[33:34]
	v_mov_b32_e32 v35, 0xfeffffff
	v_add_nc_u32_e32 v9, s3, v7
	s_delay_alu instid0(VALU_DEP_4)
	v_add_nc_u32_e32 v21, s4, v17
	v_mad_u32_u24 v80, 0x110, v14, v18
	v_ashrrev_i32_e32 v4, 31, v3
	v_ashrrev_i32_e32 v6, 31, v5
	v_add_nc_u32_e32 v11, s3, v9
	v_add_nc_u32_e32 v25, s4, v21
	v_ashrrev_i32_e32 v8, 31, v7
	v_ashrrev_i32_e32 v10, 31, v9
	v_lshl_or_b32 v90, v14, 8, v18
	v_add_nc_u32_e32 v15, s3, v11
	v_add_nc_u32_e32 v27, s4, v25
	v_ashrrev_i32_e32 v12, 31, v11
	v_ashrrev_i32_e32 v1, 31, v0
	v_ashrrev_i32_e32 v14, 31, v13
	v_add_nc_u32_e32 v19, s3, v15
	v_add_nc_u32_e32 v29, s4, v27
	v_ashrrev_i32_e32 v16, 31, v15
	v_ashrrev_i32_e32 v18, 31, v17
	v_ashrrev_i32_e32 v22, 31, v21
	;; [unrolled: 5-line block ×3, first 2 shown]
	v_ashrrev_i32_e32 v24, 31, v23
	v_ashrrev_i32_e32 v30, 31, v29
	;; [unrolled: 1-line block ×3, first 2 shown]
	v_add_nc_u32_e32 v91, 0x8800, v2
	v_lshlrev_b32_e32 v99, 3, v33
	v_lshlrev_b64 v[37:38], 2, v[3:4]
	v_lshlrev_b64 v[39:40], 2, v[5:6]
	;; [unrolled: 1-line block ×16, first 2 shown]
	v_mul_u32_u24_e32 v81, 0x110, v33
	v_dual_mov_b32 v117, 0 :: v_dual_add_nc_u32 v82, 0x9800, v2
	v_dual_mov_b32 v118, 0 :: v_dual_add_nc_u32 v83, 0x1100, v80
	v_add_nc_u32_e32 v84, 0x2200, v80
	v_add_nc_u32_e32 v85, 0x3300, v80
	;; [unrolled: 1-line block ×13, first 2 shown]
	v_lshlrev_b32_e32 v100, 2, v31
	v_xor_b32_e32 v79, 16, v73
	v_xor_b32_e32 v78, 8, v73
	v_xor_b32_e32 v77, 4, v73
	v_xor_b32_e32 v76, 2, v73
	v_xor_b32_e32 v75, 1, v73
	v_add_nc_u32_e32 v101, v91, v72
	v_add_nc_u32_e32 v102, 0x800, v99
	;; [unrolled: 1-line block ×16, first 2 shown]
	s_add_u32 s12, s0, 0xd0
	s_addc_u32 s13, s1, 0
.LBB24_9:                               ; =>This Inner Loop Header: Depth=1
	s_mul_hi_i32 s3, s16, s22
	s_mul_i32 s2, s16, s22
	v_dual_mov_b32 v123, 0 :: v_dual_mov_b32 v124, 0
	s_lshl_b64 s[2:3], s[2:3], 2
	v_dual_mov_b32 v125, 0 :: v_dual_mov_b32 v126, 0
	s_add_u32 s8, s18, s2
	s_addc_u32 s9, s19, s3
	v_add_co_u32 v0, vcc_lo, s8, v39
	v_add_co_u32 v1, s2, s8, v41
	v_add_co_u32 v2, s3, s8, v43
	;; [unrolled: 1-line block ×7, first 2 shown]
	s_delay_alu instid0(VALU_DEP_1)
	v_add_co_ci_u32_e64 v10, s8, s9, v38, s8
	v_add_co_ci_u32_e32 v11, vcc_lo, s9, v40, vcc_lo
	v_add_co_ci_u32_e64 v13, vcc_lo, s9, v42, s2
	v_add_co_ci_u32_e64 v14, vcc_lo, s9, v44, s3
	;; [unrolled: 1-line block ×6, first 2 shown]
	v_add_co_u32 v4, vcc_lo, v0, v100
	v_add_co_u32 v0, s8, v9, v100
	v_add_co_u32 v8, s2, v1, v100
	v_add_co_ci_u32_e64 v1, s8, 0, v10, s8
	v_add_co_u32 v12, s3, v2, v100
	v_add_co_u32 v20, s5, v5, v100
	v_add_co_ci_u32_e32 v5, vcc_lo, 0, v11, vcc_lo
	v_add_co_u32 v16, s4, v3, v100
	v_add_co_u32 v24, s6, v6, v100
	;; [unrolled: 1-line block ×3, first 2 shown]
	v_add_co_ci_u32_e64 v9, vcc_lo, 0, v13, s2
	v_add_co_ci_u32_e64 v13, vcc_lo, 0, v14, s3
	;; [unrolled: 1-line block ×6, first 2 shown]
	s_clause 0x7
	global_load_b128 v[0:3], v[0:1], off
	global_load_b128 v[4:7], v[4:5], off
	;; [unrolled: 1-line block ×8, first 2 shown]
	v_dual_mov_b32 v130, 0 :: v_dual_add_nc_u32 v69, s16, v34
	v_dual_mov_b32 v129, 0 :: v_dual_mov_b32 v128, 0
	v_mov_b32_e32 v127, 0
	s_delay_alu instid0(VALU_DEP_3)
	v_ashrrev_i32_e32 v70, 31, v69
	s_mul_hi_i32 s3, s16, s17
	s_mul_i32 s2, s16, s17
	s_waitcnt vmcnt(7)
	ds_store_b128 v80, v[0:3]
	s_waitcnt vmcnt(6)
	ds_store_b128 v83, v[4:7]
	;; [unrolled: 2-line block ×8, first 2 shown]
	s_waitcnt lgkmcnt(0)
	s_barrier
	buffer_gl0_inv
	ds_load_b128 v[0:3], v81
	ds_load_b128 v[4:7], v82
	ds_load_b128 v[8:11], v82 offset:256
	ds_load_b128 v[12:15], v81 offset:8704
	;; [unrolled: 1-line block ×4, first 2 shown]
	s_waitcnt lgkmcnt(4)
	;;#ASMSTART
	v_dot2_f32_f16 v123, v0, v4, v123
	;;#ASMEND
	;;#ASMSTART
	v_dot2_f32_f16 v123, v1, v5, v123
	;;#ASMEND
	;;#ASMSTART
	v_dot2_f32_f16 v123, v2, v6, v123
	;;#ASMEND
	;;#ASMSTART
	v_dot2_f32_f16 v123, v3, v7, v123
	;;#ASMEND
	s_waitcnt lgkmcnt(3)
	;;#ASMSTART
	v_dot2_f32_f16 v124, v0, v8, v124
	;;#ASMEND
	;;#ASMSTART
	v_dot2_f32_f16 v124, v1, v9, v124
	;;#ASMEND
	;;#ASMSTART
	v_dot2_f32_f16 v124, v2, v10, v124
	;;#ASMEND
	;;#ASMSTART
	v_dot2_f32_f16 v124, v3, v11, v124
	;;#ASMEND
	;; [unrolled: 13-line block ×3, first 2 shown]
	;;#ASMSTART
	v_dot2_f32_f16 v126, v12, v8, v126
	;;#ASMEND
	;;#ASMSTART
	v_dot2_f32_f16 v126, v13, v9, v126
	;;#ASMEND
	;; [unrolled: 3-line block ×4, first 2 shown]
	s_waitcnt lgkmcnt(1)
	;;#ASMSTART
	v_dot2_f32_f16 v130, v16, v4, v130
	;;#ASMEND
	;;#ASMSTART
	v_dot2_f32_f16 v130, v17, v5, v130
	;;#ASMEND
	;; [unrolled: 3-line block ×8, first 2 shown]
	s_waitcnt lgkmcnt(0)
	;;#ASMSTART
	v_dot2_f32_f16 v127, v20, v4, v127
	;;#ASMEND
	;;#ASMSTART
	v_dot2_f32_f16 v127, v21, v5, v127
	;;#ASMEND
	;; [unrolled: 3-line block ×8, first 2 shown]
	ds_load_b128 v[0:3], v81 offset:16
	ds_load_b128 v[4:7], v82 offset:16
	;; [unrolled: 1-line block ×6, first 2 shown]
	s_waitcnt lgkmcnt(4)
	;;#ASMSTART
	v_dot2_f32_f16 v123, v0, v4, v123
	;;#ASMEND
	;;#ASMSTART
	v_dot2_f32_f16 v123, v1, v5, v123
	;;#ASMEND
	;;#ASMSTART
	v_dot2_f32_f16 v123, v2, v6, v123
	;;#ASMEND
	;;#ASMSTART
	v_dot2_f32_f16 v123, v3, v7, v123
	;;#ASMEND
	s_waitcnt lgkmcnt(3)
	;;#ASMSTART
	v_dot2_f32_f16 v124, v0, v8, v124
	;;#ASMEND
	;;#ASMSTART
	v_dot2_f32_f16 v124, v1, v9, v124
	;;#ASMEND
	;;#ASMSTART
	v_dot2_f32_f16 v124, v2, v10, v124
	;;#ASMEND
	;;#ASMSTART
	v_dot2_f32_f16 v124, v3, v11, v124
	;;#ASMEND
	;; [unrolled: 13-line block ×3, first 2 shown]
	;;#ASMSTART
	v_dot2_f32_f16 v126, v12, v8, v126
	;;#ASMEND
	;;#ASMSTART
	v_dot2_f32_f16 v126, v13, v9, v126
	;;#ASMEND
	;; [unrolled: 3-line block ×4, first 2 shown]
	s_waitcnt lgkmcnt(1)
	;;#ASMSTART
	v_dot2_f32_f16 v130, v16, v4, v130
	;;#ASMEND
	;;#ASMSTART
	v_dot2_f32_f16 v130, v17, v5, v130
	;;#ASMEND
	;; [unrolled: 3-line block ×8, first 2 shown]
	s_waitcnt lgkmcnt(0)
	;;#ASMSTART
	v_dot2_f32_f16 v127, v20, v4, v127
	;;#ASMEND
	;;#ASMSTART
	v_dot2_f32_f16 v127, v21, v5, v127
	;;#ASMEND
	;; [unrolled: 3-line block ×8, first 2 shown]
	ds_load_b128 v[0:3], v81 offset:32
	ds_load_b128 v[4:7], v82 offset:32
	;; [unrolled: 1-line block ×6, first 2 shown]
	s_waitcnt lgkmcnt(4)
	;;#ASMSTART
	v_dot2_f32_f16 v123, v0, v4, v123
	;;#ASMEND
	;;#ASMSTART
	v_dot2_f32_f16 v123, v1, v5, v123
	;;#ASMEND
	;;#ASMSTART
	v_dot2_f32_f16 v123, v2, v6, v123
	;;#ASMEND
	;;#ASMSTART
	v_dot2_f32_f16 v123, v3, v7, v123
	;;#ASMEND
	s_waitcnt lgkmcnt(3)
	;;#ASMSTART
	v_dot2_f32_f16 v124, v0, v8, v124
	;;#ASMEND
	;;#ASMSTART
	v_dot2_f32_f16 v124, v1, v9, v124
	;;#ASMEND
	;;#ASMSTART
	v_dot2_f32_f16 v124, v2, v10, v124
	;;#ASMEND
	;;#ASMSTART
	v_dot2_f32_f16 v124, v3, v11, v124
	;;#ASMEND
	;; [unrolled: 13-line block ×3, first 2 shown]
	;;#ASMSTART
	v_dot2_f32_f16 v126, v12, v8, v126
	;;#ASMEND
	;;#ASMSTART
	v_dot2_f32_f16 v126, v13, v9, v126
	;;#ASMEND
	;; [unrolled: 3-line block ×4, first 2 shown]
	s_waitcnt lgkmcnt(1)
	;;#ASMSTART
	v_dot2_f32_f16 v130, v16, v4, v130
	;;#ASMEND
	;;#ASMSTART
	v_dot2_f32_f16 v130, v17, v5, v130
	;;#ASMEND
	;; [unrolled: 3-line block ×8, first 2 shown]
	s_waitcnt lgkmcnt(0)
	;;#ASMSTART
	v_dot2_f32_f16 v127, v20, v4, v127
	;;#ASMEND
	;;#ASMSTART
	v_dot2_f32_f16 v127, v21, v5, v127
	;;#ASMEND
	;; [unrolled: 3-line block ×8, first 2 shown]
	ds_load_b128 v[0:3], v81 offset:48
	ds_load_b128 v[4:7], v82 offset:48
	;; [unrolled: 1-line block ×6, first 2 shown]
	s_waitcnt lgkmcnt(4)
	;;#ASMSTART
	v_dot2_f32_f16 v123, v0, v4, v123
	;;#ASMEND
	;;#ASMSTART
	v_dot2_f32_f16 v123, v1, v5, v123
	;;#ASMEND
	;;#ASMSTART
	v_dot2_f32_f16 v123, v2, v6, v123
	;;#ASMEND
	;;#ASMSTART
	v_dot2_f32_f16 v123, v3, v7, v123
	;;#ASMEND
	s_waitcnt lgkmcnt(3)
	;;#ASMSTART
	v_dot2_f32_f16 v124, v0, v8, v124
	;;#ASMEND
	;;#ASMSTART
	v_dot2_f32_f16 v124, v1, v9, v124
	;;#ASMEND
	;;#ASMSTART
	v_dot2_f32_f16 v124, v2, v10, v124
	;;#ASMEND
	;;#ASMSTART
	v_dot2_f32_f16 v124, v3, v11, v124
	;;#ASMEND
	;; [unrolled: 13-line block ×3, first 2 shown]
	;;#ASMSTART
	v_dot2_f32_f16 v126, v12, v8, v126
	;;#ASMEND
	;;#ASMSTART
	v_dot2_f32_f16 v126, v13, v9, v126
	;;#ASMEND
	;; [unrolled: 3-line block ×4, first 2 shown]
	s_waitcnt lgkmcnt(1)
	;;#ASMSTART
	v_dot2_f32_f16 v130, v16, v4, v130
	;;#ASMEND
	;;#ASMSTART
	v_dot2_f32_f16 v130, v17, v5, v130
	;;#ASMEND
	;; [unrolled: 3-line block ×8, first 2 shown]
	s_waitcnt lgkmcnt(0)
	;;#ASMSTART
	v_dot2_f32_f16 v127, v20, v4, v127
	;;#ASMEND
	;;#ASMSTART
	v_dot2_f32_f16 v127, v21, v5, v127
	;;#ASMEND
	;; [unrolled: 3-line block ×8, first 2 shown]
	ds_load_b128 v[0:3], v81 offset:64
	ds_load_b128 v[4:7], v82 offset:64
	;; [unrolled: 1-line block ×6, first 2 shown]
	s_waitcnt lgkmcnt(4)
	;;#ASMSTART
	v_dot2_f32_f16 v123, v0, v4, v123
	;;#ASMEND
	;;#ASMSTART
	v_dot2_f32_f16 v123, v1, v5, v123
	;;#ASMEND
	;;#ASMSTART
	v_dot2_f32_f16 v123, v2, v6, v123
	;;#ASMEND
	;;#ASMSTART
	v_dot2_f32_f16 v123, v3, v7, v123
	;;#ASMEND
	s_waitcnt lgkmcnt(3)
	;;#ASMSTART
	v_dot2_f32_f16 v124, v0, v8, v124
	;;#ASMEND
	;;#ASMSTART
	v_dot2_f32_f16 v124, v1, v9, v124
	;;#ASMEND
	;;#ASMSTART
	v_dot2_f32_f16 v124, v2, v10, v124
	;;#ASMEND
	;;#ASMSTART
	v_dot2_f32_f16 v124, v3, v11, v124
	;;#ASMEND
	;; [unrolled: 13-line block ×3, first 2 shown]
	;;#ASMSTART
	v_dot2_f32_f16 v126, v12, v8, v126
	;;#ASMEND
	;;#ASMSTART
	v_dot2_f32_f16 v126, v13, v9, v126
	;;#ASMEND
	;; [unrolled: 3-line block ×4, first 2 shown]
	s_waitcnt lgkmcnt(1)
	;;#ASMSTART
	v_dot2_f32_f16 v130, v16, v4, v130
	;;#ASMEND
	;;#ASMSTART
	v_dot2_f32_f16 v130, v17, v5, v130
	;;#ASMEND
	;; [unrolled: 3-line block ×8, first 2 shown]
	s_waitcnt lgkmcnt(0)
	;;#ASMSTART
	v_dot2_f32_f16 v127, v20, v4, v127
	;;#ASMEND
	;;#ASMSTART
	v_dot2_f32_f16 v127, v21, v5, v127
	;;#ASMEND
	;; [unrolled: 3-line block ×8, first 2 shown]
	ds_load_b128 v[0:3], v81 offset:80
	ds_load_b128 v[4:7], v82 offset:80
	;; [unrolled: 1-line block ×6, first 2 shown]
	s_waitcnt lgkmcnt(4)
	;;#ASMSTART
	v_dot2_f32_f16 v123, v0, v4, v123
	;;#ASMEND
	;;#ASMSTART
	v_dot2_f32_f16 v123, v1, v5, v123
	;;#ASMEND
	;;#ASMSTART
	v_dot2_f32_f16 v123, v2, v6, v123
	;;#ASMEND
	;;#ASMSTART
	v_dot2_f32_f16 v123, v3, v7, v123
	;;#ASMEND
	s_waitcnt lgkmcnt(3)
	;;#ASMSTART
	v_dot2_f32_f16 v124, v0, v8, v124
	;;#ASMEND
	;;#ASMSTART
	v_dot2_f32_f16 v124, v1, v9, v124
	;;#ASMEND
	;;#ASMSTART
	v_dot2_f32_f16 v124, v2, v10, v124
	;;#ASMEND
	;;#ASMSTART
	v_dot2_f32_f16 v124, v3, v11, v124
	;;#ASMEND
	;; [unrolled: 13-line block ×3, first 2 shown]
	;;#ASMSTART
	v_dot2_f32_f16 v126, v12, v8, v126
	;;#ASMEND
	;;#ASMSTART
	v_dot2_f32_f16 v126, v13, v9, v126
	;;#ASMEND
	;; [unrolled: 3-line block ×4, first 2 shown]
	s_waitcnt lgkmcnt(1)
	;;#ASMSTART
	v_dot2_f32_f16 v130, v16, v4, v130
	;;#ASMEND
	;;#ASMSTART
	v_dot2_f32_f16 v130, v17, v5, v130
	;;#ASMEND
	;; [unrolled: 3-line block ×8, first 2 shown]
	s_waitcnt lgkmcnt(0)
	;;#ASMSTART
	v_dot2_f32_f16 v127, v20, v4, v127
	;;#ASMEND
	;;#ASMSTART
	v_dot2_f32_f16 v127, v21, v5, v127
	;;#ASMEND
	;; [unrolled: 3-line block ×8, first 2 shown]
	ds_load_b128 v[0:3], v81 offset:96
	ds_load_b128 v[4:7], v82 offset:96
	;; [unrolled: 1-line block ×6, first 2 shown]
	s_waitcnt lgkmcnt(4)
	;;#ASMSTART
	v_dot2_f32_f16 v123, v0, v4, v123
	;;#ASMEND
	;;#ASMSTART
	v_dot2_f32_f16 v123, v1, v5, v123
	;;#ASMEND
	;;#ASMSTART
	v_dot2_f32_f16 v123, v2, v6, v123
	;;#ASMEND
	;;#ASMSTART
	v_dot2_f32_f16 v123, v3, v7, v123
	;;#ASMEND
	s_waitcnt lgkmcnt(3)
	;;#ASMSTART
	v_dot2_f32_f16 v124, v0, v8, v124
	;;#ASMEND
	;;#ASMSTART
	v_dot2_f32_f16 v124, v1, v9, v124
	;;#ASMEND
	;;#ASMSTART
	v_dot2_f32_f16 v124, v2, v10, v124
	;;#ASMEND
	;;#ASMSTART
	v_dot2_f32_f16 v124, v3, v11, v124
	;;#ASMEND
	;; [unrolled: 13-line block ×3, first 2 shown]
	;;#ASMSTART
	v_dot2_f32_f16 v126, v12, v8, v126
	;;#ASMEND
	;;#ASMSTART
	v_dot2_f32_f16 v126, v13, v9, v126
	;;#ASMEND
	;; [unrolled: 3-line block ×4, first 2 shown]
	s_waitcnt lgkmcnt(1)
	;;#ASMSTART
	v_dot2_f32_f16 v130, v16, v4, v130
	;;#ASMEND
	;;#ASMSTART
	v_dot2_f32_f16 v130, v17, v5, v130
	;;#ASMEND
	;; [unrolled: 3-line block ×8, first 2 shown]
	s_waitcnt lgkmcnt(0)
	;;#ASMSTART
	v_dot2_f32_f16 v127, v20, v4, v127
	;;#ASMEND
	;;#ASMSTART
	v_dot2_f32_f16 v127, v21, v5, v127
	;;#ASMEND
	;; [unrolled: 3-line block ×8, first 2 shown]
	ds_load_b128 v[0:3], v81 offset:112
	ds_load_b128 v[4:7], v82 offset:112
	;; [unrolled: 1-line block ×6, first 2 shown]
	s_waitcnt lgkmcnt(4)
	;;#ASMSTART
	v_dot2_f32_f16 v123, v0, v4, v123
	;;#ASMEND
	;;#ASMSTART
	v_dot2_f32_f16 v123, v1, v5, v123
	;;#ASMEND
	;;#ASMSTART
	v_dot2_f32_f16 v123, v2, v6, v123
	;;#ASMEND
	;;#ASMSTART
	v_dot2_f32_f16 v123, v3, v7, v123
	;;#ASMEND
	s_waitcnt lgkmcnt(3)
	;;#ASMSTART
	v_dot2_f32_f16 v124, v0, v8, v124
	;;#ASMEND
	;;#ASMSTART
	v_dot2_f32_f16 v124, v1, v9, v124
	;;#ASMEND
	;;#ASMSTART
	v_dot2_f32_f16 v124, v2, v10, v124
	;;#ASMEND
	;;#ASMSTART
	v_dot2_f32_f16 v124, v3, v11, v124
	;;#ASMEND
	;; [unrolled: 13-line block ×3, first 2 shown]
	;;#ASMSTART
	v_dot2_f32_f16 v126, v12, v8, v126
	;;#ASMEND
	;;#ASMSTART
	v_dot2_f32_f16 v126, v13, v9, v126
	;;#ASMEND
	;; [unrolled: 3-line block ×4, first 2 shown]
	s_waitcnt lgkmcnt(1)
	;;#ASMSTART
	v_dot2_f32_f16 v130, v16, v4, v130
	;;#ASMEND
	;;#ASMSTART
	v_dot2_f32_f16 v130, v17, v5, v130
	;;#ASMEND
	;; [unrolled: 3-line block ×8, first 2 shown]
	s_waitcnt lgkmcnt(0)
	;;#ASMSTART
	v_dot2_f32_f16 v127, v20, v4, v127
	;;#ASMEND
	;;#ASMSTART
	v_dot2_f32_f16 v127, v21, v5, v127
	;;#ASMEND
	;; [unrolled: 3-line block ×8, first 2 shown]
	ds_load_b128 v[0:3], v81 offset:128
	ds_load_b128 v[4:7], v82 offset:128
	;; [unrolled: 1-line block ×6, first 2 shown]
	s_waitcnt lgkmcnt(4)
	;;#ASMSTART
	v_dot2_f32_f16 v123, v0, v4, v123
	;;#ASMEND
	;;#ASMSTART
	v_dot2_f32_f16 v123, v1, v5, v123
	;;#ASMEND
	;;#ASMSTART
	v_dot2_f32_f16 v123, v2, v6, v123
	;;#ASMEND
	;;#ASMSTART
	v_dot2_f32_f16 v123, v3, v7, v123
	;;#ASMEND
	s_waitcnt lgkmcnt(3)
	;;#ASMSTART
	v_dot2_f32_f16 v124, v0, v8, v124
	;;#ASMEND
	;;#ASMSTART
	v_dot2_f32_f16 v124, v1, v9, v124
	;;#ASMEND
	;;#ASMSTART
	v_dot2_f32_f16 v124, v2, v10, v124
	;;#ASMEND
	;;#ASMSTART
	v_dot2_f32_f16 v124, v3, v11, v124
	;;#ASMEND
	;; [unrolled: 13-line block ×3, first 2 shown]
	;;#ASMSTART
	v_dot2_f32_f16 v126, v12, v8, v126
	;;#ASMEND
	;;#ASMSTART
	v_dot2_f32_f16 v126, v13, v9, v126
	;;#ASMEND
	;; [unrolled: 3-line block ×4, first 2 shown]
	s_waitcnt lgkmcnt(1)
	;;#ASMSTART
	v_dot2_f32_f16 v130, v16, v4, v130
	;;#ASMEND
	;;#ASMSTART
	v_dot2_f32_f16 v130, v17, v5, v130
	;;#ASMEND
	;; [unrolled: 3-line block ×8, first 2 shown]
	s_waitcnt lgkmcnt(0)
	;;#ASMSTART
	v_dot2_f32_f16 v127, v20, v4, v127
	;;#ASMEND
	;;#ASMSTART
	v_dot2_f32_f16 v127, v21, v5, v127
	;;#ASMEND
	;; [unrolled: 3-line block ×8, first 2 shown]
	ds_load_b128 v[0:3], v81 offset:144
	ds_load_b128 v[4:7], v82 offset:144
	;; [unrolled: 1-line block ×6, first 2 shown]
	s_waitcnt lgkmcnt(4)
	;;#ASMSTART
	v_dot2_f32_f16 v123, v0, v4, v123
	;;#ASMEND
	;;#ASMSTART
	v_dot2_f32_f16 v123, v1, v5, v123
	;;#ASMEND
	;;#ASMSTART
	v_dot2_f32_f16 v123, v2, v6, v123
	;;#ASMEND
	;;#ASMSTART
	v_dot2_f32_f16 v123, v3, v7, v123
	;;#ASMEND
	s_waitcnt lgkmcnt(3)
	;;#ASMSTART
	v_dot2_f32_f16 v124, v0, v8, v124
	;;#ASMEND
	;;#ASMSTART
	v_dot2_f32_f16 v124, v1, v9, v124
	;;#ASMEND
	;;#ASMSTART
	v_dot2_f32_f16 v124, v2, v10, v124
	;;#ASMEND
	;;#ASMSTART
	v_dot2_f32_f16 v124, v3, v11, v124
	;;#ASMEND
	;; [unrolled: 13-line block ×3, first 2 shown]
	;;#ASMSTART
	v_dot2_f32_f16 v126, v12, v8, v126
	;;#ASMEND
	;;#ASMSTART
	v_dot2_f32_f16 v126, v13, v9, v126
	;;#ASMEND
	;; [unrolled: 3-line block ×4, first 2 shown]
	s_waitcnt lgkmcnt(1)
	;;#ASMSTART
	v_dot2_f32_f16 v130, v16, v4, v130
	;;#ASMEND
	;;#ASMSTART
	v_dot2_f32_f16 v130, v17, v5, v130
	;;#ASMEND
	;; [unrolled: 3-line block ×8, first 2 shown]
	s_waitcnt lgkmcnt(0)
	;;#ASMSTART
	v_dot2_f32_f16 v127, v20, v4, v127
	;;#ASMEND
	;;#ASMSTART
	v_dot2_f32_f16 v127, v21, v5, v127
	;;#ASMEND
	;; [unrolled: 3-line block ×8, first 2 shown]
	ds_load_b128 v[0:3], v81 offset:160
	ds_load_b128 v[4:7], v82 offset:160
	;; [unrolled: 1-line block ×6, first 2 shown]
	s_waitcnt lgkmcnt(4)
	;;#ASMSTART
	v_dot2_f32_f16 v123, v0, v4, v123
	;;#ASMEND
	;;#ASMSTART
	v_dot2_f32_f16 v123, v1, v5, v123
	;;#ASMEND
	;;#ASMSTART
	v_dot2_f32_f16 v123, v2, v6, v123
	;;#ASMEND
	;;#ASMSTART
	v_dot2_f32_f16 v123, v3, v7, v123
	;;#ASMEND
	s_waitcnt lgkmcnt(3)
	;;#ASMSTART
	v_dot2_f32_f16 v124, v0, v8, v124
	;;#ASMEND
	;;#ASMSTART
	v_dot2_f32_f16 v124, v1, v9, v124
	;;#ASMEND
	;;#ASMSTART
	v_dot2_f32_f16 v124, v2, v10, v124
	;;#ASMEND
	;;#ASMSTART
	v_dot2_f32_f16 v124, v3, v11, v124
	;;#ASMEND
	;; [unrolled: 13-line block ×3, first 2 shown]
	;;#ASMSTART
	v_dot2_f32_f16 v126, v12, v8, v126
	;;#ASMEND
	;;#ASMSTART
	v_dot2_f32_f16 v126, v13, v9, v126
	;;#ASMEND
	;; [unrolled: 3-line block ×4, first 2 shown]
	s_waitcnt lgkmcnt(1)
	;;#ASMSTART
	v_dot2_f32_f16 v130, v16, v4, v130
	;;#ASMEND
	;;#ASMSTART
	v_dot2_f32_f16 v130, v17, v5, v130
	;;#ASMEND
	;; [unrolled: 3-line block ×8, first 2 shown]
	s_waitcnt lgkmcnt(0)
	;;#ASMSTART
	v_dot2_f32_f16 v127, v20, v4, v127
	;;#ASMEND
	;;#ASMSTART
	v_dot2_f32_f16 v127, v21, v5, v127
	;;#ASMEND
	;; [unrolled: 3-line block ×8, first 2 shown]
	ds_load_b128 v[0:3], v81 offset:176
	ds_load_b128 v[4:7], v82 offset:176
	;; [unrolled: 1-line block ×6, first 2 shown]
	s_waitcnt lgkmcnt(4)
	;;#ASMSTART
	v_dot2_f32_f16 v123, v0, v4, v123
	;;#ASMEND
	;;#ASMSTART
	v_dot2_f32_f16 v123, v1, v5, v123
	;;#ASMEND
	;;#ASMSTART
	v_dot2_f32_f16 v123, v2, v6, v123
	;;#ASMEND
	;;#ASMSTART
	v_dot2_f32_f16 v123, v3, v7, v123
	;;#ASMEND
	s_waitcnt lgkmcnt(3)
	;;#ASMSTART
	v_dot2_f32_f16 v124, v0, v8, v124
	;;#ASMEND
	;;#ASMSTART
	v_dot2_f32_f16 v124, v1, v9, v124
	;;#ASMEND
	;;#ASMSTART
	v_dot2_f32_f16 v124, v2, v10, v124
	;;#ASMEND
	;;#ASMSTART
	v_dot2_f32_f16 v124, v3, v11, v124
	;;#ASMEND
	;; [unrolled: 13-line block ×3, first 2 shown]
	;;#ASMSTART
	v_dot2_f32_f16 v126, v12, v8, v126
	;;#ASMEND
	;;#ASMSTART
	v_dot2_f32_f16 v126, v13, v9, v126
	;;#ASMEND
	;;#ASMSTART
	v_dot2_f32_f16 v126, v14, v10, v126
	;;#ASMEND
	;;#ASMSTART
	v_dot2_f32_f16 v126, v15, v11, v126
	;;#ASMEND
	s_waitcnt lgkmcnt(1)
	;;#ASMSTART
	v_dot2_f32_f16 v130, v16, v4, v130
	;;#ASMEND
	;;#ASMSTART
	v_dot2_f32_f16 v130, v17, v5, v130
	;;#ASMEND
	;; [unrolled: 3-line block ×8, first 2 shown]
	s_waitcnt lgkmcnt(0)
	;;#ASMSTART
	v_dot2_f32_f16 v127, v20, v4, v127
	;;#ASMEND
	;;#ASMSTART
	v_dot2_f32_f16 v127, v21, v5, v127
	;;#ASMEND
	;; [unrolled: 3-line block ×8, first 2 shown]
	ds_load_b128 v[0:3], v81 offset:192
	ds_load_b128 v[4:7], v82 offset:192
	;; [unrolled: 1-line block ×6, first 2 shown]
	s_waitcnt lgkmcnt(4)
	;;#ASMSTART
	v_dot2_f32_f16 v123, v0, v4, v123
	;;#ASMEND
	;;#ASMSTART
	v_dot2_f32_f16 v123, v1, v5, v123
	;;#ASMEND
	;;#ASMSTART
	v_dot2_f32_f16 v123, v2, v6, v123
	;;#ASMEND
	;;#ASMSTART
	v_dot2_f32_f16 v123, v3, v7, v123
	;;#ASMEND
	s_waitcnt lgkmcnt(3)
	;;#ASMSTART
	v_dot2_f32_f16 v124, v0, v8, v124
	;;#ASMEND
	;;#ASMSTART
	v_dot2_f32_f16 v124, v1, v9, v124
	;;#ASMEND
	;;#ASMSTART
	v_dot2_f32_f16 v124, v2, v10, v124
	;;#ASMEND
	;;#ASMSTART
	v_dot2_f32_f16 v124, v3, v11, v124
	;;#ASMEND
	s_waitcnt lgkmcnt(2)
	;;#ASMSTART
	v_dot2_f32_f16 v125, v12, v4, v125
	;;#ASMEND
	;;#ASMSTART
	v_dot2_f32_f16 v125, v13, v5, v125
	;;#ASMEND
	;;#ASMSTART
	v_dot2_f32_f16 v125, v14, v6, v125
	;;#ASMEND
	;;#ASMSTART
	v_dot2_f32_f16 v125, v15, v7, v125
	;;#ASMEND
	;;#ASMSTART
	v_dot2_f32_f16 v126, v12, v8, v126
	;;#ASMEND
	;;#ASMSTART
	v_dot2_f32_f16 v126, v13, v9, v126
	;;#ASMEND
	;; [unrolled: 3-line block ×4, first 2 shown]
	s_waitcnt lgkmcnt(1)
	;;#ASMSTART
	v_dot2_f32_f16 v130, v16, v4, v130
	;;#ASMEND
	;;#ASMSTART
	v_dot2_f32_f16 v130, v17, v5, v130
	;;#ASMEND
	;;#ASMSTART
	v_dot2_f32_f16 v130, v18, v6, v130
	;;#ASMEND
	;;#ASMSTART
	v_dot2_f32_f16 v130, v19, v7, v130
	;;#ASMEND
	;;#ASMSTART
	v_dot2_f32_f16 v129, v16, v8, v129
	;;#ASMEND
	;;#ASMSTART
	v_dot2_f32_f16 v129, v17, v9, v129
	;;#ASMEND
	;;#ASMSTART
	v_dot2_f32_f16 v129, v18, v10, v129
	;;#ASMEND
	;;#ASMSTART
	v_dot2_f32_f16 v129, v19, v11, v129
	;;#ASMEND
	s_waitcnt lgkmcnt(0)
	;;#ASMSTART
	v_dot2_f32_f16 v127, v20, v4, v127
	;;#ASMEND
	;;#ASMSTART
	v_dot2_f32_f16 v127, v21, v5, v127
	;;#ASMEND
	;; [unrolled: 3-line block ×8, first 2 shown]
	ds_load_b128 v[0:3], v81 offset:208
	ds_load_b128 v[4:7], v82 offset:208
	;; [unrolled: 1-line block ×6, first 2 shown]
	s_waitcnt lgkmcnt(4)
	;;#ASMSTART
	v_dot2_f32_f16 v123, v0, v4, v123
	;;#ASMEND
	;;#ASMSTART
	v_dot2_f32_f16 v123, v1, v5, v123
	;;#ASMEND
	;;#ASMSTART
	v_dot2_f32_f16 v123, v2, v6, v123
	;;#ASMEND
	;;#ASMSTART
	v_dot2_f32_f16 v123, v3, v7, v123
	;;#ASMEND
	s_waitcnt lgkmcnt(3)
	;;#ASMSTART
	v_dot2_f32_f16 v124, v0, v8, v124
	;;#ASMEND
	;;#ASMSTART
	v_dot2_f32_f16 v124, v1, v9, v124
	;;#ASMEND
	;;#ASMSTART
	v_dot2_f32_f16 v124, v2, v10, v124
	;;#ASMEND
	;;#ASMSTART
	v_dot2_f32_f16 v124, v3, v11, v124
	;;#ASMEND
	;; [unrolled: 13-line block ×3, first 2 shown]
	;;#ASMSTART
	v_dot2_f32_f16 v126, v12, v8, v126
	;;#ASMEND
	;;#ASMSTART
	v_dot2_f32_f16 v126, v13, v9, v126
	;;#ASMEND
	;; [unrolled: 3-line block ×4, first 2 shown]
	s_waitcnt lgkmcnt(1)
	;;#ASMSTART
	v_dot2_f32_f16 v130, v16, v4, v130
	;;#ASMEND
	;;#ASMSTART
	v_dot2_f32_f16 v130, v17, v5, v130
	;;#ASMEND
	;; [unrolled: 3-line block ×8, first 2 shown]
	s_waitcnt lgkmcnt(0)
	;;#ASMSTART
	v_dot2_f32_f16 v127, v20, v4, v127
	;;#ASMEND
	;;#ASMSTART
	v_dot2_f32_f16 v127, v21, v5, v127
	;;#ASMEND
	;; [unrolled: 3-line block ×8, first 2 shown]
	ds_load_b128 v[0:3], v81 offset:224
	ds_load_b128 v[4:7], v82 offset:224
	;; [unrolled: 1-line block ×6, first 2 shown]
	s_waitcnt lgkmcnt(4)
	;;#ASMSTART
	v_dot2_f32_f16 v123, v0, v4, v123
	;;#ASMEND
	;;#ASMSTART
	v_dot2_f32_f16 v123, v1, v5, v123
	;;#ASMEND
	;;#ASMSTART
	v_dot2_f32_f16 v123, v2, v6, v123
	;;#ASMEND
	;;#ASMSTART
	v_dot2_f32_f16 v123, v3, v7, v123
	;;#ASMEND
	s_waitcnt lgkmcnt(3)
	;;#ASMSTART
	v_dot2_f32_f16 v124, v0, v8, v124
	;;#ASMEND
	;;#ASMSTART
	v_dot2_f32_f16 v124, v1, v9, v124
	;;#ASMEND
	;;#ASMSTART
	v_dot2_f32_f16 v124, v2, v10, v124
	;;#ASMEND
	;;#ASMSTART
	v_dot2_f32_f16 v124, v3, v11, v124
	;;#ASMEND
	;; [unrolled: 13-line block ×3, first 2 shown]
	;;#ASMSTART
	v_dot2_f32_f16 v126, v12, v8, v126
	;;#ASMEND
	;;#ASMSTART
	v_dot2_f32_f16 v126, v13, v9, v126
	;;#ASMEND
	;; [unrolled: 3-line block ×4, first 2 shown]
	s_waitcnt lgkmcnt(1)
	;;#ASMSTART
	v_dot2_f32_f16 v130, v16, v4, v130
	;;#ASMEND
	;;#ASMSTART
	v_dot2_f32_f16 v130, v17, v5, v130
	;;#ASMEND
	;; [unrolled: 3-line block ×8, first 2 shown]
	s_waitcnt lgkmcnt(0)
	;;#ASMSTART
	v_dot2_f32_f16 v127, v20, v4, v127
	;;#ASMEND
	;;#ASMSTART
	v_dot2_f32_f16 v127, v21, v5, v127
	;;#ASMEND
	;; [unrolled: 3-line block ×8, first 2 shown]
	ds_load_b128 v[0:3], v81 offset:240
	ds_load_b128 v[4:7], v82 offset:240
	;; [unrolled: 1-line block ×6, first 2 shown]
	s_waitcnt lgkmcnt(4)
	;;#ASMSTART
	v_dot2_f32_f16 v123, v0, v4, v123
	;;#ASMEND
	;;#ASMSTART
	v_dot2_f32_f16 v123, v1, v5, v123
	;;#ASMEND
	;;#ASMSTART
	v_dot2_f32_f16 v123, v2, v6, v123
	;;#ASMEND
	;;#ASMSTART
	v_dot2_f32_f16 v123, v3, v7, v123
	;;#ASMEND
	s_waitcnt lgkmcnt(3)
	;;#ASMSTART
	v_dot2_f32_f16 v124, v0, v8, v124
	;;#ASMEND
	;;#ASMSTART
	v_dot2_f32_f16 v124, v1, v9, v124
	;;#ASMEND
	;;#ASMSTART
	v_dot2_f32_f16 v124, v2, v10, v124
	;;#ASMEND
	;;#ASMSTART
	v_dot2_f32_f16 v124, v3, v11, v124
	;;#ASMEND
	s_waitcnt lgkmcnt(2)
	;;#ASMSTART
	v_dot2_f32_f16 v125, v12, v4, v125
	;;#ASMEND
	;;#ASMSTART
	v_dot2_f32_f16 v125, v13, v5, v125
	;;#ASMEND
	;;#ASMSTART
	v_dot2_f32_f16 v125, v14, v6, v125
	;;#ASMEND
	;;#ASMSTART
	v_dot2_f32_f16 v125, v15, v7, v125
	;;#ASMEND
	;;#ASMSTART
	v_dot2_f32_f16 v126, v12, v8, v126
	;;#ASMEND
	;;#ASMSTART
	v_dot2_f32_f16 v126, v13, v9, v126
	;;#ASMEND
	v_lshlrev_b64 v[69:70], 1, v[69:70]
	;;#ASMSTART
	v_dot2_f32_f16 v126, v14, v10, v126
	;;#ASMEND
	;;#ASMSTART
	v_dot2_f32_f16 v126, v15, v11, v126
	;;#ASMEND
	s_waitcnt lgkmcnt(1)
	;;#ASMSTART
	v_dot2_f32_f16 v130, v16, v4, v130
	;;#ASMEND
	;;#ASMSTART
	v_dot2_f32_f16 v130, v17, v5, v130
	;;#ASMEND
	;; [unrolled: 3-line block ×6, first 2 shown]
	v_add_co_u32 v69, vcc_lo, s40, v69
	;;#ASMSTART
	v_dot2_f32_f16 v129, v18, v10, v129
	;;#ASMEND
	;;#ASMSTART
	v_dot2_f32_f16 v129, v19, v11, v129
	;;#ASMEND
	s_waitcnt lgkmcnt(0)
	;;#ASMSTART
	v_dot2_f32_f16 v127, v20, v4, v127
	;;#ASMEND
	v_add_co_ci_u32_e32 v70, vcc_lo, s41, v70, vcc_lo
	;;#ASMSTART
	v_dot2_f32_f16 v127, v21, v5, v127
	;;#ASMEND
	;;#ASMSTART
	v_dot2_f32_f16 v127, v22, v6, v127
	;;#ASMEND
	;;#ASMSTART
	v_dot2_f32_f16 v127, v23, v7, v127
	;;#ASMEND
	;;#ASMSTART
	v_dot2_f32_f16 v128, v20, v8, v128
	;;#ASMEND
	;;#ASMSTART
	v_dot2_f32_f16 v128, v21, v9, v128
	;;#ASMEND
	;;#ASMSTART
	v_dot2_f32_f16 v128, v22, v10, v128
	;;#ASMEND
	;;#ASMSTART
	v_dot2_f32_f16 v128, v23, v11, v128
	;;#ASMEND
	s_clause 0x3
	flat_load_u16 v143, v[69:70] offset:64
	flat_load_u16 v144, v[69:70] offset:128
	flat_load_u16 v145, v[69:70]
	flat_load_u16 v69, v[69:70] offset:192
	v_mov_b32_e32 v70, v36
	v_cmp_gt_i32_e32 vcc_lo, 32, v79
	s_lshl_b64 s[2:3], s[2:3], 2
	s_waitcnt vmcnt(0) lgkmcnt(0)
	s_add_u32 s8, s20, s2
	s_addc_u32 s9, s21, s3
	v_cndmask_b32_e32 v0, v73, v79, vcc_lo
	v_cmp_gt_i32_e32 vcc_lo, 32, v78
	v_mov_b32_e32 v146, v35
	v_add_co_u32 v5, s4, s8, v61
	v_add_co_u32 v7, s5, s8, v63
	v_cndmask_b32_e32 v1, v73, v78, vcc_lo
	v_cmp_gt_i32_e32 vcc_lo, 32, v77
	v_add_co_u32 v9, s6, s8, v65
	v_add_co_u32 v10, s7, s8, v67
	v_cndmask_b32_e32 v2, v73, v77, vcc_lo
	v_cmp_gt_i32_e32 vcc_lo, 32, v76
	v_lshlrev_b32_e32 v148, 2, v1
	v_add_co_u32 v1, s2, s8, v57
	s_delay_alu instid0(VALU_DEP_4)
	v_lshlrev_b32_e32 v149, 2, v2
	v_lshlrev_b32_e32 v147, 2, v0
	v_cndmask_b32_e32 v3, v73, v76, vcc_lo
	v_cmp_gt_i32_e32 vcc_lo, 32, v75
	s_barrier
	buffer_gl0_inv
	v_lshlrev_b32_e32 v150, 2, v3
	v_cndmask_b32_e32 v4, v73, v75, vcc_lo
	v_add_co_u32 v0, vcc_lo, s8, v55
	v_add_co_u32 v3, s3, s8, v59
	v_add_co_u32 v11, s8, s8, v53
	s_delay_alu instid0(VALU_DEP_1)
	v_add_co_ci_u32_e64 v12, s8, s9, v54, s8
	v_add_co_ci_u32_e32 v13, vcc_lo, s9, v56, vcc_lo
	v_add_co_ci_u32_e64 v14, vcc_lo, s9, v58, s2
	v_add_co_ci_u32_e64 v15, vcc_lo, s9, v60, s3
	;; [unrolled: 1-line block ×6, first 2 shown]
	v_add_co_u32 v35, s7, v10, v100
	v_add_co_u32 v10, s8, v11, v100
	v_add_co_u32 v0, vcc_lo, v0, v100
	v_add_co_u32 v2, s2, v1, v100
	v_add_co_ci_u32_e64 v11, s8, 0, v12, s8
	v_lshlrev_b32_e32 v151, 2, v4
	v_add_co_u32 v4, s3, v3, v100
	v_add_co_ci_u32_e32 v1, vcc_lo, 0, v13, vcc_lo
	v_add_co_u32 v6, s4, v5, v100
	v_add_co_ci_u32_e64 v3, vcc_lo, 0, v14, s2
	v_add_co_u32 v8, s5, v7, v100
	v_add_co_u32 v30, s6, v9, v100
	v_add_co_ci_u32_e64 v5, vcc_lo, 0, v15, s3
	v_add_co_ci_u32_e64 v7, vcc_lo, 0, v16, s4
	;; [unrolled: 1-line block ×5, first 2 shown]
	s_clause 0x7
	global_load_b128 v[10:13], v[10:11], off
	global_load_b128 v[14:17], v[0:1], off
	global_load_b128 v[18:21], v[2:3], off
	global_load_b128 v[22:25], v[4:5], off
	global_load_b128 v[26:29], v[6:7], off
	global_load_b128 v[131:134], v[8:9], off
	global_load_b128 v[135:138], v[30:31], off
	global_load_b128 v[139:142], v[35:36], off
	v_cvt_f32_f16_e64 v0, v143
	v_cvt_f32_f16_e64 v1, v144
	;; [unrolled: 1-line block ×3, first 2 shown]
	v_cvt_f32_f16_e32 v3, v69
	s_delay_alu instid0(VALU_DEP_4) | instskip(SKIP_1) | instid1(VALU_DEP_4)
	v_add_f32_e32 v4, v125, v0
	v_add_f32_e32 v0, v126, v0
	;; [unrolled: 1-line block ×3, first 2 shown]
	s_delay_alu instid0(VALU_DEP_4) | instskip(SKIP_1) | instid1(VALU_DEP_4)
	v_add_f32_e32 v7, v128, v3
	v_add_f32_e32 v3, v127, v3
	v_dual_add_f32 v2, v123, v2 :: v_dual_add_f32 v9, 0x40051340, v0
	v_add_f32_e32 v5, v130, v1
	v_dual_add_f32 v1, v129, v1 :: v_dual_add_f32 v8, 0x40051340, v4
	v_add_f32_e32 v31, 0x40051340, v6
	s_delay_alu instid0(VALU_DEP_3) | instskip(NEXT) | instid1(VALU_DEP_3)
	v_dual_add_f32 v30, 0x40051340, v2 :: v_dual_add_f32 v35, 0x40051340, v5
	v_dual_add_f32 v36, 0x40051340, v1 :: v_dual_add_f32 v69, 0x40051340, v3
	s_delay_alu instid0(VALU_DEP_3) | instskip(NEXT) | instid1(VALU_DEP_3)
	v_max3_f32 v9, v70, v31, v9
	v_max3_f32 v8, v146, v30, v8
	s_delay_alu instid0(VALU_DEP_1) | instskip(SKIP_3) | instid1(VALU_DEP_1)
	v_max3_f32 v8, v8, v35, v69
	ds_bpermute_b32 v30, v147, v8
	s_waitcnt lgkmcnt(0)
	v_dual_add_f32 v123, 0x40051340, v7 :: v_dual_max_f32 v30, v30, v30
	v_max3_f32 v9, v9, v36, v123
	s_delay_alu instid0(VALU_DEP_2) | instskip(SKIP_4) | instid1(VALU_DEP_1)
	v_max_f32_e32 v8, v8, v30
	ds_bpermute_b32 v31, v147, v9
	ds_bpermute_b32 v30, v148, v8
	s_waitcnt lgkmcnt(0)
	v_dual_max_f32 v31, v31, v31 :: v_dual_max_f32 v30, v30, v30
	v_dual_max_f32 v9, v9, v31 :: v_dual_max_f32 v8, v8, v30
	ds_bpermute_b32 v31, v148, v9
	ds_bpermute_b32 v30, v149, v8
	s_waitcnt lgkmcnt(0)
	v_dual_max_f32 v31, v31, v31 :: v_dual_max_f32 v30, v30, v30
	s_delay_alu instid0(VALU_DEP_1) | instskip(SKIP_4) | instid1(VALU_DEP_1)
	v_dual_max_f32 v9, v9, v31 :: v_dual_max_f32 v8, v8, v30
	ds_bpermute_b32 v31, v149, v9
	ds_bpermute_b32 v30, v150, v8
	s_waitcnt lgkmcnt(0)
	v_dual_max_f32 v31, v31, v31 :: v_dual_max_f32 v30, v30, v30
	v_dual_max_f32 v9, v9, v31 :: v_dual_max_f32 v8, v8, v30
	ds_bpermute_b32 v31, v150, v9
	ds_bpermute_b32 v30, v151, v8
	s_waitcnt lgkmcnt(0)
	v_dual_max_f32 v31, v31, v31 :: v_dual_max_f32 v30, v30, v30
	s_delay_alu instid0(VALU_DEP_1) | instskip(SKIP_3) | instid1(VALU_DEP_1)
	v_max_f32_e32 v9, v9, v31
	ds_bpermute_b32 v31, v151, v9
	s_waitcnt lgkmcnt(0)
	v_max_f32_e32 v31, v31, v31
	v_dual_max_f32 v35, v8, v30 :: v_dual_max_f32 v36, v9, v31
	s_delay_alu instid0(VALU_DEP_1) | instskip(SKIP_2) | instid1(VALU_DEP_4)
	v_sub_f32_e32 v5, v5, v35
	v_sub_f32_e32 v4, v4, v35
	;; [unrolled: 1-line block ×3, first 2 shown]
	v_dual_sub_f32 v30, v146, v35 :: v_dual_sub_f32 v1, v1, v36
	v_sub_f32_e32 v6, v6, v36
	v_sub_f32_e32 v31, v70, v36
	;; [unrolled: 1-line block ×3, first 2 shown]
	v_dual_mul_f32 v70, 0x3fb8aa3b, v5 :: v_dual_sub_f32 v3, v3, v35
	s_delay_alu instid0(VALU_DEP_4) | instskip(SKIP_3) | instid1(VALU_DEP_4)
	v_dual_mul_f32 v8, 0x3fb8aa3b, v4 :: v_dual_mul_f32 v9, 0x3fb8aa3b, v6
	v_sub_f32_e32 v7, v7, v36
	v_dual_mul_f32 v69, 0x3fb8aa3b, v2 :: v_dual_mul_f32 v126, 0x3fb8aa3b, v1
	v_dual_mul_f32 v125, 0x3fb8aa3b, v0 :: v_dual_mul_f32 v128, 0x3fb8aa3b, v31
	v_fma_f32 v143, 0x3fb8aa3b, v6, -v9
	v_fma_f32 v147, 0x3fb8aa3b, v5, -v70
	v_rndne_f32_e32 v148, v70
	v_dual_mul_f32 v123, 0x3fb8aa3b, v3 :: v_dual_mul_f32 v124, 0x3fb8aa3b, v30
	v_fma_f32 v129, 0x3fb8aa3b, v4, -v8
	v_rndne_f32_e32 v130, v8
	v_rndne_f32_e32 v144, v9
	v_fma_f32 v145, 0x3fb8aa3b, v2, -v69
	v_rndne_f32_e32 v146, v69
	v_rndne_f32_e32 v160, v128
	v_dual_fmac_f32 v143, 0x32a5705f, v6 :: v_dual_sub_f32 v70, v70, v148
	v_fmac_f32_e32 v147, 0x32a5705f, v5
	v_dual_mul_f32 v127, 0x3fb8aa3b, v7 :: v_dual_sub_f32 v8, v8, v130
	v_rndne_f32_e32 v152, v124
	v_rndne_f32_e32 v156, v126
	v_fma_f32 v159, 0x3fb8aa3b, v31, -v128
	v_fmac_f32_e32 v145, 0x32a5705f, v2
	v_dual_sub_f32 v69, v69, v146 :: v_dual_sub_f32 v128, v128, v160
	v_dual_fmac_f32 v129, 0x32a5705f, v4 :: v_dual_add_f32 v70, v70, v147
	v_sub_f32_e32 v9, v9, v144
	v_fma_f32 v151, 0x3fb8aa3b, v30, -v124
	v_fma_f32 v155, 0x3fb8aa3b, v1, -v126
	s_delay_alu instid0(VALU_DEP_4)
	v_add_f32_e32 v8, v8, v129
	v_sub_f32_e32 v124, v124, v152
	v_dual_sub_f32 v126, v126, v156 :: v_dual_add_f32 v9, v9, v143
	v_add_f32_e32 v69, v69, v145
	v_cvt_i32_f32_e32 v144, v144
	v_cvt_i32_f32_e32 v146, v146
	v_exp_f32_e32 v70, v70
	v_exp_f32_e32 v9, v9
	;; [unrolled: 1-line block ×3, first 2 shown]
	v_cvt_i32_f32_e32 v148, v148
	v_cmp_ngt_f32_e32 vcc_lo, 0xc2ce8ed0, v6
	v_cmp_ngt_f32_e64 s2, 0xc2ce8ed0, v2
	v_rndne_f32_e32 v154, v125
	v_cmp_ngt_f32_e64 s3, 0xc2ce8ed0, v5
	v_fma_f32 v149, 0x3fb8aa3b, v3, -v123
	v_rndne_f32_e32 v150, v123
	v_ldexp_f32 v70, v70, v148
	v_ldexp_f32 v9, v9, v144
	;; [unrolled: 1-line block ×3, first 2 shown]
	v_fma_f32 v153, 0x3fb8aa3b, v0, -v125
	v_fma_f32 v157, 0x3fb8aa3b, v7, -v127
	v_rndne_f32_e32 v158, v127
	v_cndmask_b32_e32 v9, 0, v9, vcc_lo
	v_cmp_nlt_f32_e32 vcc_lo, 0x42b17218, v6
	v_cndmask_b32_e64 v69, 0, v69, s2
	v_cmp_nlt_f32_e64 s2, 0x42b17218, v2
	v_sub_f32_e32 v125, v125, v154
	v_cndmask_b32_e64 v2, 0, v70, s3
	v_cndmask_b32_e32 v6, 0x7f800000, v9, vcc_lo
	v_cmp_nlt_f32_e64 s3, 0x42b17218, v5
	v_cndmask_b32_e64 v9, 0x7f800000, v69, s2
	v_fmac_f32_e32 v155, 0x32a5705f, v1
	v_fmac_f32_e32 v149, 0x32a5705f, v3
	;; [unrolled: 1-line block ×4, first 2 shown]
	s_delay_alu instid0(VALU_DEP_4) | instskip(NEXT) | instid1(VALU_DEP_3)
	v_dual_fmac_f32 v153, 0x32a5705f, v0 :: v_dual_add_f32 v126, v126, v155
	v_dual_sub_f32 v123, v123, v150 :: v_dual_add_f32 v124, v124, v151
	v_cndmask_b32_e64 v5, 0x7f800000, v2, s3
	v_fmac_f32_e32 v157, 0x32a5705f, v7
	v_cmp_nlt_f32_e32 vcc_lo, 0x42b17218, v31
	v_sub_f32_e32 v127, v127, v158
	v_dual_add_f32 v123, v123, v149 :: v_dual_add_f32 v128, v128, v159
	v_add_f32_e32 v125, v125, v153
	v_exp_f32_e32 v8, v8
	s_delay_alu instid0(VALU_DEP_3) | instskip(NEXT) | instid1(VALU_DEP_3)
	v_add_f32_e32 v127, v127, v157
	v_exp_f32_e32 v123, v123
	v_exp_f32_e32 v124, v124
	;; [unrolled: 1-line block ×5, first 2 shown]
	v_cvt_i32_f32_e32 v130, v130
	v_cvt_i32_f32_e32 v150, v150
	;; [unrolled: 1-line block ×6, first 2 shown]
	v_ldexp_f32 v8, v8, v130
	v_ldexp_f32 v123, v123, v150
	v_cmp_ngt_f32_e64 s4, 0xc2ce8ed0, v3
	v_ldexp_f32 v124, v124, v152
	v_cmp_ngt_f32_e64 s5, 0xc2ce8ed0, v30
	;; [unrolled: 2-line block ×4, first 2 shown]
	v_cmp_ngt_f32_e64 s10, 0xc2ce8ed0, v4
	v_ldexp_f32 v126, v126, v156
	v_cmp_ngt_f32_e64 s7, 0xc2ce8ed0, v1
	v_cndmask_b32_e64 v70, 0, v123, s4
	v_cndmask_b32_e64 v123, 0, v124, s5
	;; [unrolled: 1-line block ×4, first 2 shown]
	v_cmp_nlt_f32_e64 s5, 0x42b17218, v0
	v_cmp_nlt_f32_e64 s6, 0x42b17218, v1
	v_cndmask_b32_e64 v1, 0, v127, s8
	v_cmp_nlt_f32_e64 s8, 0x42b17218, v4
	v_cmp_nlt_f32_e64 s4, 0x42b17218, v3
	v_cndmask_b32_e64 v0, 0, v126, s7
	v_cmp_nlt_f32_e64 s7, 0x42b17218, v7
	v_cndmask_b32_e64 v7, 0x7f800000, v124, s5
	v_cndmask_b32_e64 v8, 0x7f800000, v8, s8
	;; [unrolled: 1-line block ×5, first 2 shown]
	v_exp_f32_e32 v128, v128
	v_cvt_f16_f32_e32 v0, v8
	v_cvt_f16_f32_e32 v70, v6
	;; [unrolled: 1-line block ×8, first 2 shown]
	v_cvt_i32_f32_e32 v160, v160
	v_pack_b32_f16 v70, v124, v70
	v_pack_b32_f16 v0, v0, v125
	;; [unrolled: 1-line block ×4, first 2 shown]
	v_ldexp_f32 v128, v128, v160
	v_cmp_ngt_f32_e64 s9, 0xc2ce8ed0, v31
	ds_store_2addr_b32 v101, v70, v0 offset1:32
	ds_store_2addr_b32 v101, v1, v69 offset0:64 offset1:96
	s_waitcnt vmcnt(7)
	ds_store_b128 v90, v[10:13]
	s_waitcnt vmcnt(6)
	ds_store_b128 v92, v[14:17]
	;; [unrolled: 2-line block ×8, first 2 shown]
	s_waitcnt lgkmcnt(0)
	s_barrier
	buffer_gl0_inv
	ds_load_2addr_b64 v[10:13], v99 offset1:32
	ds_load_b128 v[14:17], v91
	v_cndmask_b32_e64 v0, 0, v128, s9
	v_cmp_nlt_f32_e64 s2, 0x42b17218, v30
	ds_load_2addr_b64 v[18:21], v99 offset0:64 offset1:96
	ds_load_b128 v[22:25], v91 offset:16
	ds_load_2addr_b64 v[26:29], v99 offset0:128 offset1:160
	v_cndmask_b32_e32 v0, 0x7f800000, v0, vcc_lo
	v_cndmask_b32_e64 v1, 0x7f800000, v123, s2
	s_delay_alu instid0(VALU_DEP_2) | instskip(NEXT) | instid1(VALU_DEP_2)
	v_cvt_f16_f32_e32 v31, v0
	v_cvt_f16_f32_e32 v30, v1
	s_delay_alu instid0(VALU_DEP_2)
	v_pk_mul_f16 v69, v31, v119 op_sel_hi:[0,1]
	s_waitcnt lgkmcnt(3)
	v_pk_mul_f16 v70, v10, v14 op_sel_hi:[1,0]
	v_pk_mul_f16 v10, v10, v14 op_sel:[0,1]
	v_pk_mul_f16 v119, v11, v14 op_sel_hi:[1,0]
	v_pk_fma_f16 v11, v11, v14, v69 op_sel:[0,1,0]
	s_delay_alu instid0(VALU_DEP_4) | instskip(NEXT) | instid1(VALU_DEP_4)
	v_pk_fma_f16 v14, v30, v121, v70 op_sel_hi:[0,1,1]
	v_pk_fma_f16 v10, v31, v120, v10 op_sel_hi:[0,1,1]
	s_delay_alu instid0(VALU_DEP_4) | instskip(NEXT) | instid1(VALU_DEP_4)
	v_pk_fma_f16 v30, v30, v122, v119 op_sel_hi:[0,1,1]
	v_pk_fma_f16 v31, v13, v15, v11 op_sel:[0,1,0]
	ds_load_2addr_b64 v[119:122], v102 offset1:32
	v_pk_fma_f16 v14, v12, v15, v14 op_sel_hi:[1,0,1]
	v_pk_fma_f16 v69, v12, v15, v10 op_sel:[0,1,0]
	v_pk_fma_f16 v15, v13, v15, v30 op_sel_hi:[1,0,1]
	ds_load_2addr_b64 v[10:13], v99 offset0:192 offset1:224
	s_waitcnt lgkmcnt(4)
	v_pk_fma_f16 v30, v19, v16, v31 op_sel:[0,1,0]
	v_pk_fma_f16 v14, v18, v16, v14 op_sel_hi:[1,0,1]
	v_pk_fma_f16 v18, v18, v16, v69 op_sel:[0,1,0]
	v_pk_fma_f16 v15, v19, v16, v15 op_sel_hi:[1,0,1]
	v_mov_b32_e32 v70, v118
	v_pk_fma_f16 v19, v21, v17, v30 op_sel:[0,1,0]
	v_pk_fma_f16 v30, v20, v17, v14 op_sel_hi:[1,0,1]
	v_pk_fma_f16 v18, v20, v17, v18 op_sel:[0,1,0]
	v_pk_fma_f16 v20, v21, v17, v15 op_sel_hi:[1,0,1]
	ds_load_b128 v[14:17], v91 offset:32
	s_waitcnt lgkmcnt(3)
	v_pk_fma_f16 v19, v27, v22, v19 op_sel:[0,1,0]
	v_pk_fma_f16 v21, v26, v22, v30 op_sel_hi:[1,0,1]
	v_pk_fma_f16 v18, v26, v22, v18 op_sel:[0,1,0]
	v_pk_fma_f16 v20, v27, v22, v20 op_sel_hi:[1,0,1]
	s_delay_alu instid0(VALU_DEP_4) | instskip(NEXT) | instid1(VALU_DEP_4)
	v_pk_fma_f16 v22, v29, v23, v19 op_sel:[0,1,0]
	v_pk_fma_f16 v26, v28, v23, v21 op_sel_hi:[1,0,1]
	s_delay_alu instid0(VALU_DEP_4) | instskip(NEXT) | instid1(VALU_DEP_4)
	v_pk_fma_f16 v27, v28, v23, v18 op_sel:[0,1,0]
	v_pk_fma_f16 v23, v29, v23, v20 op_sel_hi:[1,0,1]
	ds_load_2addr_b64 v[18:21], v102 offset0:64 offset1:96
	s_waitcnt lgkmcnt(2)
	v_pk_fma_f16 v22, v11, v24, v22 op_sel:[0,1,0]
	v_pk_fma_f16 v30, v10, v24, v26 op_sel_hi:[1,0,1]
	v_pk_fma_f16 v10, v10, v24, v27 op_sel:[0,1,0]
	v_pk_fma_f16 v11, v11, v24, v23 op_sel_hi:[1,0,1]
	ds_load_2addr_b64 v[26:29], v102 offset0:128 offset1:160
	v_pk_fma_f16 v22, v13, v25, v22 op_sel:[0,1,0]
	v_pk_fma_f16 v23, v12, v25, v30 op_sel_hi:[1,0,1]
	v_pk_fma_f16 v24, v12, v25, v10 op_sel:[0,1,0]
	v_pk_fma_f16 v25, v13, v25, v11 op_sel_hi:[1,0,1]
	ds_load_b128 v[10:13], v91 offset:48
	s_waitcnt lgkmcnt(3)
	v_pk_fma_f16 v22, v120, v14, v22 op_sel:[0,1,0]
	v_pk_fma_f16 v23, v119, v14, v23 op_sel_hi:[1,0,1]
	v_pk_fma_f16 v24, v119, v14, v24 op_sel:[0,1,0]
	v_pk_fma_f16 v14, v120, v14, v25 op_sel_hi:[1,0,1]
	s_delay_alu instid0(VALU_DEP_4) | instskip(NEXT) | instid1(VALU_DEP_4)
	v_pk_fma_f16 v30, v122, v15, v22 op_sel:[0,1,0]
	v_pk_fma_f16 v31, v121, v15, v23 op_sel_hi:[1,0,1]
	s_delay_alu instid0(VALU_DEP_4) | instskip(NEXT) | instid1(VALU_DEP_4)
	v_pk_fma_f16 v69, v121, v15, v24 op_sel:[0,1,0]
	v_pk_fma_f16 v14, v122, v15, v14 op_sel_hi:[1,0,1]
	ds_load_2addr_b64 v[22:25], v102 offset0:192 offset1:224
	s_waitcnt lgkmcnt(3)
	v_pk_fma_f16 v15, v19, v16, v30 op_sel:[0,1,0]
	v_pk_fma_f16 v30, v18, v16, v31 op_sel_hi:[1,0,1]
	v_pk_fma_f16 v18, v18, v16, v69 op_sel:[0,1,0]
	v_pk_fma_f16 v14, v19, v16, v14 op_sel_hi:[1,0,1]
	ds_load_2addr_b64 v[119:122], v103 offset1:32
	v_pk_fma_f16 v19, v21, v17, v15 op_sel:[0,1,0]
	v_pk_fma_f16 v30, v20, v17, v30 op_sel_hi:[1,0,1]
	v_pk_fma_f16 v18, v20, v17, v18 op_sel:[0,1,0]
	v_pk_fma_f16 v20, v21, v17, v14 op_sel_hi:[1,0,1]
	ds_load_b128 v[14:17], v91 offset:64
	s_waitcnt lgkmcnt(3)
	v_pk_fma_f16 v19, v27, v10, v19 op_sel:[0,1,0]
	v_pk_fma_f16 v21, v26, v10, v30 op_sel_hi:[1,0,1]
	v_pk_fma_f16 v18, v26, v10, v18 op_sel:[0,1,0]
	v_pk_fma_f16 v10, v27, v10, v20 op_sel_hi:[1,0,1]
	s_delay_alu instid0(VALU_DEP_4) | instskip(NEXT) | instid1(VALU_DEP_4)
	v_pk_fma_f16 v26, v29, v11, v19 op_sel:[0,1,0]
	v_pk_fma_f16 v27, v28, v11, v21 op_sel_hi:[1,0,1]
	s_delay_alu instid0(VALU_DEP_4) | instskip(NEXT) | instid1(VALU_DEP_4)
	v_pk_fma_f16 v28, v28, v11, v18 op_sel:[0,1,0]
	v_pk_fma_f16 v10, v29, v11, v10 op_sel_hi:[1,0,1]
	ds_load_2addr_b64 v[18:21], v103 offset0:64 offset1:96
	s_waitcnt lgkmcnt(3)
	v_pk_fma_f16 v11, v23, v12, v26 op_sel:[0,1,0]
	v_pk_fma_f16 v30, v22, v12, v27 op_sel_hi:[1,0,1]
	v_pk_fma_f16 v22, v22, v12, v28 op_sel:[0,1,0]
	v_pk_fma_f16 v10, v23, v12, v10 op_sel_hi:[1,0,1]
	ds_load_2addr_b64 v[26:29], v103 offset0:128 offset1:160
	v_pk_fma_f16 v23, v25, v13, v11 op_sel:[0,1,0]
	v_pk_fma_f16 v30, v24, v13, v30 op_sel_hi:[1,0,1]
	v_pk_fma_f16 v22, v24, v13, v22 op_sel:[0,1,0]
	v_pk_fma_f16 v24, v25, v13, v10 op_sel_hi:[1,0,1]
	ds_load_b128 v[10:13], v91 offset:80
	s_waitcnt lgkmcnt(3)
	v_pk_fma_f16 v23, v120, v14, v23 op_sel:[0,1,0]
	v_pk_fma_f16 v25, v119, v14, v30 op_sel_hi:[1,0,1]
	v_pk_fma_f16 v22, v119, v14, v22 op_sel:[0,1,0]
	v_pk_fma_f16 v14, v120, v14, v24 op_sel_hi:[1,0,1]
	s_delay_alu instid0(VALU_DEP_4) | instskip(NEXT) | instid1(VALU_DEP_4)
	v_pk_fma_f16 v30, v122, v15, v23 op_sel:[0,1,0]
	v_pk_fma_f16 v31, v121, v15, v25 op_sel_hi:[1,0,1]
	s_delay_alu instid0(VALU_DEP_4) | instskip(NEXT) | instid1(VALU_DEP_4)
	v_pk_fma_f16 v69, v121, v15, v22 op_sel:[0,1,0]
	v_pk_fma_f16 v14, v122, v15, v14 op_sel_hi:[1,0,1]
	ds_load_2addr_b64 v[22:25], v103 offset0:192 offset1:224
	s_waitcnt lgkmcnt(3)
	v_pk_fma_f16 v15, v19, v16, v30 op_sel:[0,1,0]
	v_pk_fma_f16 v30, v18, v16, v31 op_sel_hi:[1,0,1]
	v_pk_fma_f16 v18, v18, v16, v69 op_sel:[0,1,0]
	v_pk_fma_f16 v14, v19, v16, v14 op_sel_hi:[1,0,1]
	ds_load_2addr_b64 v[119:122], v104 offset1:32
	;; [unrolled: 46-line block ×9, first 2 shown]
	v_pk_fma_f16 v19, v21, v17, v15 op_sel:[0,1,0]
	v_pk_fma_f16 v30, v20, v17, v30 op_sel_hi:[1,0,1]
	v_pk_fma_f16 v18, v20, v17, v18 op_sel:[0,1,0]
	v_pk_fma_f16 v20, v21, v17, v14 op_sel_hi:[1,0,1]
	ds_load_b128 v[14:17], v91 offset:320
	s_waitcnt lgkmcnt(3)
	v_pk_fma_f16 v19, v27, v10, v19 op_sel:[0,1,0]
	v_pk_fma_f16 v21, v26, v10, v30 op_sel_hi:[1,0,1]
	v_pk_fma_f16 v18, v26, v10, v18 op_sel:[0,1,0]
	v_pk_fma_f16 v10, v27, v10, v20 op_sel_hi:[1,0,1]
	v_mov_b32_e32 v69, v117
	v_pk_fma_f16 v26, v29, v11, v19 op_sel:[0,1,0]
	v_pk_fma_f16 v27, v28, v11, v21 op_sel_hi:[1,0,1]
	v_pk_fma_f16 v28, v28, v11, v18 op_sel:[0,1,0]
	v_pk_fma_f16 v10, v29, v11, v10 op_sel_hi:[1,0,1]
	ds_load_2addr_b64 v[18:21], v111 offset0:64 offset1:96
	s_waitcnt lgkmcnt(3)
	v_pk_fma_f16 v11, v23, v12, v26 op_sel:[0,1,0]
	v_pk_fma_f16 v30, v22, v12, v27 op_sel_hi:[1,0,1]
	v_pk_fma_f16 v22, v22, v12, v28 op_sel:[0,1,0]
	v_pk_fma_f16 v10, v23, v12, v10 op_sel_hi:[1,0,1]
	ds_load_2addr_b64 v[26:29], v111 offset0:128 offset1:160
	v_pk_fma_f16 v23, v25, v13, v11 op_sel:[0,1,0]
	v_pk_fma_f16 v30, v24, v13, v30 op_sel_hi:[1,0,1]
	v_pk_fma_f16 v22, v24, v13, v22 op_sel:[0,1,0]
	v_pk_fma_f16 v24, v25, v13, v10 op_sel_hi:[1,0,1]
	ds_load_b128 v[10:13], v91 offset:336
	s_waitcnt lgkmcnt(3)
	v_pk_fma_f16 v23, v120, v14, v23 op_sel:[0,1,0]
	v_pk_fma_f16 v25, v119, v14, v30 op_sel_hi:[1,0,1]
	v_pk_fma_f16 v22, v119, v14, v22 op_sel:[0,1,0]
	v_pk_fma_f16 v14, v120, v14, v24 op_sel_hi:[1,0,1]
	s_delay_alu instid0(VALU_DEP_4) | instskip(NEXT) | instid1(VALU_DEP_4)
	v_pk_fma_f16 v30, v122, v15, v23 op_sel:[0,1,0]
	v_pk_fma_f16 v31, v121, v15, v25 op_sel_hi:[1,0,1]
	s_delay_alu instid0(VALU_DEP_4) | instskip(NEXT) | instid1(VALU_DEP_4)
	v_pk_fma_f16 v117, v121, v15, v22 op_sel:[0,1,0]
	v_pk_fma_f16 v14, v122, v15, v14 op_sel_hi:[1,0,1]
	ds_load_2addr_b64 v[22:25], v111 offset0:192 offset1:224
	s_waitcnt lgkmcnt(3)
	v_pk_fma_f16 v15, v19, v16, v30 op_sel:[0,1,0]
	v_pk_fma_f16 v30, v18, v16, v31 op_sel_hi:[1,0,1]
	v_pk_fma_f16 v18, v18, v16, v117 op_sel:[0,1,0]
	v_pk_fma_f16 v14, v19, v16, v14 op_sel_hi:[1,0,1]
	ds_load_2addr_b64 v[117:120], v112 offset1:32
	v_pk_fma_f16 v19, v21, v17, v15 op_sel:[0,1,0]
	v_pk_fma_f16 v30, v20, v17, v30 op_sel_hi:[1,0,1]
	v_pk_fma_f16 v18, v20, v17, v18 op_sel:[0,1,0]
	v_pk_fma_f16 v20, v21, v17, v14 op_sel_hi:[1,0,1]
	ds_load_b128 v[14:17], v91 offset:352
	s_waitcnt lgkmcnt(3)
	v_pk_fma_f16 v19, v27, v10, v19 op_sel:[0,1,0]
	v_pk_fma_f16 v21, v26, v10, v30 op_sel_hi:[1,0,1]
	v_pk_fma_f16 v18, v26, v10, v18 op_sel:[0,1,0]
	v_pk_fma_f16 v10, v27, v10, v20 op_sel_hi:[1,0,1]
	v_add_f32_e32 v30, v9, v8
	v_pk_fma_f16 v19, v29, v11, v19 op_sel:[0,1,0]
	v_pk_fma_f16 v20, v28, v11, v21 op_sel_hi:[1,0,1]
	v_pk_fma_f16 v18, v28, v11, v18 op_sel:[0,1,0]
	v_pk_fma_f16 v21, v29, v11, v10 op_sel_hi:[1,0,1]
	ds_load_2addr_b64 v[8:11], v112 offset0:64 offset1:96
	s_waitcnt lgkmcnt(3)
	v_pk_fma_f16 v26, v23, v12, v19 op_sel:[0,1,0]
	v_pk_fma_f16 v27, v22, v12, v20 op_sel_hi:[1,0,1]
	v_pk_fma_f16 v22, v22, v12, v18 op_sel:[0,1,0]
	v_pk_fma_f16 v12, v23, v12, v21 op_sel_hi:[1,0,1]
	ds_load_2addr_b64 v[18:21], v112 offset0:128 offset1:160
	v_pk_fma_f16 v26, v25, v13, v26 op_sel:[0,1,0]
	v_pk_fma_f16 v27, v24, v13, v27 op_sel_hi:[1,0,1]
	v_pk_fma_f16 v28, v24, v13, v22 op_sel:[0,1,0]
	v_pk_fma_f16 v12, v25, v13, v12 op_sel_hi:[1,0,1]
	ds_load_b128 v[22:25], v91 offset:368
	s_waitcnt lgkmcnt(3)
	v_pk_fma_f16 v13, v118, v14, v26 op_sel:[0,1,0]
	v_pk_fma_f16 v26, v117, v14, v27 op_sel_hi:[1,0,1]
	v_pk_fma_f16 v27, v117, v14, v28 op_sel:[0,1,0]
	v_pk_fma_f16 v12, v118, v14, v12 op_sel_hi:[1,0,1]
	v_add_f32_e32 v31, v6, v7
	v_pk_fma_f16 v6, v120, v15, v13 op_sel:[0,1,0]
	v_pk_fma_f16 v7, v119, v15, v26 op_sel_hi:[1,0,1]
	v_pk_fma_f16 v26, v119, v15, v27 op_sel:[0,1,0]
	v_pk_fma_f16 v27, v120, v15, v12 op_sel_hi:[1,0,1]
	ds_load_2addr_b64 v[12:15], v112 offset0:192 offset1:224
	s_waitcnt lgkmcnt(3)
	v_pk_fma_f16 v28, v9, v16, v6 op_sel:[0,1,0]
	v_pk_fma_f16 v29, v8, v16, v7 op_sel_hi:[1,0,1]
	v_pk_fma_f16 v26, v8, v16, v26 op_sel:[0,1,0]
	v_pk_fma_f16 v16, v9, v16, v27 op_sel_hi:[1,0,1]
	ds_load_2addr_b64 v[6:9], v113 offset1:32
	v_pk_fma_f16 v117, v11, v17, v28 op_sel:[0,1,0]
	v_pk_fma_f16 v118, v10, v17, v29 op_sel_hi:[1,0,1]
	v_pk_fma_f16 v10, v10, v17, v26 op_sel:[0,1,0]
	ds_load_b128 v[26:29], v91 offset:384
	v_pk_fma_f16 v11, v11, v17, v16 op_sel_hi:[1,0,1]
	s_waitcnt lgkmcnt(3)
	v_pk_fma_f16 v16, v19, v22, v117 op_sel:[0,1,0]
	v_pk_fma_f16 v17, v18, v22, v118 op_sel_hi:[1,0,1]
	v_pk_fma_f16 v10, v18, v22, v10 op_sel:[0,1,0]
	v_add_f32_e32 v30, v5, v30
	v_pk_fma_f16 v11, v19, v22, v11 op_sel_hi:[1,0,1]
	v_pk_fma_f16 v5, v21, v23, v16 op_sel:[0,1,0]
	v_pk_fma_f16 v22, v20, v23, v17 op_sel_hi:[1,0,1]
	v_pk_fma_f16 v10, v20, v23, v10 op_sel:[0,1,0]
	ds_load_2addr_b64 v[16:19], v113 offset0:64 offset1:96
	v_pk_fma_f16 v11, v21, v23, v11 op_sel_hi:[1,0,1]
	s_waitcnt lgkmcnt(3)
	v_pk_fma_f16 v5, v13, v24, v5 op_sel:[0,1,0]
	v_pk_fma_f16 v20, v12, v24, v22 op_sel_hi:[1,0,1]
	v_pk_fma_f16 v21, v12, v24, v10 op_sel:[0,1,0]
	v_add_f32_e32 v31, v4, v31
	v_pk_fma_f16 v22, v13, v24, v11 op_sel_hi:[1,0,1]
	v_pk_fma_f16 v5, v15, v25, v5 op_sel:[0,1,0]
	v_pk_fma_f16 v24, v14, v25, v20 op_sel_hi:[1,0,1]
	v_pk_fma_f16 v14, v14, v25, v21 op_sel:[0,1,0]
	ds_load_2addr_b64 v[10:13], v113 offset0:128 offset1:160
	v_pk_fma_f16 v15, v15, v25, v22 op_sel_hi:[1,0,1]
	ds_load_b128 v[20:23], v91 offset:400
	s_waitcnt lgkmcnt(3)
	v_pk_fma_f16 v5, v7, v26, v5 op_sel:[0,1,0]
	v_pk_fma_f16 v24, v6, v26, v24 op_sel_hi:[1,0,1]
	v_pk_fma_f16 v6, v6, v26, v14 op_sel:[0,1,0]
	v_pk_fma_f16 v7, v7, v26, v15 op_sel_hi:[1,0,1]
	v_add_f32_e32 v122, v2, v31
	v_pk_fma_f16 v14, v9, v27, v5 op_sel:[0,1,0]
	v_pk_fma_f16 v15, v8, v27, v24 op_sel_hi:[1,0,1]
	v_pk_fma_f16 v8, v8, v27, v6 op_sel:[0,1,0]
	v_pk_fma_f16 v9, v9, v27, v7 op_sel_hi:[1,0,1]
	ds_load_2addr_b64 v[4:7], v113 offset0:192 offset1:224
	s_waitcnt lgkmcnt(3)
	v_pk_fma_f16 v24, v17, v28, v14 op_sel:[0,1,0]
	v_pk_fma_f16 v25, v16, v28, v15 op_sel_hi:[1,0,1]
	v_pk_fma_f16 v8, v16, v28, v8 op_sel:[0,1,0]
	v_pk_fma_f16 v9, v17, v28, v9 op_sel_hi:[1,0,1]
	ds_load_2addr_b64 v[14:17], v114 offset1:32
	v_pk_fma_f16 v28, v19, v29, v24 op_sel:[0,1,0]
	v_pk_fma_f16 v117, v18, v29, v25 op_sel_hi:[1,0,1]
	ds_load_b128 v[24:27], v91 offset:416
	v_pk_fma_f16 v8, v18, v29, v8 op_sel:[0,1,0]
	v_pk_fma_f16 v9, v19, v29, v9 op_sel_hi:[1,0,1]
	s_waitcnt lgkmcnt(3)
	v_pk_fma_f16 v18, v11, v20, v28 op_sel:[0,1,0]
	v_pk_fma_f16 v19, v10, v20, v117 op_sel_hi:[1,0,1]
	v_add_f32_e32 v117, v3, v30
	v_pk_fma_f16 v8, v10, v20, v8 op_sel:[0,1,0]
	v_pk_fma_f16 v9, v11, v20, v9 op_sel_hi:[1,0,1]
	v_pk_fma_f16 v3, v13, v21, v18 op_sel:[0,1,0]
	v_pk_fma_f16 v18, v12, v21, v19 op_sel_hi:[1,0,1]
	ds_load_2addr_b64 v[118:121], v116 offset0:64 offset1:96
	v_pk_fma_f16 v12, v12, v21, v8 op_sel:[0,1,0]
	v_pk_fma_f16 v13, v13, v21, v9 op_sel_hi:[1,0,1]
	ds_load_2addr_b64 v[8:11], v114 offset0:64 offset1:96
	s_waitcnt lgkmcnt(4)
	v_pk_fma_f16 v3, v5, v22, v3 op_sel:[0,1,0]
	v_pk_fma_f16 v28, v4, v22, v18 op_sel_hi:[1,0,1]
	v_pk_fma_f16 v4, v4, v22, v12 op_sel:[0,1,0]
	v_pk_fma_f16 v5, v5, v22, v13 op_sel_hi:[1,0,1]
	ds_load_2addr_b64 v[18:21], v114 offset0:128 offset1:160
	v_pk_fma_f16 v12, v7, v23, v3 op_sel:[0,1,0]
	v_pk_fma_f16 v13, v6, v23, v28 op_sel_hi:[1,0,1]
	v_pk_fma_f16 v22, v6, v23, v4 op_sel:[0,1,0]
	v_pk_fma_f16 v7, v7, v23, v5 op_sel_hi:[1,0,1]
	ds_load_b128 v[3:6], v91 offset:432
	s_waitcnt lgkmcnt(4)
	v_pk_fma_f16 v12, v15, v24, v12 op_sel:[0,1,0]
	v_pk_fma_f16 v13, v14, v24, v13 op_sel_hi:[1,0,1]
	v_pk_fma_f16 v14, v14, v24, v22 op_sel:[0,1,0]
	v_pk_fma_f16 v7, v15, v24, v7 op_sel_hi:[1,0,1]
	v_fmac_f32_e32 v117, v69, v1
	v_pk_fma_f16 v2, v17, v25, v12 op_sel:[0,1,0]
	v_pk_fma_f16 v22, v16, v25, v13 op_sel_hi:[1,0,1]
	v_pk_fma_f16 v16, v16, v25, v14 op_sel:[0,1,0]
	v_pk_fma_f16 v7, v17, v25, v7 op_sel_hi:[1,0,1]
	ds_load_2addr_b64 v[12:15], v114 offset0:192 offset1:224
	s_waitcnt lgkmcnt(3)
	v_pk_fma_f16 v2, v9, v26, v2 op_sel:[0,1,0]
	v_pk_fma_f16 v17, v8, v26, v22 op_sel_hi:[1,0,1]
	v_pk_fma_f16 v8, v8, v26, v16 op_sel:[0,1,0]
	v_pk_fma_f16 v7, v9, v26, v7 op_sel_hi:[1,0,1]
	ds_load_2addr_b64 v[22:25], v115 offset1:32
	v_pk_fma_f16 v2, v11, v27, v2 op_sel:[0,1,0]
	v_pk_fma_f16 v16, v10, v27, v17 op_sel_hi:[1,0,1]
	v_pk_fma_f16 v17, v10, v27, v8 op_sel:[0,1,0]
	v_pk_fma_f16 v11, v11, v27, v7 op_sel_hi:[1,0,1]
	ds_load_b128 v[7:10], v91 offset:448
	s_waitcnt lgkmcnt(3)
	v_pk_fma_f16 v2, v19, v3, v2 op_sel:[0,1,0]
	v_pk_fma_f16 v26, v18, v3, v16 op_sel_hi:[1,0,1]
	v_pk_fma_f16 v27, v18, v3, v17 op_sel:[0,1,0]
	v_pk_fma_f16 v3, v19, v3, v11 op_sel_hi:[1,0,1]
	ds_load_2addr_b64 v[16:19], v115 offset0:64 offset1:96
	v_pk_fma_f16 v2, v21, v4, v2 op_sel:[0,1,0]
	v_pk_fma_f16 v11, v20, v4, v26 op_sel_hi:[1,0,1]
	v_pk_fma_f16 v20, v20, v4, v27 op_sel:[0,1,0]
	v_pk_fma_f16 v3, v21, v4, v3 op_sel_hi:[1,0,1]
	ds_load_2addr_b64 v[26:29], v115 offset0:128 offset1:160
	s_waitcnt lgkmcnt(4)
	v_pk_fma_f16 v21, v13, v5, v2 op_sel:[0,1,0]
	v_pk_fma_f16 v11, v12, v5, v11 op_sel_hi:[1,0,1]
	v_pk_fma_f16 v12, v12, v5, v20 op_sel:[0,1,0]
	v_pk_fma_f16 v13, v13, v5, v3 op_sel_hi:[1,0,1]
	ds_load_b128 v[2:5], v91 offset:464
	v_pk_fma_f16 v20, v15, v6, v21 op_sel:[0,1,0]
	v_pk_fma_f16 v21, v14, v6, v11 op_sel_hi:[1,0,1]
	v_pk_fma_f16 v30, v14, v6, v12 op_sel:[0,1,0]
	v_pk_fma_f16 v6, v15, v6, v13 op_sel_hi:[1,0,1]
	ds_load_2addr_b64 v[11:14], v115 offset0:192 offset1:224
	s_waitcnt lgkmcnt(4)
	v_pk_fma_f16 v15, v23, v7, v20 op_sel:[0,1,0]
	v_pk_fma_f16 v31, v22, v7, v21 op_sel_hi:[1,0,1]
	v_pk_fma_f16 v30, v22, v7, v30 op_sel:[0,1,0]
	v_pk_fma_f16 v6, v23, v7, v6 op_sel_hi:[1,0,1]
	ds_load_2addr_b64 v[20:23], v116 offset1:32
	v_pk_fma_f16 v7, v25, v8, v15 op_sel:[0,1,0]
	v_pk_fma_f16 v15, v24, v8, v31 op_sel_hi:[1,0,1]
	v_pk_fma_f16 v24, v24, v8, v30 op_sel:[0,1,0]
	v_pk_fma_f16 v6, v25, v8, v6 op_sel_hi:[1,0,1]
	s_waitcnt lgkmcnt(4)
	v_pk_fma_f16 v25, v17, v9, v7 op_sel:[0,1,0]
	v_pk_fma_f16 v15, v16, v9, v15 op_sel_hi:[1,0,1]
	v_pk_fma_f16 v16, v16, v9, v24 op_sel:[0,1,0]
	v_pk_fma_f16 v17, v17, v9, v6 op_sel_hi:[1,0,1]
	ds_load_2addr_b64 v[6:9], v116 offset0:128 offset1:160
	v_pk_fma_f16 v24, v19, v10, v25 op_sel:[0,1,0]
	v_pk_fma_f16 v25, v18, v10, v15 op_sel_hi:[1,0,1]
	v_pk_fma_f16 v30, v18, v10, v16 op_sel:[0,1,0]
	v_pk_fma_f16 v10, v19, v10, v17 op_sel_hi:[1,0,1]
	ds_load_b128 v[15:18], v91 offset:480
	s_waitcnt lgkmcnt(4)
	v_pk_fma_f16 v19, v27, v2, v24 op_sel:[0,1,0]
	v_pk_fma_f16 v31, v26, v2, v25 op_sel_hi:[1,0,1]
	v_pk_fma_f16 v30, v26, v2, v30 op_sel:[0,1,0]
	v_pk_fma_f16 v2, v27, v2, v10 op_sel_hi:[1,0,1]
	ds_load_b128 v[24:27], v91 offset:496
	v_pk_fma_f16 v10, v29, v3, v19 op_sel:[0,1,0]
	v_pk_fma_f16 v19, v28, v3, v31 op_sel_hi:[1,0,1]
	v_pk_fma_f16 v123, v28, v3, v30 op_sel:[0,1,0]
	v_pk_fma_f16 v2, v29, v3, v2 op_sel_hi:[1,0,1]
	ds_load_2addr_b64 v[28:31], v116 offset0:192 offset1:224
	s_waitcnt lgkmcnt(5)
	v_pk_fma_f16 v3, v12, v4, v10 op_sel:[0,1,0]
	v_pk_fma_f16 v10, v11, v4, v19 op_sel_hi:[1,0,1]
	v_pk_fma_f16 v11, v11, v4, v123 op_sel:[0,1,0]
	v_pk_fma_f16 v2, v12, v4, v2 op_sel_hi:[1,0,1]
	s_waitcnt lgkmcnt(0)
	v_pk_fma_f16 v3, v14, v5, v3 op_sel:[0,1,0]
	v_pk_fma_f16 v4, v13, v5, v10 op_sel_hi:[1,0,1]
	v_pk_fma_f16 v10, v13, v5, v11 op_sel:[0,1,0]
	v_pk_fma_f16 v2, v14, v5, v2 op_sel_hi:[1,0,1]
	s_barrier
	v_pk_fma_f16 v3, v21, v15, v3 op_sel:[0,1,0]
	v_pk_fma_f16 v4, v20, v15, v4 op_sel_hi:[1,0,1]
	v_pk_fma_f16 v5, v20, v15, v10 op_sel:[0,1,0]
	v_pk_fma_f16 v2, v21, v15, v2 op_sel_hi:[1,0,1]
	buffer_gl0_inv
	v_pk_fma_f16 v3, v23, v16, v3 op_sel:[0,1,0]
	v_pk_fma_f16 v4, v22, v16, v4 op_sel_hi:[1,0,1]
	v_pk_fma_f16 v5, v22, v16, v5 op_sel:[0,1,0]
	v_pk_fma_f16 v2, v23, v16, v2 op_sel_hi:[1,0,1]
	s_load_b32 s2, s[12:13], 0x4
	v_pk_fma_f16 v3, v119, v17, v3 op_sel:[0,1,0]
	v_pk_fma_f16 v4, v118, v17, v4 op_sel_hi:[1,0,1]
	v_pk_fma_f16 v5, v118, v17, v5 op_sel:[0,1,0]
	v_pk_fma_f16 v2, v119, v17, v2 op_sel_hi:[1,0,1]
	v_mov_b32_e32 v118, v122
	v_pk_fma_f16 v1, v121, v18, v3 op_sel:[0,1,0]
	v_pk_fma_f16 v3, v120, v18, v4 op_sel_hi:[1,0,1]
	v_pk_fma_f16 v4, v120, v18, v5 op_sel:[0,1,0]
	v_pk_fma_f16 v2, v121, v18, v2 op_sel_hi:[1,0,1]
	v_fmac_f32_e32 v118, v70, v0
	v_pk_fma_f16 v1, v7, v24, v1 op_sel:[0,1,0]
	v_pk_fma_f16 v3, v6, v24, v3 op_sel_hi:[1,0,1]
	v_pk_fma_f16 v4, v6, v24, v4 op_sel:[0,1,0]
	v_pk_fma_f16 v2, v7, v24, v2 op_sel_hi:[1,0,1]
	s_delay_alu instid0(VALU_DEP_4) | instskip(NEXT) | instid1(VALU_DEP_4)
	v_pk_fma_f16 v0, v9, v25, v1 op_sel:[0,1,0]
	v_pk_fma_f16 v1, v8, v25, v3 op_sel_hi:[1,0,1]
	s_delay_alu instid0(VALU_DEP_4) | instskip(NEXT) | instid1(VALU_DEP_4)
	v_pk_fma_f16 v3, v8, v25, v4 op_sel:[0,1,0]
	v_pk_fma_f16 v2, v9, v25, v2 op_sel_hi:[1,0,1]
	s_waitcnt lgkmcnt(0)
	s_lshl_b32 s2, s2, 7
	v_pk_fma_f16 v0, v29, v26, v0 op_sel:[0,1,0]
	v_pk_fma_f16 v1, v28, v26, v1 op_sel_hi:[1,0,1]
	v_pk_fma_f16 v3, v28, v26, v3 op_sel:[0,1,0]
	v_pk_fma_f16 v2, v29, v26, v2 op_sel_hi:[1,0,1]
	s_add_i32 s16, s2, s16
	v_pk_fma_f16 v119, v31, v27, v0 op_sel:[0,1,0]
	v_pk_fma_f16 v121, v30, v27, v1 op_sel_hi:[1,0,1]
	v_pk_fma_f16 v120, v30, v27, v3 op_sel:[0,1,0]
	v_pk_fma_f16 v122, v31, v27, v2 op_sel_hi:[1,0,1]
	s_cmp_ge_i32 s16, s34
	s_cbranch_scc0 .LBB24_9
; %bb.10:
	v_mov_b32_e32 v0, v73
.LBB24_11:
	v_cmp_lt_i32_e32 vcc_lo, v79, v74
	s_cmp_lg_u64 s[24:25], 0
	s_cselect_b32 s2, -1, 0
	s_cmp_eq_u32 s14, 0
	v_cndmask_b32_e32 v1, v0, v79, vcc_lo
	v_cmp_lt_i32_e32 vcc_lo, v78, v74
	s_cselect_b32 s3, -1, 0
	s_delay_alu instid0(SALU_CYCLE_1) | instskip(NEXT) | instid1(VALU_DEP_2)
	s_and_b32 s2, s3, s2
	v_lshlrev_b32_e32 v1, 2, v1
	v_cndmask_b32_e32 v3, v0, v78, vcc_lo
	v_cmp_lt_i32_e32 vcc_lo, v77, v74
	ds_bpermute_b32 v2, v1, v117
	s_waitcnt lgkmcnt(0)
	v_dual_add_f32 v2, v117, v2 :: v_dual_lshlrev_b32 v3, 2, v3
	ds_bpermute_b32 v4, v3, v2
	s_waitcnt lgkmcnt(0)
	v_add_f32_e32 v2, v2, v4
	ds_bpermute_b32 v1, v1, v118
	v_cndmask_b32_e32 v5, v0, v77, vcc_lo
	v_cmp_lt_i32_e32 vcc_lo, v76, v74
	s_delay_alu instid0(VALU_DEP_2)
	v_lshlrev_b32_e32 v5, 2, v5
	s_waitcnt lgkmcnt(0)
	v_add_f32_e32 v1, v118, v1
	ds_bpermute_b32 v3, v3, v1
	s_waitcnt lgkmcnt(0)
	v_add_f32_e32 v1, v1, v3
	ds_bpermute_b32 v3, v5, v2
	ds_bpermute_b32 v4, v5, v1
	v_cndmask_b32_e32 v5, v0, v76, vcc_lo
	v_cmp_lt_i32_e32 vcc_lo, v75, v74
	s_delay_alu instid0(VALU_DEP_2) | instskip(SKIP_1) | instid1(VALU_DEP_1)
	v_dual_cndmask_b32 v0, v0, v75 :: v_dual_lshlrev_b32 v5, 2, v5
	s_and_b32 vcc_lo, exec_lo, s2
	v_lshlrev_b32_e32 v0, 2, v0
	s_waitcnt lgkmcnt(0)
	v_dual_add_f32 v2, v2, v3 :: v_dual_add_f32 v1, v1, v4
	ds_bpermute_b32 v3, v5, v2
	ds_bpermute_b32 v4, v5, v1
	s_waitcnt lgkmcnt(0)
	v_dual_add_f32 v2, v2, v3 :: v_dual_add_f32 v1, v1, v4
	ds_bpermute_b32 v3, v0, v2
	ds_bpermute_b32 v4, v0, v1
	s_waitcnt lgkmcnt(0)
	v_dual_add_f32 v0, v2, v3 :: v_dual_add_f32 v1, v1, v4
	s_cbranch_vccz .LBB24_14
; %bb.12:
	v_add_nc_u32_e32 v2, s15, v71
	s_delay_alu instid0(VALU_DEP_1) | instskip(NEXT) | instid1(VALU_DEP_1)
	v_ashrrev_i32_e32 v3, 31, v2
	v_lshlrev_b64 v[2:3], 2, v[2:3]
	s_delay_alu instid0(VALU_DEP_1) | instskip(NEXT) | instid1(VALU_DEP_2)
	v_add_co_u32 v2, vcc_lo, s24, v2
	v_add_co_ci_u32_e32 v3, vcc_lo, s25, v3, vcc_lo
	global_load_b64 v[2:3], v[2:3], off
	v_max_f32_e32 v4, v35, v35
	s_waitcnt vmcnt(0)
	v_dual_max_f32 v6, v36, v36 :: v_dual_max_f32 v7, v3, v3
	v_max_f32_e32 v5, v2, v2
	s_delay_alu instid0(VALU_DEP_1) | instskip(NEXT) | instid1(VALU_DEP_1)
	v_dual_max_f32 v4, v4, v5 :: v_dual_max_f32 v5, v6, v7
	v_dual_sub_f32 v2, v2, v4 :: v_dual_sub_f32 v3, v3, v5
	v_dual_sub_f32 v6, v35, v4 :: v_dual_sub_f32 v7, v36, v5
	s_delay_alu instid0(VALU_DEP_2) | instskip(NEXT) | instid1(VALU_DEP_2)
	v_dual_mov_b32 v36, v5 :: v_dual_mul_f32 v9, 0x3fb8aa3b, v2
	v_dual_mul_f32 v11, 0x3fb8aa3b, v3 :: v_dual_mul_f32 v8, 0x3fb8aa3b, v6
	v_cmp_ngt_f32_e32 vcc_lo, 0xc2ce8ed0, v6
	v_mov_b32_e32 v35, v4
	s_delay_alu instid0(VALU_DEP_4) | instskip(NEXT) | instid1(VALU_DEP_4)
	v_rndne_f32_e32 v15, v9
	v_rndne_f32_e32 v19, v11
	v_fma_f32 v12, 0x3fb8aa3b, v6, -v8
	v_rndne_f32_e32 v13, v8
	v_fma_f32 v14, 0x3fb8aa3b, v2, -v9
	v_fma_f32 v18, 0x3fb8aa3b, v3, -v11
	s_delay_alu instid0(VALU_DEP_4) | instskip(NEXT) | instid1(VALU_DEP_4)
	v_dual_sub_f32 v9, v9, v15 :: v_dual_fmac_f32 v12, 0x32a5705f, v6
	v_dual_sub_f32 v8, v8, v13 :: v_dual_sub_f32 v11, v11, v19
	s_delay_alu instid0(VALU_DEP_3) | instskip(NEXT) | instid1(VALU_DEP_2)
	v_fmac_f32_e32 v18, 0x32a5705f, v3
	v_add_f32_e32 v8, v8, v12
	v_cvt_i32_f32_e32 v12, v13
	v_cvt_i32_f32_e32 v13, v15
	;; [unrolled: 1-line block ×3, first 2 shown]
	v_add_f32_e32 v11, v11, v18
	v_exp_f32_e32 v8, v8
	s_delay_alu instid0(VALU_DEP_1) | instskip(SKIP_3) | instid1(VALU_DEP_2)
	v_exp_f32_e32 v11, v11
	s_waitcnt_depctr 0xfff
	v_ldexp_f32 v8, v8, v12
	v_ldexp_f32 v11, v11, v15
	v_cndmask_b32_e32 v8, 0, v8, vcc_lo
	v_cmp_ngt_f32_e32 vcc_lo, 0xc2ce8ed0, v2
	v_fmac_f32_e32 v14, 0x32a5705f, v2
	s_delay_alu instid0(VALU_DEP_1) | instskip(NEXT) | instid1(VALU_DEP_1)
	v_dual_mul_f32 v10, 0x3fb8aa3b, v7 :: v_dual_add_f32 v9, v9, v14
	v_fma_f32 v16, 0x3fb8aa3b, v7, -v10
	v_rndne_f32_e32 v17, v10
	s_delay_alu instid0(VALU_DEP_3) | instskip(NEXT) | instid1(VALU_DEP_2)
	v_exp_f32_e32 v9, v9
	v_fmac_f32_e32 v16, 0x32a5705f, v7
	s_delay_alu instid0(VALU_DEP_2) | instskip(SKIP_1) | instid1(VALU_DEP_2)
	v_sub_f32_e32 v10, v10, v17
	v_cvt_i32_f32_e32 v14, v17
	v_add_f32_e32 v10, v10, v16
	s_waitcnt_depctr 0xfff
	v_ldexp_f32 v9, v9, v13
	v_exp_f32_e32 v10, v10
	s_delay_alu instid0(VALU_DEP_1) | instskip(SKIP_3) | instid1(VALU_DEP_1)
	v_cndmask_b32_e32 v9, 0, v9, vcc_lo
	v_cmp_ngt_f32_e32 vcc_lo, 0xc2ce8ed0, v7
	s_waitcnt_depctr 0xfff
	v_ldexp_f32 v10, v10, v14
	v_cndmask_b32_e32 v10, 0, v10, vcc_lo
	v_cmp_ngt_f32_e32 vcc_lo, 0xc2ce8ed0, v3
	v_cndmask_b32_e32 v11, 0, v11, vcc_lo
	v_cmp_nlt_f32_e32 vcc_lo, 0x42b17218, v6
	v_cndmask_b32_e32 v6, 0x7f800000, v8, vcc_lo
	v_cmp_nlt_f32_e32 vcc_lo, 0x42b17218, v2
	s_delay_alu instid0(VALU_DEP_2) | instskip(SKIP_2) | instid1(VALU_DEP_3)
	v_cvt_f16_f32_e32 v8, v6
	v_cndmask_b32_e32 v2, 0x7f800000, v9, vcc_lo
	v_cmp_nlt_f32_e32 vcc_lo, 0x42b17218, v7
	v_pk_mul_f16 v121, v8, v121 op_sel_hi:[0,1]
	s_delay_alu instid0(VALU_DEP_3) | instskip(SKIP_3) | instid1(VALU_DEP_4)
	v_fmac_f32_e32 v2, v0, v6
	v_cndmask_b32_e32 v7, 0x7f800000, v10, vcc_lo
	v_cmp_nlt_f32_e32 vcc_lo, 0x42b17218, v3
	v_pk_mul_f16 v122, v8, v122 op_sel_hi:[0,1]
	v_mov_b32_e32 v0, v2
	s_delay_alu instid0(VALU_DEP_4) | instskip(SKIP_1) | instid1(VALU_DEP_2)
	v_cvt_f16_f32_e32 v4, v7
	v_cndmask_b32_e32 v3, 0x7f800000, v11, vcc_lo
	v_pk_mul_f16 v120, v4, v120 op_sel_hi:[0,1]
	s_delay_alu instid0(VALU_DEP_2) | instskip(SKIP_1) | instid1(VALU_DEP_2)
	v_fmac_f32_e32 v3, v1, v7
	v_pk_mul_f16 v119, v4, v119 op_sel_hi:[0,1]
	v_mov_b32_e32 v1, v3
	s_mov_b32 s2, exec_lo
	v_cmpx_gt_i32_e64 s38, v32
	s_cbranch_execnz .LBB24_15
.LBB24_13:
	s_nop 0
	s_sendmsg sendmsg(MSG_DEALLOC_VGPRS)
	s_endpgm
.LBB24_14:
	s_delay_alu instid0(VALU_DEP_1)
	v_dual_mov_b32 v3, v1 :: v_dual_mov_b32 v2, v0
	s_mov_b32 s2, exec_lo
	v_cmpx_gt_i32_e64 s38, v32
	s_cbranch_execz .LBB24_13
.LBB24_15:
	s_load_b32 s1, s[0:1], 0xd4
	v_mov_b32_e32 v6, 1.0
	s_waitcnt lgkmcnt(0)
	s_cmp_lg_u32 s1, 1
	s_cselect_b32 s3, -1, 0
	s_cmp_eq_u32 s1, 1
	s_cselect_b32 s2, -1, 0
	s_and_b32 vcc_lo, exec_lo, s3
	s_cbranch_vccnz .LBB24_17
; %bb.16:
	v_div_scale_f32 v4, null, v0, v0, 1.0
	s_delay_alu instid0(VALU_DEP_1) | instskip(SKIP_2) | instid1(VALU_DEP_1)
	v_rcp_f32_e32 v5, v4
	s_waitcnt_depctr 0xfff
	v_fma_f32 v6, -v4, v5, 1.0
	v_fmac_f32_e32 v5, v6, v5
	v_div_scale_f32 v6, vcc_lo, 1.0, v0, 1.0
	s_delay_alu instid0(VALU_DEP_1) | instskip(NEXT) | instid1(VALU_DEP_1)
	v_mul_f32_e32 v7, v6, v5
	v_fma_f32 v8, -v4, v7, v6
	s_delay_alu instid0(VALU_DEP_1) | instskip(NEXT) | instid1(VALU_DEP_1)
	v_fmac_f32_e32 v7, v8, v5
	v_fma_f32 v4, -v4, v7, v6
	s_delay_alu instid0(VALU_DEP_1) | instskip(NEXT) | instid1(VALU_DEP_1)
	v_div_fmas_f32 v4, v4, v5, v7
	v_div_fixup_f32 v6, v4, v0, 1.0
.LBB24_17:
	v_mad_u64_u32 v[4:5], null, s11, s38, v[32:33]
	v_cvt_f32_f16_e32 v9, v121
	v_mov_b32_e32 v8, 0
	v_cvt_f32_f16_e32 v10, v122
	v_cmp_eq_u32_e32 vcc_lo, 0, v33
	v_mul_lo_u32 v0, v4, s39
	s_delay_alu instid0(VALU_DEP_1) | instskip(NEXT) | instid1(VALU_DEP_1)
	v_add3_u32 v0, s15, v71, v0
	v_mad_u64_u32 v[4:5], null, s1, v0, s[14:15]
	v_lshrrev_b32_e32 v5, 16, v122
	v_lshrrev_b32_e32 v0, 16, v121
	s_delay_alu instid0(VALU_DEP_2) | instskip(NEXT) | instid1(VALU_DEP_4)
	v_cvt_f32_f16_e32 v5, v5
	v_lshl_add_u32 v7, v4, 7, v72
	s_delay_alu instid0(VALU_DEP_3) | instskip(NEXT) | instid1(VALU_DEP_2)
	v_cvt_f32_f16_e32 v0, v0
	v_lshlrev_b64 v[11:12], 2, v[7:8]
	v_mul_f32_e32 v7, v6, v9
	v_mul_f32_e32 v9, v6, v10
	;; [unrolled: 1-line block ×4, first 2 shown]
	v_add_co_u32 v5, s0, s28, v11
	s_delay_alu instid0(VALU_DEP_1)
	v_add_co_ci_u32_e64 v6, s0, s29, v12, s0
	s_and_b32 s0, vcc_lo, s3
	global_store_b128 v[5:6], v[7:10], off
	s_and_saveexec_b32 s3, s0
	s_cbranch_execz .LBB24_19
; %bb.18:
	v_ashrrev_i32_e32 v5, 31, v4
	v_dual_mov_b32 v7, v35 :: v_dual_mov_b32 v8, v2
	s_delay_alu instid0(VALU_DEP_2) | instskip(NEXT) | instid1(VALU_DEP_1)
	v_lshlrev_b64 v[5:6], 3, v[4:5]
	v_add_co_u32 v5, vcc_lo, s30, v5
	s_delay_alu instid0(VALU_DEP_2)
	v_add_co_ci_u32_e32 v6, vcc_lo, s31, v6, vcc_lo
	global_store_b64 v[5:6], v[7:8], off
.LBB24_19:
	s_or_b32 exec_lo, exec_lo, s3
	v_mov_b32_e32 v2, 1.0
	s_and_not1_b32 vcc_lo, exec_lo, s2
	s_cbranch_vccnz .LBB24_21
; %bb.20:
	v_div_scale_f32 v0, null, v1, v1, 1.0
	s_delay_alu instid0(VALU_DEP_1) | instskip(SKIP_2) | instid1(VALU_DEP_1)
	v_rcp_f32_e32 v2, v0
	s_waitcnt_depctr 0xfff
	v_fma_f32 v5, -v0, v2, 1.0
	v_fmac_f32_e32 v2, v5, v2
	v_div_scale_f32 v5, vcc_lo, 1.0, v1, 1.0
	s_delay_alu instid0(VALU_DEP_1) | instskip(NEXT) | instid1(VALU_DEP_1)
	v_mul_f32_e32 v6, v5, v2
	v_fma_f32 v7, -v0, v6, v5
	s_delay_alu instid0(VALU_DEP_1) | instskip(NEXT) | instid1(VALU_DEP_1)
	v_fmac_f32_e32 v6, v7, v2
	v_fma_f32 v0, -v0, v6, v5
	s_delay_alu instid0(VALU_DEP_1) | instskip(NEXT) | instid1(VALU_DEP_1)
	v_div_fmas_f32 v0, v0, v2, v6
	v_div_fixup_f32 v2, v0, v1, 1.0
.LBB24_21:
	v_dual_mov_b32 v5, 0 :: v_dual_add_nc_u32 v0, s1, v4
	v_lshrrev_b32_e32 v1, 16, v120
	v_lshrrev_b32_e32 v6, 16, v119
	v_cvt_f32_f16_e32 v7, v120
	s_delay_alu instid0(VALU_DEP_4) | instskip(SKIP_3) | instid1(VALU_DEP_4)
	v_lshl_add_u32 v4, v0, 7, v72
	v_cvt_f32_f16_e32 v10, v119
	v_cvt_f32_f16_e32 v1, v1
	;; [unrolled: 1-line block ×3, first 2 shown]
	v_lshlrev_b64 v[8:9], 2, v[4:5]
	v_mul_f32_e32 v4, v2, v7
	s_delay_alu instid0(VALU_DEP_4)
	v_mul_f32_e32 v5, v2, v1
	v_mul_f32_e32 v6, v2, v10
	;; [unrolled: 1-line block ×3, first 2 shown]
	v_add_co_u32 v1, vcc_lo, s28, v8
	v_add_co_ci_u32_e32 v2, vcc_lo, s29, v9, vcc_lo
	global_store_b128 v[1:2], v[4:7], off
	s_and_b32 exec_lo, exec_lo, s0
	s_cbranch_execz .LBB24_13
; %bb.22:
	v_ashrrev_i32_e32 v1, 31, v0
	v_mov_b32_e32 v2, v36
	s_delay_alu instid0(VALU_DEP_2) | instskip(NEXT) | instid1(VALU_DEP_1)
	v_lshlrev_b64 v[0:1], 3, v[0:1]
	v_add_co_u32 v0, vcc_lo, s30, v0
	s_delay_alu instid0(VALU_DEP_2)
	v_add_co_ci_u32_e32 v1, vcc_lo, s31, v1, vcc_lo
	global_store_b64 v[0:1], v[2:3], off
	s_nop 0
	s_sendmsg sendmsg(MSG_DEALLOC_VGPRS)
	s_endpgm
	.section	.rodata,"a",@progbits
	.p2align	6, 0x0
	.amdhsa_kernel _ZL15flash_attn_tileILi128ELi128ELi4ELi4ELb0EEvPKcS1_S1_S1_S1_PKiPfP15HIP_vector_typeIfLj2EEffffjfiS5_IjLj3EEiiiiiiiiiiiliiliiiiil
		.amdhsa_group_segment_fixed_size 43008
		.amdhsa_private_segment_fixed_size 0
		.amdhsa_kernarg_size 464
		.amdhsa_user_sgpr_count 13
		.amdhsa_user_sgpr_dispatch_ptr 0
		.amdhsa_user_sgpr_queue_ptr 0
		.amdhsa_user_sgpr_kernarg_segment_ptr 1
		.amdhsa_user_sgpr_dispatch_id 0
		.amdhsa_user_sgpr_private_segment_size 0
		.amdhsa_wavefront_size32 1
		.amdhsa_uses_dynamic_stack 0
		.amdhsa_enable_private_segment 0
		.amdhsa_system_sgpr_workgroup_id_x 1
		.amdhsa_system_sgpr_workgroup_id_y 1
		.amdhsa_system_sgpr_workgroup_id_z 1
		.amdhsa_system_sgpr_workgroup_info 0
		.amdhsa_system_vgpr_workitem_id 1
		.amdhsa_next_free_vgpr 161
		.amdhsa_next_free_sgpr 42
		.amdhsa_reserve_vcc 1
		.amdhsa_float_round_mode_32 0
		.amdhsa_float_round_mode_16_64 0
		.amdhsa_float_denorm_mode_32 3
		.amdhsa_float_denorm_mode_16_64 3
		.amdhsa_dx10_clamp 1
		.amdhsa_ieee_mode 1
		.amdhsa_fp16_overflow 0
		.amdhsa_workgroup_processor_mode 1
		.amdhsa_memory_ordered 1
		.amdhsa_forward_progress 0
		.amdhsa_shared_vgpr_count 0
		.amdhsa_exception_fp_ieee_invalid_op 0
		.amdhsa_exception_fp_denorm_src 0
		.amdhsa_exception_fp_ieee_div_zero 0
		.amdhsa_exception_fp_ieee_overflow 0
		.amdhsa_exception_fp_ieee_underflow 0
		.amdhsa_exception_fp_ieee_inexact 0
		.amdhsa_exception_int_div_zero 0
	.end_amdhsa_kernel
	.section	.text._ZL15flash_attn_tileILi128ELi128ELi4ELi4ELb0EEvPKcS1_S1_S1_S1_PKiPfP15HIP_vector_typeIfLj2EEffffjfiS5_IjLj3EEiiiiiiiiiiiliiliiiiil,"axG",@progbits,_ZL15flash_attn_tileILi128ELi128ELi4ELi4ELb0EEvPKcS1_S1_S1_S1_PKiPfP15HIP_vector_typeIfLj2EEffffjfiS5_IjLj3EEiiiiiiiiiiiliiliiiiil,comdat
.Lfunc_end24:
	.size	_ZL15flash_attn_tileILi128ELi128ELi4ELi4ELb0EEvPKcS1_S1_S1_S1_PKiPfP15HIP_vector_typeIfLj2EEffffjfiS5_IjLj3EEiiiiiiiiiiiliiliiiiil, .Lfunc_end24-_ZL15flash_attn_tileILi128ELi128ELi4ELi4ELb0EEvPKcS1_S1_S1_S1_PKiPfP15HIP_vector_typeIfLj2EEffffjfiS5_IjLj3EEiiiiiiiiiiiliiliiiiil
                                        ; -- End function
	.section	.AMDGPU.csdata,"",@progbits
; Kernel info:
; codeLenInByte = 22900
; NumSgprs: 44
; NumVgprs: 161
; ScratchSize: 0
; MemoryBound: 0
; FloatMode: 240
; IeeeMode: 1
; LDSByteSize: 43008 bytes/workgroup (compile time only)
; SGPRBlocks: 5
; VGPRBlocks: 20
; NumSGPRsForWavesPerEU: 44
; NumVGPRsForWavesPerEU: 161
; Occupancy: 6
; WaveLimiterHint : 1
; COMPUTE_PGM_RSRC2:SCRATCH_EN: 0
; COMPUTE_PGM_RSRC2:USER_SGPR: 13
; COMPUTE_PGM_RSRC2:TRAP_HANDLER: 0
; COMPUTE_PGM_RSRC2:TGID_X_EN: 1
; COMPUTE_PGM_RSRC2:TGID_Y_EN: 1
; COMPUTE_PGM_RSRC2:TGID_Z_EN: 1
; COMPUTE_PGM_RSRC2:TIDIG_COMP_CNT: 1
	.section	.text._ZL33flash_attn_stream_k_fixup_uniformILi128ELi4ELi4EEvPfPK15HIP_vector_typeIfLj2EEiiiiiiS1_IjLj3EES5_S5_,"axG",@progbits,_ZL33flash_attn_stream_k_fixup_uniformILi128ELi4ELi4EEvPfPK15HIP_vector_typeIfLj2EEiiiiiiS1_IjLj3EES5_S5_,comdat
	.globl	_ZL33flash_attn_stream_k_fixup_uniformILi128ELi4ELi4EEvPfPK15HIP_vector_typeIfLj2EEiiiiiiS1_IjLj3EES5_S5_ ; -- Begin function _ZL33flash_attn_stream_k_fixup_uniformILi128ELi4ELi4EEvPfPK15HIP_vector_typeIfLj2EEiiiiiiS1_IjLj3EES5_S5_
	.p2align	8
	.type	_ZL33flash_attn_stream_k_fixup_uniformILi128ELi4ELi4EEvPfPK15HIP_vector_typeIfLj2EEiiiiiiS1_IjLj3EES5_S5_,@function
_ZL33flash_attn_stream_k_fixup_uniformILi128ELi4ELi4EEvPfPK15HIP_vector_typeIfLj2EEiiiiiiS1_IjLj3EES5_S5_: ; @_ZL33flash_attn_stream_k_fixup_uniformILi128ELi4ELi4EEvPfPK15HIP_vector_typeIfLj2EEiiiiiiS1_IjLj3EES5_S5_
; %bb.0:
	s_clause 0x1
	s_load_b256 s[4:11], s[0:1], 0x1c
	s_load_b128 s[16:19], s[0:1], 0x3c
	s_waitcnt lgkmcnt(0)
	s_mul_hi_u32 s2, s7, s13
	s_delay_alu instid0(SALU_CYCLE_1) | instskip(NEXT) | instid1(SALU_CYCLE_1)
	s_add_i32 s2, s13, s2
	s_lshr_b32 s2, s2, s8
	s_delay_alu instid0(SALU_CYCLE_1) | instskip(SKIP_2) | instid1(SALU_CYCLE_1)
	s_mul_i32 s3, s2, s9
	s_load_b64 s[8:9], s[0:1], 0x10
	s_sub_i32 s7, s13, s3
	s_mul_hi_u32 s3, s7, s10
	s_delay_alu instid0(SALU_CYCLE_1) | instskip(NEXT) | instid1(SALU_CYCLE_1)
	s_add_i32 s3, s7, s3
	s_lshr_b32 s3, s3, s11
	s_delay_alu instid0(SALU_CYCLE_1) | instskip(NEXT) | instid1(SALU_CYCLE_1)
	s_mul_i32 s10, s3, s16
	s_sub_i32 s7, s7, s10
	s_delay_alu instid0(SALU_CYCLE_1) | instskip(NEXT) | instid1(SALU_CYCLE_1)
	s_mul_hi_u32 s10, s7, s17
	s_add_i32 s10, s7, s10
	s_delay_alu instid0(SALU_CYCLE_1) | instskip(NEXT) | instid1(SALU_CYCLE_1)
	s_lshr_b32 s10, s10, s18
	s_mul_i32 s11, s10, s19
	s_lshl_b32 s10, s10, 2
	s_sub_i32 s7, s7, s11
	s_delay_alu instid0(SALU_CYCLE_1) | instskip(NEXT) | instid1(SALU_CYCLE_1)
	s_lshl_b32 s11, s7, 2
	s_add_i32 s11, s11, s14
	s_waitcnt lgkmcnt(0)
	s_cmp_lt_i32 s11, s8
	s_cselect_b32 s11, -1, 0
	s_add_i32 s12, s10, s15
	s_delay_alu instid0(SALU_CYCLE_1) | instskip(SKIP_1) | instid1(SALU_CYCLE_1)
	s_cmp_lt_i32 s12, s5
	s_cselect_b32 s12, -1, 0
	s_and_b32 s11, s11, s12
	s_delay_alu instid0(SALU_CYCLE_1)
	s_and_not1_b32 vcc_lo, exec_lo, s11
	s_cbranch_vccnz .LBB25_6
; %bb.1:
	s_mul_i32 s2, s2, s8
	s_mul_i32 s5, s3, s5
	s_add_i32 s2, s2, s14
	s_mul_i32 s7, s9, s7
	s_mul_i32 s2, s2, s9
	s_lshl_b32 s7, s7, 9
	s_add_i32 s8, s2, s15
	s_load_b128 s[0:3], s[0:1], 0x0
	s_add_i32 s5, s8, s5
	s_lshl_b32 s9, s14, 2
	s_add_i32 s5, s5, s10
	s_delay_alu instid0(SALU_CYCLE_1) | instskip(NEXT) | instid1(SALU_CYCLE_1)
	s_lshl_b32 s5, s5, 7
	s_add_i32 s7, s7, s5
	s_mul_i32 s5, s13, s6
	v_or_b32_e32 v1, s7, v0
	s_add_i32 s10, s5, s6
	s_delay_alu instid0(VALU_DEP_1) | instskip(NEXT) | instid1(VALU_DEP_1)
	v_ashrrev_i32_e32 v2, 31, v1
	v_lshlrev_b64 v[1:2], 2, v[1:2]
	s_waitcnt lgkmcnt(0)
	s_delay_alu instid0(VALU_DEP_1) | instskip(NEXT) | instid1(VALU_DEP_2)
	v_add_co_u32 v1, vcc_lo, s0, v1
	v_add_co_ci_u32_e32 v2, vcc_lo, s1, v2, vcc_lo
	s_add_i32 s0, s9, s15
	s_lshl_b32 s1, s10, 4
	s_delay_alu instid0(SALU_CYCLE_1) | instskip(SKIP_2) | instid1(SALU_CYCLE_1)
	s_add_i32 s0, s0, s1
	global_load_b32 v5, v[1:2], off
	s_add_i32 s0, s0, -16
	s_ashr_i32 s1, s0, 31
	s_delay_alu instid0(SALU_CYCLE_1) | instskip(NEXT) | instid1(SALU_CYCLE_1)
	s_lshl_b64 s[0:1], s[0:1], 3
	s_add_u32 s0, s2, s0
	s_addc_u32 s1, s3, s1
	s_add_i32 s7, s10, -2
	s_load_b32 s11, s[0:1], 0x4
	s_cmp_lt_i32 s7, s5
	s_cbranch_scc1 .LBB25_4
; %bb.2:
	s_lshl_b32 s16, s4, 6
	s_load_b32 s12, s[0:1], 0x0
	s_ashr_i32 s17, s16, 31
	s_delay_alu instid0(SALU_CYCLE_1) | instskip(NEXT) | instid1(SALU_CYCLE_1)
	s_lshl_b64 s[0:1], s[16:17], 2
	s_add_u32 s7, s2, s0
	s_addc_u32 s8, s3, s1
	s_add_i32 s13, s13, 1
	s_lshl_b32 s0, s14, 9
	s_lshl_b32 s1, s15, 7
	s_mul_i32 s6, s6, s13
	s_add_i32 s0, s1, s0
	s_lshl_b32 s1, s6, 11
	s_delay_alu instid0(SALU_CYCLE_1)
	s_add_i32 s0, s0, s1
	s_lshl_b32 s1, s6, 4
	v_or_b32_e32 v0, s0, v0
	s_lshl_b32 s0, s4, 4
	s_add_i32 s1, s15, s1
	s_waitcnt lgkmcnt(0)
	v_mov_b32_e32 v6, s11
	s_add_i32 s0, s1, s0
	v_dual_mov_b32 v0, s12 :: v_dual_add_nc_u32 v3, 0xfffff000, v0
	s_add_i32 s0, s0, s9
	s_add_i32 s4, s10, -1
	s_sub_i32 s0, s0, 32
.LBB25_3:                               ; =>This Inner Loop Header: Depth=1
	s_delay_alu instid0(VALU_DEP_1) | instskip(SKIP_1) | instid1(SALU_CYCLE_1)
	v_ashrrev_i32_e32 v4, 31, v3
	s_ashr_i32 s1, s0, 31
	s_lshl_b64 s[10:11], s[0:1], 3
	s_delay_alu instid0(SALU_CYCLE_1) | instskip(NEXT) | instid1(VALU_DEP_1)
	s_add_u32 s10, s2, s10
	v_lshlrev_b64 v[7:8], 2, v[3:4]
	s_addc_u32 s11, s3, s11
	s_add_i32 s4, s4, -1
	s_add_i32 s0, s0, -16
	s_cmp_le_i32 s4, s5
	s_load_b64 s[10:11], s[10:11], 0x0
	v_add_co_u32 v7, vcc_lo, s7, v7
	v_add_co_ci_u32_e32 v8, vcc_lo, s8, v8, vcc_lo
	global_load_b32 v4, v[7:8], off
	v_max_f32_e32 v7, v0, v0
	s_waitcnt lgkmcnt(0)
	v_max_f32_e64 v8, s10, s10
	s_delay_alu instid0(VALU_DEP_1) | instskip(NEXT) | instid1(VALU_DEP_1)
	v_max_f32_e32 v7, v7, v8
	v_sub_f32_e32 v8, s10, v7
	s_delay_alu instid0(VALU_DEP_1) | instskip(NEXT) | instid1(VALU_DEP_1)
	v_dual_sub_f32 v0, v0, v7 :: v_dual_mul_f32 v9, 0x3fb8aa3b, v8
	v_fma_f32 v10, 0x3fb8aa3b, v8, -v9
	v_rndne_f32_e32 v11, v9
	s_delay_alu instid0(VALU_DEP_3) | instskip(NEXT) | instid1(VALU_DEP_2)
	v_mul_f32_e32 v12, 0x3fb8aa3b, v0
	v_dual_fmac_f32 v10, 0x32a5705f, v8 :: v_dual_sub_f32 v9, v9, v11
	v_cvt_i32_f32_e32 v11, v11
	s_delay_alu instid0(VALU_DEP_3) | instskip(SKIP_1) | instid1(VALU_DEP_4)
	v_fma_f32 v13, 0x3fb8aa3b, v0, -v12
	v_rndne_f32_e32 v14, v12
	v_add_f32_e32 v9, v9, v10
	v_cmp_ngt_f32_e32 vcc_lo, 0xc2ce8ed0, v8
	s_delay_alu instid0(VALU_DEP_3) | instskip(NEXT) | instid1(VALU_DEP_3)
	v_sub_f32_e32 v10, v12, v14
	v_exp_f32_e32 v9, v9
	s_waitcnt_depctr 0xfff
	v_ldexp_f32 v9, v9, v11
	v_cvt_i32_f32_e32 v11, v14
	s_delay_alu instid0(VALU_DEP_2) | instskip(SKIP_1) | instid1(VALU_DEP_2)
	v_cndmask_b32_e32 v9, 0, v9, vcc_lo
	v_cmp_nlt_f32_e32 vcc_lo, 0x42b17218, v8
	v_cndmask_b32_e32 v9, 0x7f800000, v9, vcc_lo
	v_cmp_ngt_f32_e32 vcc_lo, 0xc2ce8ed0, v0
	v_fmac_f32_e32 v13, 0x32a5705f, v0
	s_delay_alu instid0(VALU_DEP_1) | instskip(NEXT) | instid1(VALU_DEP_1)
	v_add_f32_e32 v10, v10, v13
	v_exp_f32_e32 v10, v10
	s_waitcnt_depctr 0xfff
	v_ldexp_f32 v10, v10, v11
	s_delay_alu instid0(VALU_DEP_1)
	v_dual_mov_b32 v11, v6 :: v_dual_cndmask_b32 v10, 0, v10
	v_cmp_le_f32_e32 vcc_lo, 0xc1a00000, v8
	s_waitcnt vmcnt(1)
	v_dual_cndmask_b32 v8, 0, v9 :: v_dual_mov_b32 v9, v5
	v_cmp_nlt_f32_e32 vcc_lo, 0x42b17218, v0
	v_cndmask_b32_e32 v5, 0x7f800000, v10, vcc_lo
	s_delay_alu instid0(VALU_DEP_3) | instskip(SKIP_2) | instid1(VALU_DEP_3)
	v_mul_f32_e32 v10, s11, v8
	v_cmp_le_f32_e32 vcc_lo, 0xc1a00000, v0
	v_mov_b32_e32 v0, v7
	v_mov_b32_e32 v6, v10
	s_waitcnt vmcnt(0)
	v_dual_cndmask_b32 v12, 0, v5 :: v_dual_mul_f32 v5, v4, v8
	s_delay_alu instid0(VALU_DEP_1) | instskip(NEXT) | instid1(VALU_DEP_2)
	v_dual_fmac_f32 v6, v11, v12 :: v_dual_add_nc_u32 v3, 0xfffff800, v3
	v_fmac_f32_e32 v5, v9, v12
	s_cbranch_scc0 .LBB25_3
	s_branch .LBB25_5
.LBB25_4:
	s_waitcnt lgkmcnt(0)
	v_mov_b32_e32 v6, s11
.LBB25_5:
	s_waitcnt vmcnt(0)
	s_delay_alu instid0(VALU_DEP_1) | instskip(NEXT) | instid1(VALU_DEP_1)
	v_div_scale_f32 v0, null, v6, v6, v5
	v_rcp_f32_e32 v3, v0
	s_waitcnt_depctr 0xfff
	v_fma_f32 v4, -v0, v3, 1.0
	s_delay_alu instid0(VALU_DEP_1) | instskip(SKIP_1) | instid1(VALU_DEP_1)
	v_fmac_f32_e32 v3, v4, v3
	v_div_scale_f32 v4, vcc_lo, v5, v6, v5
	v_mul_f32_e32 v7, v4, v3
	s_delay_alu instid0(VALU_DEP_1) | instskip(NEXT) | instid1(VALU_DEP_1)
	v_fma_f32 v8, -v0, v7, v4
	v_fmac_f32_e32 v7, v8, v3
	s_delay_alu instid0(VALU_DEP_1) | instskip(NEXT) | instid1(VALU_DEP_1)
	v_fma_f32 v0, -v0, v7, v4
	v_div_fmas_f32 v0, v0, v3, v7
	s_delay_alu instid0(VALU_DEP_1)
	v_div_fixup_f32 v0, v0, v6, v5
	global_store_b32 v[1:2], v0, off
.LBB25_6:
	s_nop 0
	s_sendmsg sendmsg(MSG_DEALLOC_VGPRS)
	s_endpgm
	.section	.rodata,"a",@progbits
	.p2align	6, 0x0
	.amdhsa_kernel _ZL33flash_attn_stream_k_fixup_uniformILi128ELi4ELi4EEvPfPK15HIP_vector_typeIfLj2EEiiiiiiS1_IjLj3EES5_S5_
		.amdhsa_group_segment_fixed_size 0
		.amdhsa_private_segment_fixed_size 0
		.amdhsa_kernarg_size 76
		.amdhsa_user_sgpr_count 13
		.amdhsa_user_sgpr_dispatch_ptr 0
		.amdhsa_user_sgpr_queue_ptr 0
		.amdhsa_user_sgpr_kernarg_segment_ptr 1
		.amdhsa_user_sgpr_dispatch_id 0
		.amdhsa_user_sgpr_private_segment_size 0
		.amdhsa_wavefront_size32 1
		.amdhsa_uses_dynamic_stack 0
		.amdhsa_enable_private_segment 0
		.amdhsa_system_sgpr_workgroup_id_x 1
		.amdhsa_system_sgpr_workgroup_id_y 1
		.amdhsa_system_sgpr_workgroup_id_z 1
		.amdhsa_system_sgpr_workgroup_info 0
		.amdhsa_system_vgpr_workitem_id 0
		.amdhsa_next_free_vgpr 15
		.amdhsa_next_free_sgpr 20
		.amdhsa_reserve_vcc 1
		.amdhsa_float_round_mode_32 0
		.amdhsa_float_round_mode_16_64 0
		.amdhsa_float_denorm_mode_32 3
		.amdhsa_float_denorm_mode_16_64 3
		.amdhsa_dx10_clamp 1
		.amdhsa_ieee_mode 1
		.amdhsa_fp16_overflow 0
		.amdhsa_workgroup_processor_mode 1
		.amdhsa_memory_ordered 1
		.amdhsa_forward_progress 0
		.amdhsa_shared_vgpr_count 0
		.amdhsa_exception_fp_ieee_invalid_op 0
		.amdhsa_exception_fp_denorm_src 0
		.amdhsa_exception_fp_ieee_div_zero 0
		.amdhsa_exception_fp_ieee_overflow 0
		.amdhsa_exception_fp_ieee_underflow 0
		.amdhsa_exception_fp_ieee_inexact 0
		.amdhsa_exception_int_div_zero 0
	.end_amdhsa_kernel
	.section	.text._ZL33flash_attn_stream_k_fixup_uniformILi128ELi4ELi4EEvPfPK15HIP_vector_typeIfLj2EEiiiiiiS1_IjLj3EES5_S5_,"axG",@progbits,_ZL33flash_attn_stream_k_fixup_uniformILi128ELi4ELi4EEvPfPK15HIP_vector_typeIfLj2EEiiiiiiS1_IjLj3EES5_S5_,comdat
.Lfunc_end25:
	.size	_ZL33flash_attn_stream_k_fixup_uniformILi128ELi4ELi4EEvPfPK15HIP_vector_typeIfLj2EEiiiiiiS1_IjLj3EES5_S5_, .Lfunc_end25-_ZL33flash_attn_stream_k_fixup_uniformILi128ELi4ELi4EEvPfPK15HIP_vector_typeIfLj2EEiiiiiiS1_IjLj3EES5_S5_
                                        ; -- End function
	.section	.AMDGPU.csdata,"",@progbits
; Kernel info:
; codeLenInByte = 996
; NumSgprs: 22
; NumVgprs: 15
; ScratchSize: 0
; MemoryBound: 0
; FloatMode: 240
; IeeeMode: 1
; LDSByteSize: 0 bytes/workgroup (compile time only)
; SGPRBlocks: 2
; VGPRBlocks: 1
; NumSGPRsForWavesPerEU: 22
; NumVGPRsForWavesPerEU: 15
; Occupancy: 16
; WaveLimiterHint : 0
; COMPUTE_PGM_RSRC2:SCRATCH_EN: 0
; COMPUTE_PGM_RSRC2:USER_SGPR: 13
; COMPUTE_PGM_RSRC2:TRAP_HANDLER: 0
; COMPUTE_PGM_RSRC2:TGID_X_EN: 1
; COMPUTE_PGM_RSRC2:TGID_Y_EN: 1
; COMPUTE_PGM_RSRC2:TGID_Z_EN: 1
; COMPUTE_PGM_RSRC2:TIDIG_COMP_CNT: 0
	.section	.text._ZL33flash_attn_stream_k_fixup_generalILi128ELi4ELi4EEvPfPK15HIP_vector_typeIfLj2EEiiiiS1_IjLj3EES5_S5_S5_,"axG",@progbits,_ZL33flash_attn_stream_k_fixup_generalILi128ELi4ELi4EEvPfPK15HIP_vector_typeIfLj2EEiiiiS1_IjLj3EES5_S5_S5_,comdat
	.globl	_ZL33flash_attn_stream_k_fixup_generalILi128ELi4ELi4EEvPfPK15HIP_vector_typeIfLj2EEiiiiS1_IjLj3EES5_S5_S5_ ; -- Begin function _ZL33flash_attn_stream_k_fixup_generalILi128ELi4ELi4EEvPfPK15HIP_vector_typeIfLj2EEiiiiS1_IjLj3EES5_S5_S5_
	.p2align	8
	.type	_ZL33flash_attn_stream_k_fixup_generalILi128ELi4ELi4EEvPfPK15HIP_vector_typeIfLj2EEiiiiS1_IjLj3EES5_S5_S5_,@function
_ZL33flash_attn_stream_k_fixup_generalILi128ELi4ELi4EEvPfPK15HIP_vector_typeIfLj2EEiiiiS1_IjLj3EES5_S5_S5_: ; @_ZL33flash_attn_stream_k_fixup_generalILi128ELi4ELi4EEvPfPK15HIP_vector_typeIfLj2EEiiiiS1_IjLj3EES5_S5_S5_
; %bb.0:
	s_clause 0x1
	s_load_b128 s[4:7], s[0:1], 0x10
	s_load_b32 s20, s[0:1], 0x50
	s_mov_b32 s2, 0
	s_waitcnt lgkmcnt(0)
	s_mul_hi_i32 s3, s7, s13
	s_mul_i32 s12, s7, s13
	s_cmp_lg_u64 s[2:3], 0
	s_cbranch_scc0 .LBB26_21
; %bb.1:
	v_cvt_f32_ubyte0_e32 v1, 0
	v_cvt_f32_u32_e32 v2, s20
	s_sub_u32 s10, 0, s20
	s_subb_u32 s11, 0, 0
	s_delay_alu instid0(VALU_DEP_1) | instskip(NEXT) | instid1(VALU_DEP_1)
	v_fmamk_f32 v1, v1, 0x4f800000, v2
	v_rcp_f32_e32 v1, v1
	s_waitcnt_depctr 0xfff
	v_mul_f32_e32 v1, 0x5f7ffffc, v1
	s_delay_alu instid0(VALU_DEP_1) | instskip(NEXT) | instid1(VALU_DEP_1)
	v_mul_f32_e32 v2, 0x2f800000, v1
	v_trunc_f32_e32 v2, v2
	s_delay_alu instid0(VALU_DEP_1) | instskip(SKIP_1) | instid1(VALU_DEP_2)
	v_fmamk_f32 v1, v2, 0xcf800000, v1
	v_cvt_u32_f32_e32 v2, v2
	v_cvt_u32_f32_e32 v1, v1
	s_delay_alu instid0(VALU_DEP_2) | instskip(NEXT) | instid1(VALU_DEP_2)
	v_readfirstlane_b32 s8, v2
	v_readfirstlane_b32 s9, v1
	s_delay_alu instid0(VALU_DEP_2) | instskip(NEXT) | instid1(VALU_DEP_1)
	s_mul_i32 s16, s10, s8
	s_mul_hi_u32 s18, s10, s9
	s_mul_i32 s17, s11, s9
	s_add_i32 s16, s18, s16
	s_mul_i32 s19, s10, s9
	s_add_i32 s16, s16, s17
	s_mul_hi_u32 s18, s9, s19
	s_mul_hi_u32 s21, s8, s19
	s_mul_i32 s17, s8, s19
	s_mul_hi_u32 s19, s9, s16
	s_mul_i32 s9, s9, s16
	s_mul_hi_u32 s22, s8, s16
	s_add_u32 s9, s18, s9
	s_addc_u32 s18, 0, s19
	s_add_u32 s9, s9, s17
	s_mul_i32 s16, s8, s16
	s_addc_u32 s9, s18, s21
	s_addc_u32 s17, s22, 0
	s_add_u32 s9, s9, s16
	s_addc_u32 s16, 0, s17
	v_add_co_u32 v1, s9, v1, s9
	s_delay_alu instid0(VALU_DEP_1) | instskip(SKIP_1) | instid1(VALU_DEP_1)
	s_cmp_lg_u32 s9, 0
	s_addc_u32 s8, s8, s16
	v_readfirstlane_b32 s9, v1
	s_mul_i32 s16, s10, s8
	s_delay_alu instid0(VALU_DEP_1)
	s_mul_hi_u32 s17, s10, s9
	s_mul_i32 s11, s11, s9
	s_add_i32 s16, s17, s16
	s_mul_i32 s10, s10, s9
	s_add_i32 s16, s16, s11
	s_mul_hi_u32 s17, s8, s10
	s_mul_i32 s18, s8, s10
	s_mul_hi_u32 s10, s9, s10
	s_mul_hi_u32 s19, s9, s16
	s_mul_i32 s9, s9, s16
	s_mul_hi_u32 s11, s8, s16
	s_add_u32 s9, s10, s9
	s_addc_u32 s10, 0, s19
	s_add_u32 s9, s9, s18
	s_mul_i32 s16, s8, s16
	s_addc_u32 s9, s10, s17
	s_addc_u32 s10, s11, 0
	s_add_u32 s9, s9, s16
	s_addc_u32 s10, 0, s10
	v_add_co_u32 v1, s9, v1, s9
	s_delay_alu instid0(VALU_DEP_1) | instskip(SKIP_2) | instid1(SALU_CYCLE_1)
	s_cmp_lg_u32 s9, 0
	s_addc_u32 s16, s8, s10
	s_ashr_i32 s8, s3, 31
	s_add_u32 s10, s12, s8
	s_addc_u32 s11, s3, s8
	v_readfirstlane_b32 s3, v1
	s_mov_b32 s9, s8
	s_delay_alu instid0(SALU_CYCLE_1) | instskip(NEXT) | instid1(SALU_CYCLE_1)
	s_xor_b64 s[10:11], s[10:11], s[8:9]
	s_mul_i32 s18, s10, s16
	s_delay_alu instid0(VALU_DEP_1)
	s_mul_hi_u32 s19, s10, s3
	s_mul_hi_u32 s17, s10, s16
	;; [unrolled: 1-line block ×3, first 2 shown]
	s_mul_i32 s3, s11, s3
	s_add_u32 s18, s19, s18
	s_addc_u32 s17, 0, s17
	s_mul_hi_u32 s21, s11, s16
	s_add_u32 s3, s18, s3
	s_mul_i32 s16, s11, s16
	s_addc_u32 s3, s17, s22
	s_addc_u32 s17, s21, 0
	s_add_u32 s3, s3, s16
	s_addc_u32 s16, 0, s17
	s_mul_i32 s18, s20, s3
	s_add_u32 s17, s3, 1
	v_sub_co_u32 v1, s10, s10, s18
	s_mul_hi_u32 s18, s20, s3
	s_addc_u32 s19, s16, 0
	s_mul_i32 s21, s20, s16
	s_delay_alu instid0(VALU_DEP_1)
	v_sub_co_u32 v2, s22, v1, s20
	s_add_u32 s23, s3, 2
	s_addc_u32 s24, s16, 0
	s_add_i32 s18, s18, s21
	s_cmp_lg_u32 s10, 0
	v_readfirstlane_b32 s10, v2
	s_subb_u32 s11, s11, s18
	s_cmp_lg_u32 s22, 0
	s_subb_u32 s18, s11, 0
	s_delay_alu instid0(VALU_DEP_1) | instskip(SKIP_4) | instid1(SALU_CYCLE_1)
	s_cmp_ge_u32 s10, s20
	s_cselect_b32 s10, -1, 0
	s_cmp_eq_u32 s18, 0
	v_readfirstlane_b32 s18, v1
	s_cselect_b32 s10, s10, -1
	s_cmp_lg_u32 s10, 0
	s_cselect_b32 s10, s23, s17
	s_cselect_b32 s17, s24, s19
	s_cmp_ge_u32 s18, s20
	s_cselect_b32 s18, -1, 0
	s_cmp_eq_u32 s11, 0
	s_cselect_b32 s11, s18, -1
	s_delay_alu instid0(SALU_CYCLE_1) | instskip(SKIP_2) | instid1(SALU_CYCLE_1)
	s_cmp_lg_u32 s11, 0
	s_cselect_b32 s11, s17, s16
	s_cselect_b32 s10, s10, s3
	s_xor_b64 s[10:11], s[10:11], s[8:9]
	s_delay_alu instid0(SALU_CYCLE_1)
	s_sub_u32 s16, s10, s8
	s_load_b128 s[8:11], s[0:1], 0x44
	s_and_not1_b32 vcc_lo, exec_lo, s2
	s_cbranch_vccnz .LBB26_3
.LBB26_2:
	v_cvt_f32_u32_e32 v1, s20
	s_sub_i32 s3, 0, s20
	s_delay_alu instid0(VALU_DEP_1) | instskip(SKIP_2) | instid1(VALU_DEP_1)
	v_rcp_iflag_f32_e32 v1, v1
	s_waitcnt_depctr 0xfff
	v_mul_f32_e32 v1, 0x4f7ffffe, v1
	v_cvt_u32_f32_e32 v1, v1
	s_delay_alu instid0(VALU_DEP_1) | instskip(NEXT) | instid1(VALU_DEP_1)
	v_readfirstlane_b32 s2, v1
	s_mul_i32 s3, s3, s2
	s_delay_alu instid0(SALU_CYCLE_1) | instskip(NEXT) | instid1(SALU_CYCLE_1)
	s_mul_hi_u32 s3, s2, s3
	s_add_i32 s2, s2, s3
	s_delay_alu instid0(SALU_CYCLE_1) | instskip(NEXT) | instid1(SALU_CYCLE_1)
	s_mul_hi_u32 s2, s12, s2
	s_mul_i32 s3, s2, s20
	s_waitcnt lgkmcnt(0)
	s_add_i32 s11, s2, 1
	s_sub_i32 s3, s12, s3
	s_delay_alu instid0(SALU_CYCLE_1)
	s_sub_i32 s12, s3, s20
	s_cmp_ge_u32 s3, s20
	s_cselect_b32 s2, s11, s2
	s_cselect_b32 s3, s12, s3
	s_add_i32 s11, s2, 1
	s_cmp_ge_u32 s3, s20
	s_cselect_b32 s16, s11, s2
.LBB26_3:
	s_waitcnt lgkmcnt(0)
	s_add_i32 s11, s13, 1
	s_mov_b32 s2, 0
	s_mul_hi_i32 s3, s7, s11
	s_mul_i32 s11, s7, s11
	s_cmp_lg_u64 s[2:3], 0
	s_cbranch_scc0 .LBB26_22
; %bb.4:
	v_cvt_f32_ubyte0_e32 v1, 0
	v_cvt_f32_u32_e32 v2, s20
	s_sub_u32 s18, 0, s20
	s_subb_u32 s19, 0, 0
	s_delay_alu instid0(VALU_DEP_1) | instskip(NEXT) | instid1(VALU_DEP_1)
	v_fmamk_f32 v1, v1, 0x4f800000, v2
	v_rcp_f32_e32 v1, v1
	s_waitcnt_depctr 0xfff
	v_mul_f32_e32 v1, 0x5f7ffffc, v1
	s_delay_alu instid0(VALU_DEP_1) | instskip(NEXT) | instid1(VALU_DEP_1)
	v_mul_f32_e32 v2, 0x2f800000, v1
	v_trunc_f32_e32 v2, v2
	s_delay_alu instid0(VALU_DEP_1) | instskip(SKIP_1) | instid1(VALU_DEP_2)
	v_fmamk_f32 v1, v2, 0xcf800000, v1
	v_cvt_u32_f32_e32 v2, v2
	v_cvt_u32_f32_e32 v1, v1
	s_delay_alu instid0(VALU_DEP_2) | instskip(NEXT) | instid1(VALU_DEP_2)
	v_readfirstlane_b32 s12, v2
	v_readfirstlane_b32 s17, v1
	s_delay_alu instid0(VALU_DEP_2) | instskip(NEXT) | instid1(VALU_DEP_1)
	s_mul_i32 s21, s18, s12
	s_mul_hi_u32 s23, s18, s17
	s_mul_i32 s22, s19, s17
	s_add_i32 s21, s23, s21
	s_mul_i32 s24, s18, s17
	s_add_i32 s21, s21, s22
	s_mul_hi_u32 s23, s17, s24
	s_mul_hi_u32 s25, s12, s24
	s_mul_i32 s22, s12, s24
	s_mul_hi_u32 s24, s17, s21
	s_mul_i32 s17, s17, s21
	s_mul_hi_u32 s26, s12, s21
	s_add_u32 s17, s23, s17
	s_addc_u32 s23, 0, s24
	s_add_u32 s17, s17, s22
	s_mul_i32 s21, s12, s21
	s_addc_u32 s17, s23, s25
	s_addc_u32 s22, s26, 0
	s_add_u32 s17, s17, s21
	s_addc_u32 s21, 0, s22
	v_add_co_u32 v1, s17, v1, s17
	s_delay_alu instid0(VALU_DEP_1) | instskip(SKIP_1) | instid1(VALU_DEP_1)
	s_cmp_lg_u32 s17, 0
	s_addc_u32 s12, s12, s21
	v_readfirstlane_b32 s17, v1
	s_mul_i32 s21, s18, s12
	s_delay_alu instid0(VALU_DEP_1)
	s_mul_hi_u32 s22, s18, s17
	s_mul_i32 s19, s19, s17
	s_add_i32 s21, s22, s21
	s_mul_i32 s18, s18, s17
	s_add_i32 s21, s21, s19
	s_mul_hi_u32 s22, s12, s18
	s_mul_i32 s23, s12, s18
	s_mul_hi_u32 s18, s17, s18
	s_mul_hi_u32 s24, s17, s21
	s_mul_i32 s17, s17, s21
	s_mul_hi_u32 s19, s12, s21
	s_add_u32 s17, s18, s17
	s_addc_u32 s18, 0, s24
	s_add_u32 s17, s17, s23
	s_mul_i32 s21, s12, s21
	s_addc_u32 s17, s18, s22
	s_addc_u32 s18, s19, 0
	s_add_u32 s17, s17, s21
	s_addc_u32 s18, 0, s18
	v_add_co_u32 v1, s17, v1, s17
	s_delay_alu instid0(VALU_DEP_1) | instskip(SKIP_2) | instid1(SALU_CYCLE_1)
	s_cmp_lg_u32 s17, 0
	s_addc_u32 s12, s12, s18
	s_ashr_i32 s18, s3, 31
	s_add_u32 s22, s11, s18
	s_addc_u32 s23, s3, s18
	v_readfirstlane_b32 s3, v1
	s_mov_b32 s19, s18
	s_delay_alu instid0(SALU_CYCLE_1) | instskip(NEXT) | instid1(SALU_CYCLE_1)
	s_xor_b64 s[22:23], s[22:23], s[18:19]
	s_mul_i32 s21, s22, s12
	s_delay_alu instid0(VALU_DEP_1)
	s_mul_hi_u32 s24, s22, s3
	s_mul_hi_u32 s17, s22, s12
	;; [unrolled: 1-line block ×3, first 2 shown]
	s_mul_i32 s3, s23, s3
	s_add_u32 s21, s24, s21
	s_addc_u32 s17, 0, s17
	s_mul_hi_u32 s25, s23, s12
	s_add_u32 s3, s21, s3
	s_mul_i32 s12, s23, s12
	s_addc_u32 s3, s17, s26
	s_addc_u32 s17, s25, 0
	s_add_u32 s3, s3, s12
	s_addc_u32 s12, 0, s17
	s_mul_i32 s21, s20, s3
	s_add_u32 s17, s3, 1
	v_sub_co_u32 v1, s21, s22, s21
	s_mul_hi_u32 s22, s20, s3
	s_addc_u32 s24, s12, 0
	s_mul_i32 s25, s20, s12
	s_delay_alu instid0(VALU_DEP_1)
	v_sub_co_u32 v2, s26, v1, s20
	s_add_u32 s27, s3, 2
	s_addc_u32 s28, s12, 0
	s_add_i32 s22, s22, s25
	s_cmp_lg_u32 s21, 0
	v_readfirstlane_b32 s21, v2
	s_subb_u32 s22, s23, s22
	s_cmp_lg_u32 s26, 0
	s_subb_u32 s23, s22, 0
	s_delay_alu instid0(VALU_DEP_1) | instskip(SKIP_4) | instid1(SALU_CYCLE_1)
	s_cmp_ge_u32 s21, s20
	s_cselect_b32 s21, -1, 0
	s_cmp_eq_u32 s23, 0
	v_readfirstlane_b32 s23, v1
	s_cselect_b32 s21, s21, -1
	s_cmp_lg_u32 s21, 0
	s_cselect_b32 s17, s27, s17
	s_cselect_b32 s21, s28, s24
	s_cmp_ge_u32 s23, s20
	s_cselect_b32 s23, -1, 0
	s_cmp_eq_u32 s22, 0
	s_cselect_b32 s22, s23, -1
	s_delay_alu instid0(SALU_CYCLE_1) | instskip(SKIP_2) | instid1(SALU_CYCLE_1)
	s_cmp_lg_u32 s22, 0
	s_cselect_b32 s23, s21, s12
	s_cselect_b32 s22, s17, s3
	s_xor_b64 s[22:23], s[22:23], s[18:19]
	s_delay_alu instid0(SALU_CYCLE_1)
	s_sub_u32 s18, s22, s18
	s_and_not1_b32 vcc_lo, exec_lo, s2
	s_cbranch_vccnz .LBB26_6
.LBB26_5:
	v_cvt_f32_u32_e32 v1, s20
	s_sub_i32 s3, 0, s20
	s_delay_alu instid0(VALU_DEP_1) | instskip(SKIP_2) | instid1(VALU_DEP_1)
	v_rcp_iflag_f32_e32 v1, v1
	s_waitcnt_depctr 0xfff
	v_mul_f32_e32 v1, 0x4f7ffffe, v1
	v_cvt_u32_f32_e32 v1, v1
	s_delay_alu instid0(VALU_DEP_1) | instskip(NEXT) | instid1(VALU_DEP_1)
	v_readfirstlane_b32 s2, v1
	s_mul_i32 s3, s3, s2
	s_delay_alu instid0(SALU_CYCLE_1) | instskip(NEXT) | instid1(SALU_CYCLE_1)
	s_mul_hi_u32 s3, s2, s3
	s_add_i32 s2, s2, s3
	s_delay_alu instid0(SALU_CYCLE_1) | instskip(NEXT) | instid1(SALU_CYCLE_1)
	s_mul_hi_u32 s2, s11, s2
	s_mul_i32 s3, s2, s20
	s_delay_alu instid0(SALU_CYCLE_1)
	s_sub_i32 s3, s11, s3
	s_add_i32 s11, s2, 1
	s_sub_i32 s12, s3, s20
	s_cmp_ge_u32 s3, s20
	s_cselect_b32 s2, s11, s2
	s_cselect_b32 s3, s12, s3
	s_add_i32 s11, s2, 1
	s_cmp_ge_u32 s3, s20
	s_cselect_b32 s18, s11, s2
.LBB26_6:
	s_delay_alu instid0(SALU_CYCLE_1) | instskip(SKIP_3) | instid1(SALU_CYCLE_1)
	s_cmp_eq_u32 s16, s18
	s_mul_hi_u32 s2, s16, s8
	s_cselect_b32 s3, -1, 0
	s_add_i32 s2, s2, s16
	s_lshr_b32 s11, s2, s9
	s_delay_alu instid0(SALU_CYCLE_1) | instskip(NEXT) | instid1(SALU_CYCLE_1)
	s_mul_i32 s2, s11, s10
	s_cmp_eq_u32 s2, s16
	s_mul_hi_u32 s2, s18, s8
	s_cselect_b32 s12, -1, 0
	s_add_i32 s2, s2, s18
	s_delay_alu instid0(SALU_CYCLE_1) | instskip(NEXT) | instid1(SALU_CYCLE_1)
	s_lshr_b32 s2, s2, s9
	s_cmp_eq_u32 s11, s2
	s_mul_i32 s2, s2, s10
	s_cselect_b32 s17, -1, 0
	s_cmp_lg_u32 s2, s18
	s_cselect_b32 s2, -1, 0
	s_or_b32 s3, s3, s12
	s_and_b32 s2, s17, s2
	s_delay_alu instid0(SALU_CYCLE_1) | instskip(NEXT) | instid1(SALU_CYCLE_1)
	s_or_b32 s2, s3, s2
	s_and_b32 vcc_lo, exec_lo, s2
	s_cbranch_vccnz .LBB26_24
; %bb.7:
	s_load_b256 s[24:31], s[0:1], 0x20
	s_waitcnt lgkmcnt(0)
	s_mul_hi_u32 s2, s16, s24
	s_delay_alu instid0(SALU_CYCLE_1) | instskip(NEXT) | instid1(SALU_CYCLE_1)
	s_add_i32 s2, s2, s16
	s_lshr_b32 s17, s2, s25
	s_load_b32 s2, s[0:1], 0x40
	s_mul_i32 s3, s17, s26
	s_delay_alu instid0(SALU_CYCLE_1) | instskip(NEXT) | instid1(SALU_CYCLE_1)
	s_sub_i32 s3, s16, s3
	s_mul_hi_u32 s12, s3, s27
	s_delay_alu instid0(SALU_CYCLE_1) | instskip(NEXT) | instid1(SALU_CYCLE_1)
	s_add_i32 s12, s3, s12
	s_lshr_b32 s21, s12, s28
	s_delay_alu instid0(SALU_CYCLE_1) | instskip(NEXT) | instid1(SALU_CYCLE_1)
	s_mul_i32 s12, s21, s29
	s_sub_i32 s3, s3, s12
	s_delay_alu instid0(SALU_CYCLE_1) | instskip(NEXT) | instid1(SALU_CYCLE_1)
	s_mul_hi_u32 s12, s3, s30
	s_add_i32 s12, s3, s12
	s_delay_alu instid0(SALU_CYCLE_1)
	s_lshr_b32 s12, s12, s31
	s_waitcnt lgkmcnt(0)
	s_mul_i32 s2, s12, s2
	s_lshl_b32 s23, s12, 2
	s_sub_i32 s2, s3, s2
	s_mov_b32 s12, 0
	s_mul_hi_u32 s3, s2, s8
	s_delay_alu instid0(SALU_CYCLE_1) | instskip(NEXT) | instid1(SALU_CYCLE_1)
	s_add_i32 s2, s2, s3
	s_lshr_b32 s22, s2, s9
	s_delay_alu instid0(SALU_CYCLE_1) | instskip(NEXT) | instid1(SALU_CYCLE_1)
	s_lshl_b32 s2, s22, 2
	s_add_i32 s2, s2, s14
	s_delay_alu instid0(SALU_CYCLE_1) | instskip(SKIP_2) | instid1(SALU_CYCLE_1)
	s_cmp_lt_i32 s2, s4
	s_cselect_b32 s2, -1, 0
	s_add_i32 s3, s23, s15
	s_cmp_lt_i32 s3, s6
	s_cselect_b32 s3, -1, 0
	s_delay_alu instid0(SALU_CYCLE_1) | instskip(NEXT) | instid1(SALU_CYCLE_1)
	s_and_b32 s2, s2, s3
	s_and_not1_b32 vcc_lo, exec_lo, s2
	s_cbranch_vccnz .LBB26_24
; %bb.8:
	s_load_b128 s[0:3], s[0:1], 0x0
	s_lshl_b32 s18, s20, 6
	s_mov_b32 s19, s12
	s_lshl_b32 s24, s14, 2
	s_lshl_b64 s[18:19], s[18:19], 2
	s_mul_i32 s4, s17, s4
	s_add_i32 s17, s24, s15
	s_mul_i32 s21, s21, s6
	v_cvt_f32_ubyte0_e32 v4, 0
	v_cvt_f32_u32_e32 v5, s20
	s_waitcnt lgkmcnt(0)
	s_add_u32 s18, s2, s18
	s_addc_u32 s19, s3, s19
	s_add_i32 s4, s4, s14
	s_delay_alu instid0(SALU_CYCLE_1) | instskip(SKIP_4) | instid1(SALU_CYCLE_1)
	s_mul_i32 s4, s4, s5
	s_mul_i32 s5, s5, s22
	s_add_i32 s4, s4, s15
	s_lshl_b32 s5, s5, 9
	s_add_i32 s4, s4, s21
	s_add_i32 s4, s4, s23
	s_delay_alu instid0(SALU_CYCLE_1) | instskip(NEXT) | instid1(SALU_CYCLE_1)
	s_lshl_b32 s4, s4, 7
	s_add_i32 s5, s5, s4
	s_delay_alu instid0(SALU_CYCLE_1) | instskip(SKIP_1) | instid1(VALU_DEP_2)
	v_or_b32_e32 v1, s5, v0
	v_lshl_or_b32 v0, s17, 7, v0
	v_ashrrev_i32_e32 v2, 31, v1
	s_delay_alu instid0(VALU_DEP_1) | instskip(NEXT) | instid1(VALU_DEP_1)
	v_lshlrev_b64 v[1:2], 2, v[1:2]
	v_add_co_u32 v1, vcc_lo, s0, v1
	s_delay_alu instid0(VALU_DEP_2) | instskip(SKIP_1) | instid1(SALU_CYCLE_1)
	v_add_co_ci_u32_e32 v2, vcc_lo, s1, v2, vcc_lo
	s_lshl_b32 s0, s13, 4
	s_add_i32 s0, s17, s0
	global_load_b32 v3, v[1:2], off
	s_ashr_i32 s1, s0, 31
	s_delay_alu instid0(SALU_CYCLE_1) | instskip(NEXT) | instid1(SALU_CYCLE_1)
	s_lshl_b64 s[0:1], s[0:1], 3
	s_add_u32 s0, s2, s0
	s_addc_u32 s1, s3, s1
	s_add_i32 s14, s13, -1
	s_load_b64 s[0:1], s[0:1], 0x0
	v_fmac_f32_e32 v5, 0x4f800000, v4
	s_sub_i32 s6, 0, s20
	s_waitcnt lgkmcnt(0)
	v_mov_b32_e32 v8, s0
	s_delay_alu instid0(VALU_DEP_2) | instskip(SKIP_2) | instid1(VALU_DEP_2)
	v_rcp_f32_e32 v4, v5
	v_cvt_f32_u32_e32 v5, s20
	v_mov_b32_e32 v7, s1
	v_rcp_iflag_f32_e32 v5, v5
	s_waitcnt_depctr 0xfff
	v_mul_f32_e32 v4, 0x5f7ffffc, v4
	s_delay_alu instid0(VALU_DEP_1) | instskip(SKIP_1) | instid1(VALU_DEP_2)
	v_mul_f32_e32 v6, 0x2f800000, v4
	v_mul_f32_e32 v9, 0x4f7ffffe, v5
	v_trunc_f32_e32 v6, v6
	s_delay_alu instid0(VALU_DEP_1) | instskip(SKIP_1) | instid1(VALU_DEP_4)
	v_fmac_f32_e32 v4, 0xcf800000, v6
	v_cvt_u32_f32_e32 v5, v6
	v_cvt_u32_f32_e32 v6, v9
	s_delay_alu instid0(VALU_DEP_3)
	v_cvt_u32_f32_e32 v4, v4
.LBB26_9:                               ; =>This Inner Loop Header: Depth=1
	s_mul_hi_i32 s13, s14, s7
	s_mul_i32 s4, s14, s7
	s_cmp_lg_u64 s[12:13], 0
	s_mov_b32 s5, -1
                                        ; implicit-def: $sgpr0_sgpr1
	s_cbranch_scc0 .LBB26_11
; %bb.10:                               ;   in Loop: Header=BB26_9 Depth=1
	v_readfirstlane_b32 s0, v4
	v_readfirstlane_b32 s1, v5
	s_sub_u32 s5, 0, s20
	s_subb_u32 s15, 0, 0
	s_delay_alu instid0(VALU_DEP_2) | instskip(NEXT) | instid1(VALU_DEP_1)
	s_mul_hi_u32 s21, s5, s0
	s_mul_i32 s22, s5, s1
	s_mul_i32 s23, s15, s0
	s_add_i32 s21, s21, s22
	s_mul_i32 s22, s5, s0
	s_add_i32 s21, s21, s23
	s_mul_hi_u32 s23, s0, s22
	s_mul_i32 s24, s0, s21
	s_mul_hi_u32 s0, s0, s21
	s_add_u32 s23, s23, s24
	s_mul_i32 s25, s1, s22
	s_addc_u32 s0, 0, s0
	s_mul_hi_u32 s22, s1, s22
	s_mul_hi_u32 s24, s1, s21
	s_add_u32 s23, s23, s25
	s_addc_u32 s0, s0, s22
	s_mul_i32 s21, s1, s21
	s_addc_u32 s22, s24, 0
	s_add_u32 s0, s0, s21
	s_addc_u32 s21, 0, s22
	v_add_co_u32 v9, s0, v4, s0
	s_delay_alu instid0(VALU_DEP_1) | instskip(SKIP_1) | instid1(VALU_DEP_1)
	s_cmp_lg_u32 s0, 0
	s_addc_u32 s1, s1, s21
	v_readfirstlane_b32 s0, v9
	s_mul_i32 s21, s5, s1
	s_delay_alu instid0(VALU_DEP_1)
	s_mul_hi_u32 s22, s5, s0
	s_mul_i32 s15, s15, s0
	s_add_i32 s21, s22, s21
	s_mul_i32 s5, s5, s0
	s_add_i32 s21, s21, s15
	s_mul_hi_u32 s15, s1, s5
	s_mul_i32 s23, s1, s5
	s_mul_i32 s24, s0, s21
	s_mul_hi_u32 s5, s0, s5
	s_mul_hi_u32 s0, s0, s21
	s_add_u32 s5, s5, s24
	s_addc_u32 s0, 0, s0
	s_mul_hi_u32 s22, s1, s21
	s_add_u32 s5, s5, s23
	s_addc_u32 s0, s0, s15
	s_mul_i32 s5, s1, s21
	s_addc_u32 s15, s22, 0
	s_add_u32 s0, s0, s5
	s_addc_u32 s5, 0, s15
	v_add_co_u32 v9, s0, v9, s0
	s_delay_alu instid0(VALU_DEP_1) | instskip(SKIP_2) | instid1(SALU_CYCLE_1)
	s_cmp_lg_u32 s0, 0
	s_addc_u32 s5, s1, s5
	s_ashr_i32 s0, s13, 31
	s_add_u32 s22, s4, s0
	s_addc_u32 s23, s13, s0
	v_readfirstlane_b32 s13, v9
	s_mov_b32 s1, s0
	s_delay_alu instid0(SALU_CYCLE_1) | instskip(NEXT) | instid1(SALU_CYCLE_1)
	s_xor_b64 s[22:23], s[22:23], s[0:1]
	s_mul_i32 s15, s22, s5
	s_delay_alu instid0(VALU_DEP_1)
	s_mul_hi_u32 s21, s22, s13
	s_mul_hi_u32 s24, s22, s5
	s_add_u32 s15, s21, s15
	s_mul_i32 s25, s23, s13
	s_addc_u32 s21, 0, s24
	s_mul_hi_u32 s13, s23, s13
	s_mul_hi_u32 s24, s23, s5
	s_add_u32 s15, s15, s25
	s_addc_u32 s13, s21, s13
	s_mul_i32 s5, s23, s5
	s_addc_u32 s15, s24, 0
	s_add_u32 s5, s13, s5
	s_addc_u32 s13, 0, s15
	s_mul_i32 s21, s20, s5
	s_add_u32 s15, s5, 1
	v_sub_co_u32 v9, s21, s22, s21
	s_addc_u32 s22, s13, 0
	s_mul_i32 s25, s20, s13
	s_mul_hi_u32 s27, s20, s5
	s_delay_alu instid0(VALU_DEP_1)
	v_sub_co_u32 v10, s26, v9, s20
	s_add_u32 s24, s5, 2
	s_addc_u32 s28, s13, 0
	s_add_i32 s27, s27, s25
	s_cmp_lg_u32 s21, 0
	v_readfirstlane_b32 s21, v10
	s_subb_u32 s23, s23, s27
	s_cmp_lg_u32 s26, 0
	s_subb_u32 s25, s23, 0
	s_delay_alu instid0(VALU_DEP_1) | instskip(SKIP_4) | instid1(SALU_CYCLE_1)
	s_cmp_ge_u32 s21, s20
	s_cselect_b32 s21, -1, 0
	s_cmp_eq_u32 s25, 0
	v_readfirstlane_b32 s25, v9
	s_cselect_b32 s21, s21, -1
	s_cmp_lg_u32 s21, 0
	s_cselect_b32 s15, s24, s15
	s_cselect_b32 s21, s28, s22
	s_cmp_ge_u32 s25, s20
	s_cselect_b32 s22, -1, 0
	s_cmp_eq_u32 s23, 0
	s_cselect_b32 s22, s22, -1
	s_delay_alu instid0(SALU_CYCLE_1) | instskip(SKIP_4) | instid1(SALU_CYCLE_1)
	s_cmp_lg_u32 s22, 0
	s_cselect_b32 s23, s21, s13
	s_cselect_b32 s22, s15, s5
	s_mov_b32 s5, 0
	s_xor_b64 s[22:23], s[22:23], s[0:1]
	s_sub_u32 s0, s22, s0
.LBB26_11:                              ;   in Loop: Header=BB26_9 Depth=1
	s_and_not1_b32 vcc_lo, exec_lo, s5
	s_cbranch_vccnz .LBB26_13
; %bb.12:                               ;   in Loop: Header=BB26_9 Depth=1
	v_readfirstlane_b32 s0, v6
	s_delay_alu instid0(VALU_DEP_1) | instskip(NEXT) | instid1(SALU_CYCLE_1)
	s_mul_i32 s1, s6, s0
	s_mul_hi_u32 s1, s0, s1
	s_delay_alu instid0(SALU_CYCLE_1) | instskip(NEXT) | instid1(SALU_CYCLE_1)
	s_add_i32 s0, s0, s1
	s_mul_hi_u32 s0, s4, s0
	s_delay_alu instid0(SALU_CYCLE_1) | instskip(NEXT) | instid1(SALU_CYCLE_1)
	s_mul_i32 s1, s0, s20
	s_sub_i32 s1, s4, s1
	s_add_i32 s4, s0, 1
	s_sub_i32 s5, s1, s20
	s_cmp_ge_u32 s1, s20
	s_cselect_b32 s0, s4, s0
	s_cselect_b32 s1, s5, s1
	s_add_i32 s4, s0, 1
	s_cmp_ge_u32 s1, s20
	s_cselect_b32 s0, s4, s0
.LBB26_13:                              ;   in Loop: Header=BB26_9 Depth=1
	s_delay_alu instid0(SALU_CYCLE_1)
	s_cmp_lg_u32 s16, s0
	s_cbranch_scc0 .LBB26_17
; %bb.14:                               ;   in Loop: Header=BB26_9 Depth=1
	s_add_i32 s1, s14, s20
	s_mov_b32 s5, s12
	s_lshl_b32 s1, s1, 4
	s_mov_b32 s15, s16
	s_add_i32 s4, s1, s17
	s_mul_hi_u32 s1, s0, s8
	s_lshl_b64 s[4:5], s[4:5], 3
	s_delay_alu instid0(SALU_CYCLE_1) | instskip(SKIP_2) | instid1(SALU_CYCLE_1)
	s_add_u32 s4, s2, s4
	s_addc_u32 s5, s3, s5
	s_add_i32 s1, s1, s0
	s_lshr_b32 s1, s1, s9
	s_delay_alu instid0(SALU_CYCLE_1) | instskip(NEXT) | instid1(SALU_CYCLE_1)
	s_mul_i32 s13, s1, s10
	s_cmp_eq_u32 s13, s0
	s_cselect_b32 s13, -1, 0
	s_cmp_lt_u32 s1, s11
	s_cselect_b32 s1, -1, 0
	s_delay_alu instid0(SALU_CYCLE_1)
	s_or_b32 s1, s1, s13
	s_mov_b32 s13, -1
	s_and_b32 vcc_lo, exec_lo, s1
	s_mov_b32 s1, s14
	s_cbranch_vccnz .LBB26_16
; %bb.15:                               ;   in Loop: Header=BB26_9 Depth=1
	s_add_i32 s1, s14, -1
	s_mov_b32 s13, 0
	s_mov_b32 s15, s0
.LBB26_16:                              ;   in Loop: Header=BB26_9 Depth=1
	v_lshl_add_u32 v9, s14, 11, v0
	s_load_b64 s[4:5], s[4:5], 0x0
	s_delay_alu instid0(VALU_DEP_1) | instskip(NEXT) | instid1(VALU_DEP_1)
	v_ashrrev_i32_e32 v10, 31, v9
	v_lshlrev_b64 v[9:10], 2, v[9:10]
	s_delay_alu instid0(VALU_DEP_1) | instskip(NEXT) | instid1(VALU_DEP_2)
	v_add_co_u32 v9, vcc_lo, s18, v9
	v_add_co_ci_u32_e32 v10, vcc_lo, s19, v10, vcc_lo
	s_waitcnt lgkmcnt(0)
	v_max_f32_e64 v11, s4, s4
	global_load_b32 v10, v[9:10], off
	v_max_f32_e32 v9, v8, v8
	s_delay_alu instid0(VALU_DEP_1) | instskip(NEXT) | instid1(VALU_DEP_1)
	v_max_f32_e32 v9, v9, v11
	v_sub_f32_e32 v12, v8, v9
	s_delay_alu instid0(VALU_DEP_1) | instskip(NEXT) | instid1(VALU_DEP_1)
	v_dual_mul_f32 v14, 0x3fb8aa3b, v12 :: v_dual_sub_f32 v11, s4, v9
	v_rndne_f32_e32 v18, v14
	s_delay_alu instid0(VALU_DEP_2) | instskip(SKIP_2) | instid1(VALU_DEP_4)
	v_mul_f32_e32 v13, 0x3fb8aa3b, v11
	v_fma_f32 v17, 0x3fb8aa3b, v12, -v14
	v_cmp_ngt_f32_e32 vcc_lo, 0xc2ce8ed0, v11
	v_sub_f32_e32 v14, v14, v18
	s_delay_alu instid0(VALU_DEP_4) | instskip(SKIP_2) | instid1(VALU_DEP_3)
	v_fma_f32 v15, 0x3fb8aa3b, v11, -v13
	v_rndne_f32_e32 v16, v13
	v_fmac_f32_e32 v17, 0x32a5705f, v12
	v_fmac_f32_e32 v15, 0x32a5705f, v11
	s_delay_alu instid0(VALU_DEP_2) | instskip(NEXT) | instid1(VALU_DEP_1)
	v_dual_sub_f32 v13, v13, v16 :: v_dual_add_f32 v14, v14, v17
	v_add_f32_e32 v13, v13, v15
	s_delay_alu instid0(VALU_DEP_2) | instskip(SKIP_2) | instid1(VALU_DEP_3)
	v_exp_f32_e32 v14, v14
	v_cvt_i32_f32_e32 v15, v16
	v_cvt_i32_f32_e32 v16, v18
	v_exp_f32_e32 v13, v13
	s_waitcnt_depctr 0xfff
	v_ldexp_f32 v14, v14, v16
	v_ldexp_f32 v13, v13, v15
	s_delay_alu instid0(VALU_DEP_1) | instskip(SKIP_1) | instid1(VALU_DEP_4)
	v_cndmask_b32_e32 v13, 0, v13, vcc_lo
	v_cmp_ngt_f32_e32 vcc_lo, 0xc2ce8ed0, v12
	v_cndmask_b32_e32 v14, 0, v14, vcc_lo
	v_cmp_nlt_f32_e32 vcc_lo, 0x42b17218, v11
	s_delay_alu instid0(VALU_DEP_4) | instskip(SKIP_1) | instid1(VALU_DEP_4)
	v_cndmask_b32_e32 v13, 0x7f800000, v13, vcc_lo
	v_cmp_nlt_f32_e32 vcc_lo, 0x42b17218, v12
	v_cndmask_b32_e32 v14, 0x7f800000, v14, vcc_lo
	v_cmp_le_f32_e32 vcc_lo, 0xc1a00000, v11
	s_delay_alu instid0(VALU_DEP_4) | instskip(SKIP_1) | instid1(VALU_DEP_4)
	v_cndmask_b32_e32 v11, 0, v13, vcc_lo
	v_cmp_le_f32_e32 vcc_lo, 0xc1a00000, v12
	v_cndmask_b32_e32 v12, 0, v14, vcc_lo
	s_waitcnt vmcnt(0)
	s_delay_alu instid0(VALU_DEP_3) | instskip(NEXT) | instid1(VALU_DEP_1)
	v_mul_f32_e32 v10, v10, v11
	v_dual_mul_f32 v11, s5, v11 :: v_dual_fmac_f32 v10, v3, v12
	s_delay_alu instid0(VALU_DEP_1)
	v_fmac_f32_e32 v11, v7, v12
	s_cbranch_execz .LBB26_18
	s_branch .LBB26_19
.LBB26_17:                              ;   in Loop: Header=BB26_9 Depth=1
                                        ; implicit-def: $sgpr13
                                        ; implicit-def: $vgpr10
                                        ; implicit-def: $vgpr9
                                        ; implicit-def: $vgpr11
                                        ; implicit-def: $sgpr1
                                        ; implicit-def: $sgpr15
.LBB26_18:                              ;   in Loop: Header=BB26_9 Depth=1
	v_mov_b32_e32 v11, v7
	s_waitcnt vmcnt(0)
	v_dual_mov_b32 v9, v8 :: v_dual_mov_b32 v10, v3
	s_add_i32 s1, s14, -1
	s_mov_b32 s13, 0
	s_mov_b32 s15, s16
.LBB26_19:                              ;   in Loop: Header=BB26_9 Depth=1
	s_and_not1_b32 vcc_lo, exec_lo, s13
	s_cbranch_vccz .LBB26_23
; %bb.20:                               ;   in Loop: Header=BB26_9 Depth=1
	v_dual_mov_b32 v7, v11 :: v_dual_mov_b32 v8, v9
	s_waitcnt vmcnt(0)
	v_mov_b32_e32 v3, v10
	s_mov_b32 s16, s15
	s_mov_b32 s14, s1
	s_branch .LBB26_9
.LBB26_21:
                                        ; implicit-def: $sgpr16_sgpr17
	s_load_b128 s[8:11], s[0:1], 0x44
	s_branch .LBB26_2
.LBB26_22:
                                        ; implicit-def: $sgpr18_sgpr19
	s_branch .LBB26_5
.LBB26_23:
	v_div_scale_f32 v0, null, v11, v11, v10
	s_waitcnt vmcnt(0)
	s_delay_alu instid0(VALU_DEP_1) | instskip(SKIP_2) | instid1(VALU_DEP_1)
	v_rcp_f32_e32 v3, v0
	s_waitcnt_depctr 0xfff
	v_fma_f32 v4, -v0, v3, 1.0
	v_fmac_f32_e32 v3, v4, v3
	v_div_scale_f32 v4, vcc_lo, v10, v11, v10
	s_delay_alu instid0(VALU_DEP_1) | instskip(NEXT) | instid1(VALU_DEP_1)
	v_mul_f32_e32 v5, v4, v3
	v_fma_f32 v6, -v0, v5, v4
	s_delay_alu instid0(VALU_DEP_1) | instskip(NEXT) | instid1(VALU_DEP_1)
	v_fmac_f32_e32 v5, v6, v3
	v_fma_f32 v0, -v0, v5, v4
	s_delay_alu instid0(VALU_DEP_1) | instskip(NEXT) | instid1(VALU_DEP_1)
	v_div_fmas_f32 v0, v0, v3, v5
	v_div_fixup_f32 v0, v0, v11, v10
	global_store_b32 v[1:2], v0, off
.LBB26_24:
	s_nop 0
	s_sendmsg sendmsg(MSG_DEALLOC_VGPRS)
	s_endpgm
	.section	.rodata,"a",@progbits
	.p2align	6, 0x0
	.amdhsa_kernel _ZL33flash_attn_stream_k_fixup_generalILi128ELi4ELi4EEvPfPK15HIP_vector_typeIfLj2EEiiiiS1_IjLj3EES5_S5_S5_
		.amdhsa_group_segment_fixed_size 0
		.amdhsa_private_segment_fixed_size 0
		.amdhsa_kernarg_size 336
		.amdhsa_user_sgpr_count 13
		.amdhsa_user_sgpr_dispatch_ptr 0
		.amdhsa_user_sgpr_queue_ptr 0
		.amdhsa_user_sgpr_kernarg_segment_ptr 1
		.amdhsa_user_sgpr_dispatch_id 0
		.amdhsa_user_sgpr_private_segment_size 0
		.amdhsa_wavefront_size32 1
		.amdhsa_uses_dynamic_stack 0
		.amdhsa_enable_private_segment 0
		.amdhsa_system_sgpr_workgroup_id_x 1
		.amdhsa_system_sgpr_workgroup_id_y 1
		.amdhsa_system_sgpr_workgroup_id_z 1
		.amdhsa_system_sgpr_workgroup_info 0
		.amdhsa_system_vgpr_workitem_id 0
		.amdhsa_next_free_vgpr 19
		.amdhsa_next_free_sgpr 32
		.amdhsa_reserve_vcc 1
		.amdhsa_float_round_mode_32 0
		.amdhsa_float_round_mode_16_64 0
		.amdhsa_float_denorm_mode_32 3
		.amdhsa_float_denorm_mode_16_64 3
		.amdhsa_dx10_clamp 1
		.amdhsa_ieee_mode 1
		.amdhsa_fp16_overflow 0
		.amdhsa_workgroup_processor_mode 1
		.amdhsa_memory_ordered 1
		.amdhsa_forward_progress 0
		.amdhsa_shared_vgpr_count 0
		.amdhsa_exception_fp_ieee_invalid_op 0
		.amdhsa_exception_fp_denorm_src 0
		.amdhsa_exception_fp_ieee_div_zero 0
		.amdhsa_exception_fp_ieee_overflow 0
		.amdhsa_exception_fp_ieee_underflow 0
		.amdhsa_exception_fp_ieee_inexact 0
		.amdhsa_exception_int_div_zero 0
	.end_amdhsa_kernel
	.section	.text._ZL33flash_attn_stream_k_fixup_generalILi128ELi4ELi4EEvPfPK15HIP_vector_typeIfLj2EEiiiiS1_IjLj3EES5_S5_S5_,"axG",@progbits,_ZL33flash_attn_stream_k_fixup_generalILi128ELi4ELi4EEvPfPK15HIP_vector_typeIfLj2EEiiiiS1_IjLj3EES5_S5_S5_,comdat
.Lfunc_end26:
	.size	_ZL33flash_attn_stream_k_fixup_generalILi128ELi4ELi4EEvPfPK15HIP_vector_typeIfLj2EEiiiiS1_IjLj3EES5_S5_S5_, .Lfunc_end26-_ZL33flash_attn_stream_k_fixup_generalILi128ELi4ELi4EEvPfPK15HIP_vector_typeIfLj2EEiiiiS1_IjLj3EES5_S5_S5_
                                        ; -- End function
	.section	.AMDGPU.csdata,"",@progbits
; Kernel info:
; codeLenInByte = 3224
; NumSgprs: 34
; NumVgprs: 19
; ScratchSize: 0
; MemoryBound: 0
; FloatMode: 240
; IeeeMode: 1
; LDSByteSize: 0 bytes/workgroup (compile time only)
; SGPRBlocks: 4
; VGPRBlocks: 2
; NumSGPRsForWavesPerEU: 34
; NumVGPRsForWavesPerEU: 19
; Occupancy: 16
; WaveLimiterHint : 0
; COMPUTE_PGM_RSRC2:SCRATCH_EN: 0
; COMPUTE_PGM_RSRC2:USER_SGPR: 13
; COMPUTE_PGM_RSRC2:TRAP_HANDLER: 0
; COMPUTE_PGM_RSRC2:TGID_X_EN: 1
; COMPUTE_PGM_RSRC2:TGID_Y_EN: 1
; COMPUTE_PGM_RSRC2:TGID_Z_EN: 1
; COMPUTE_PGM_RSRC2:TIDIG_COMP_CNT: 0
	.section	.text._ZL15flash_attn_tileILi128ELi128ELi2ELi4ELb0EEvPKcS1_S1_S1_S1_PKiPfP15HIP_vector_typeIfLj2EEffffjfiS5_IjLj3EEiiiiiiiiiiiliiliiiiil,"axG",@progbits,_ZL15flash_attn_tileILi128ELi128ELi2ELi4ELb0EEvPKcS1_S1_S1_S1_PKiPfP15HIP_vector_typeIfLj2EEffffjfiS5_IjLj3EEiiiiiiiiiiiliiliiiiil,comdat
	.globl	_ZL15flash_attn_tileILi128ELi128ELi2ELi4ELb0EEvPKcS1_S1_S1_S1_PKiPfP15HIP_vector_typeIfLj2EEffffjfiS5_IjLj3EEiiiiiiiiiiiliiliiiiil ; -- Begin function _ZL15flash_attn_tileILi128ELi128ELi2ELi4ELb0EEvPKcS1_S1_S1_S1_PKiPfP15HIP_vector_typeIfLj2EEffffjfiS5_IjLj3EEiiiiiiiiiiiliiliiiiil
	.p2align	8
	.type	_ZL15flash_attn_tileILi128ELi128ELi2ELi4ELb0EEvPKcS1_S1_S1_S1_PKiPfP15HIP_vector_typeIfLj2EEffffjfiS5_IjLj3EEiiiiiiiiiiiliiliiiiil,@function
_ZL15flash_attn_tileILi128ELi128ELi2ELi4ELb0EEvPKcS1_S1_S1_S1_PKiPfP15HIP_vector_typeIfLj2EEffffjfiS5_IjLj3EEiiiiiiiiiiiliiliiiiil: ; @_ZL15flash_attn_tileILi128ELi128ELi2ELi4ELb0EEvPKcS1_S1_S1_S1_PKiPfP15HIP_vector_typeIfLj2EEffffjfiS5_IjLj3EEiiiiiiiiiiiliiliiiiil
; %bb.0:
	s_clause 0x1
	s_load_b128 s[36:39], s[0:1], 0x5c
	s_load_b64 s[34:35], s[0:1], 0x80
	s_mov_b64 s[40:41], 0
	s_waitcnt lgkmcnt(0)
	s_ashr_i32 s2, s39, 31
	s_delay_alu instid0(SALU_CYCLE_1) | instskip(NEXT) | instid1(SALU_CYCLE_1)
	s_lshr_b32 s2, s2, 30
	s_add_i32 s2, s39, s2
	s_delay_alu instid0(SALU_CYCLE_1) | instskip(NEXT) | instid1(SALU_CYCLE_1)
	s_ashr_i32 s2, s2, 2
	v_cvt_f32_u32_e32 v1, s2
	s_sub_i32 s4, 0, s2
	s_delay_alu instid0(VALU_DEP_1) | instskip(SKIP_2) | instid1(VALU_DEP_1)
	v_rcp_iflag_f32_e32 v1, v1
	s_waitcnt_depctr 0xfff
	v_mul_f32_e32 v1, 0x4f7ffffe, v1
	v_cvt_u32_f32_e32 v1, v1
	s_delay_alu instid0(VALU_DEP_1) | instskip(NEXT) | instid1(VALU_DEP_1)
	v_readfirstlane_b32 s3, v1
	s_mul_i32 s4, s4, s3
	s_delay_alu instid0(SALU_CYCLE_1) | instskip(NEXT) | instid1(SALU_CYCLE_1)
	s_mul_hi_u32 s4, s3, s4
	s_add_i32 s3, s3, s4
	s_delay_alu instid0(SALU_CYCLE_1) | instskip(NEXT) | instid1(SALU_CYCLE_1)
	s_mul_hi_u32 s3, s15, s3
	s_mul_i32 s4, s3, s2
	s_add_i32 s5, s3, 1
	s_sub_i32 s4, s15, s4
	s_delay_alu instid0(SALU_CYCLE_1)
	s_sub_i32 s6, s4, s2
	s_cmp_ge_u32 s4, s2
	s_cselect_b32 s3, s5, s3
	s_cselect_b32 s4, s6, s4
	s_add_i32 s5, s3, 1
	s_cmp_ge_u32 s4, s2
	s_cselect_b32 s33, s5, s3
	s_abs_i32 s2, s35
	s_abs_i32 s7, s39
	v_cvt_f32_u32_e32 v1, s2
	s_sub_i32 s4, 0, s2
	s_lshl_b32 s5, s15, 2
	s_mul_i32 s6, s33, s39
	s_delay_alu instid0(VALU_DEP_1) | instskip(SKIP_3) | instid1(VALU_DEP_1)
	v_rcp_iflag_f32_e32 v1, v1
	s_sub_i32 s15, s5, s6
	s_waitcnt_depctr 0xfff
	v_mul_f32_e32 v1, 0x4f7ffffe, v1
	v_cvt_u32_f32_e32 v1, v1
	s_delay_alu instid0(VALU_DEP_1) | instskip(NEXT) | instid1(VALU_DEP_1)
	v_readfirstlane_b32 s3, v1
	s_mul_i32 s4, s4, s3
	s_delay_alu instid0(SALU_CYCLE_1) | instskip(NEXT) | instid1(SALU_CYCLE_1)
	s_mul_hi_u32 s4, s3, s4
	s_add_i32 s3, s3, s4
	s_xor_b32 s4, s39, s35
	s_mul_hi_u32 s3, s7, s3
	s_ashr_i32 s4, s4, 31
	s_mul_i32 s5, s3, s2
	s_add_i32 s6, s3, 1
	s_sub_i32 s5, s7, s5
	s_delay_alu instid0(SALU_CYCLE_1)
	s_sub_i32 s7, s5, s2
	s_cmp_ge_u32 s5, s2
	s_cselect_b32 s3, s6, s3
	s_cselect_b32 s5, s7, s5
	s_add_i32 s6, s3, 1
	s_cmp_ge_u32 s5, s2
	s_cselect_b32 s2, s6, s3
	s_delay_alu instid0(SALU_CYCLE_1) | instskip(NEXT) | instid1(SALU_CYCLE_1)
	s_xor_b32 s2, s2, s4
	s_sub_i32 s9, s2, s4
	s_clause 0x1
	s_load_b512 s[16:31], s[0:1], 0x0
	s_load_b64 s[2:3], s[0:1], 0xb8
	s_abs_i32 s8, s9
	s_delay_alu instid0(SALU_CYCLE_1) | instskip(NEXT) | instid1(VALU_DEP_1)
	v_cvt_f32_u32_e32 v1, s8
	v_rcp_iflag_f32_e32 v1, v1
	s_waitcnt_depctr 0xfff
	v_mul_f32_e32 v1, 0x4f7ffffe, v1
	s_waitcnt lgkmcnt(0)
	s_cmp_eq_u64 s[22:23], 0
	s_delay_alu instid0(VALU_DEP_1) | instskip(NEXT) | instid1(VALU_DEP_1)
	v_cvt_u32_f32_e32 v1, v1
	v_readfirstlane_b32 s10, v1
	s_cbranch_scc1 .LBB27_2
; %bb.1:
	s_abs_i32 s2, s2
	s_abs_i32 s6, s33
	v_cvt_f32_u32_e32 v1, s2
	s_sub_i32 s5, 0, s2
	s_delay_alu instid0(VALU_DEP_1) | instskip(SKIP_2) | instid1(VALU_DEP_1)
	v_rcp_iflag_f32_e32 v1, v1
	s_waitcnt_depctr 0xfff
	v_mul_f32_e32 v1, 0x4f7ffffe, v1
	v_cvt_u32_f32_e32 v1, v1
	s_delay_alu instid0(VALU_DEP_1) | instskip(NEXT) | instid1(VALU_DEP_1)
	v_readfirstlane_b32 s4, v1
	s_mul_i32 s5, s5, s4
	s_delay_alu instid0(SALU_CYCLE_1) | instskip(NEXT) | instid1(SALU_CYCLE_1)
	s_mul_hi_u32 s5, s4, s5
	s_add_i32 s7, s4, s5
	s_load_b64 s[4:5], s[0:1], 0xc8
	s_mul_hi_u32 s7, s6, s7
	s_delay_alu instid0(SALU_CYCLE_1) | instskip(NEXT) | instid1(SALU_CYCLE_1)
	s_mul_i32 s7, s7, s2
	s_sub_i32 s6, s6, s7
	s_ashr_i32 s7, s33, 31
	s_sub_i32 s11, s6, s2
	s_cmp_ge_u32 s6, s2
	s_cselect_b32 s6, s11, s6
	s_delay_alu instid0(SALU_CYCLE_1) | instskip(SKIP_2) | instid1(SALU_CYCLE_1)
	s_sub_i32 s11, s6, s2
	s_cmp_ge_u32 s6, s2
	s_cselect_b32 s2, s11, s6
	s_xor_b32 s2, s2, s7
	s_delay_alu instid0(SALU_CYCLE_1)
	s_sub_i32 s2, s2, s7
	s_waitcnt lgkmcnt(0)
	s_mul_i32 s5, s2, s5
	s_mul_hi_u32 s6, s2, s4
	s_ashr_i32 s7, s2, 31
	s_add_i32 s5, s6, s5
	s_mul_i32 s7, s7, s4
	s_mul_i32 s2, s2, s4
	s_add_i32 s5, s5, s7
	s_add_u32 s40, s22, s2
	s_addc_u32 s41, s23, s5
.LBB27_2:
	v_bfe_u32 v1, v0, 10, 10
	s_load_b128 s[4:7], s[0:1], 0x70
	v_and_b32_e32 v17, 0x3ff, v0
	s_delay_alu instid0(VALU_DEP_2) | instskip(SKIP_1) | instid1(VALU_DEP_3)
	v_lshrrev_b32_e32 v2, 1, v1
	v_lshlrev_b32_e32 v3, 1, v1
	v_lshlrev_b32_e32 v0, 4, v17
	s_delay_alu instid0(VALU_DEP_3) | instskip(NEXT) | instid1(VALU_DEP_3)
	v_lshl_add_u32 v16, s13, 1, v2
	v_or_b32_e32 v13, 1, v3
	s_delay_alu instid0(VALU_DEP_2) | instskip(NEXT) | instid1(VALU_DEP_2)
	v_mul_hi_u32 v2, s36, v16
	v_and_b32_e32 v14, 3, v13
	v_lshlrev_b32_e32 v19, 6, v13
	s_waitcnt lgkmcnt(0)
	s_mul_i32 s2, s33, s6
	s_mul_i32 s6, s15, s5
	s_delay_alu instid0(VALU_DEP_3)
	v_add_nc_u32_e32 v2, v16, v2
	s_ashr_i32 s7, s2, 31
	s_add_u32 s2, s16, s2
	s_addc_u32 s7, s17, s7
	s_ashr_i32 s11, s6, 31
	v_lshrrev_b32_e32 v2, s37, v2
	s_add_u32 s2, s2, s6
	s_addc_u32 s6, s7, s11
	s_ashr_i32 s7, s4, 31
	s_delay_alu instid0(SALU_CYCLE_1)
	v_alignbit_b32 v6, s7, s4, 2
	v_mul_lo_u32 v2, v2, s38
	s_ashr_i32 s4, s5, 31
	s_lshr_b32 s7, s7, 2
	v_alignbit_b32 v11, s4, s5, 2
	s_lshr_b32 s11, s4, 2
	s_cmp_eq_u64 s[26:27], 0
	s_delay_alu instid0(VALU_DEP_2) | instskip(NEXT) | instid1(VALU_DEP_1)
	v_sub_nc_u32_e32 v2, v16, v2
	v_mad_u64_u32 v[4:5], null, v6, v2, 0
	s_delay_alu instid0(VALU_DEP_1) | instskip(SKIP_1) | instid1(VALU_DEP_1)
	v_mad_u64_u32 v[6:7], null, s7, v2, v[5:6]
	v_mad_u64_u32 v[7:8], null, v11, v14, 0
	v_dual_mov_b32 v5, v6 :: v_dual_mov_b32 v6, v8
	v_and_b32_e32 v37, 2, v3
	s_delay_alu instid0(VALU_DEP_2) | instskip(NEXT) | instid1(VALU_DEP_2)
	v_lshlrev_b64 v[4:5], 2, v[4:5]
	v_mul_lo_u32 v12, s11, v37
	v_mad_u64_u32 v[9:10], null, v11, v37, 0
	s_delay_alu instid0(VALU_DEP_3) | instskip(NEXT) | instid1(VALU_DEP_4)
	v_add_co_u32 v4, vcc_lo, s2, v4
	v_add_co_ci_u32_e32 v5, vcc_lo, s6, v5, vcc_lo
	s_load_b32 s2, s[0:1], 0x40
	s_delay_alu instid0(VALU_DEP_2) | instskip(NEXT) | instid1(VALU_DEP_4)
	v_add_co_u32 v0, vcc_lo, v4, v0
	v_or_b32_e32 v10, v10, v12
	v_mad_u64_u32 v[11:12], null, s11, v14, v[6:7]
	v_lshlrev_b32_e32 v12, 7, v1
	s_delay_alu instid0(VALU_DEP_3) | instskip(NEXT) | instid1(VALU_DEP_3)
	v_lshlrev_b64 v[9:10], 2, v[9:10]
	v_mov_b32_e32 v8, v11
	v_add_co_ci_u32_e32 v11, vcc_lo, 0, v5, vcc_lo
	s_delay_alu instid0(VALU_DEP_3) | instskip(NEXT) | instid1(VALU_DEP_3)
	v_add_co_u32 v6, vcc_lo, v0, v9
	v_lshlrev_b64 v[4:5], 2, v[7:8]
	s_delay_alu instid0(VALU_DEP_3) | instskip(NEXT) | instid1(VALU_DEP_2)
	v_add_co_ci_u32_e32 v7, vcc_lo, v11, v10, vcc_lo
	v_add_co_u32 v8, vcc_lo, v0, v4
	s_delay_alu instid0(VALU_DEP_3) | instskip(SKIP_4) | instid1(VALU_DEP_1)
	v_add_co_ci_u32_e32 v9, vcc_lo, v11, v5, vcc_lo
	s_clause 0x1
	global_load_b128 v[4:7], v[6:7], off
	global_load_b128 v[8:11], v[8:9], off
	v_lshlrev_b32_e32 v0, 1, v17
	v_add_lshl_u32 v18, v12, v0, 2
	v_add_lshl_u32 v0, v19, v0, 2
	s_waitcnt vmcnt(1) lgkmcnt(0)
	v_fma_mixlo_f16 v13, v6, s2, 0
	v_fma_mixlo_f16 v12, v4, s2, 0
	s_waitcnt vmcnt(0)
	v_fma_mixlo_f16 v15, v10, s2, 0
	v_fma_mixlo_f16 v14, v8, s2, 0
	v_fma_mixhi_f16 v13, v7, s2, 0
	v_fma_mixhi_f16 v12, v5, s2, 0
	s_delay_alu instid0(VALU_DEP_4) | instskip(NEXT) | instid1(VALU_DEP_4)
	v_fma_mixhi_f16 v15, v11, s2, 0
	v_fma_mixhi_f16 v14, v9, s2, 0
	ds_store_b64 v18, v[12:13] offset:9216
	ds_store_b64 v0, v[14:15] offset:9216
	s_waitcnt lgkmcnt(0)
	s_barrier
	buffer_gl0_inv
	s_cbranch_scc1 .LBB27_4
; %bb.3:
	s_load_b32 s2, s[0:1], 0xd0
	s_mov_b32 s5, 0
	s_waitcnt lgkmcnt(0)
	s_mul_i32 s2, s2, s33
	s_delay_alu instid0(SALU_CYCLE_1) | instskip(NEXT) | instid1(SALU_CYCLE_1)
	s_add_i32 s4, s2, s13
	s_lshl_b64 s[4:5], s[4:5], 2
	s_delay_alu instid0(SALU_CYCLE_1)
	s_add_u32 s4, s26, s4
	s_addc_u32 s5, s27, s5
	s_load_b32 s34, s[4:5], 0x0
.LBB27_4:
	v_mbcnt_lo_u32_b32 v39, -1, 0
	s_lshl_b32 s13, s14, 6
	s_waitcnt lgkmcnt(0)
	s_cmp_lt_i32 s13, s34
	s_cbranch_scc1 .LBB27_6
; %bb.5:
	v_mbcnt_lo_u32_b32 v4, -1, 0
	v_mov_b32_e32 v0, 32
	s_mov_b32 s2, 0
	s_mov_b32 s4, 0xfeffffff
	s_delay_alu instid0(VALU_DEP_2)
	v_xor_b32_e32 v44, 16, v4
	v_xor_b32_e32 v43, 8, v4
	;; [unrolled: 1-line block ×5, first 2 shown]
	s_branch .LBB27_7
.LBB27_6:
	s_mov_b32 s2, -1
                                        ; implicit-def: $sgpr4
                                        ; implicit-def: $vgpr4
                                        ; implicit-def: $vgpr0
                                        ; implicit-def: $vgpr44
                                        ; implicit-def: $vgpr43
                                        ; implicit-def: $vgpr42
                                        ; implicit-def: $vgpr41
                                        ; implicit-def: $vgpr40
.LBB27_7:
	s_delay_alu instid0(SALU_CYCLE_1) | instskip(SKIP_2) | instid1(VALU_DEP_3)
	v_cndmask_b32_e64 v5, 0, 1, s2
	v_dual_mov_b32 v36, s4 :: v_dual_mov_b32 v35, s4
	v_dual_mov_b32 v68, s2 :: v_dual_mov_b32 v45, s2
	v_cmp_ne_u32_e32 vcc_lo, 1, v5
	v_dual_mov_b32 v66, s2 :: v_dual_mov_b32 v67, s2
	v_dual_mov_b32 v65, s2 :: v_dual_lshlrev_b32 v38, 2, v17
	v_mov_b32_e32 v64, s2
	s_cbranch_vccnz .LBB27_11
; %bb.8:
	s_clause 0x1
	s_load_b128 s[4:7], s[0:1], 0x98
	s_load_b64 s[16:17], s[0:1], 0x8c
	s_sub_i32 s2, 0, s8
	s_abs_i32 s11, s15
	s_mul_i32 s2, s2, s10
	s_ashr_i32 s12, s15, 31
	s_mul_hi_u32 s2, s10, s2
	s_ashr_i32 s9, s9, 31
	s_add_i32 s10, s10, s2
	s_ashr_i32 s2, s3, 1
	s_mul_hi_u32 s3, s11, s10
	s_ashr_i32 s10, s33, 31
	s_load_b64 s[26:27], s[0:1], 0xa8
	s_mul_i32 s35, s3, s8
	v_lshrrev_b32_e32 v0, 3, v17
	v_dual_mov_b32 v64, 0 :: v_dual_and_b32 v21, 28, v38
	v_lshrrev_b32_e32 v7, 4, v17
	v_mov_b32_e32 v66, 0
	s_delay_alu instid0(VALU_DEP_4)
	v_lshl_add_u32 v0, v1, 2, v0
	s_waitcnt lgkmcnt(0)
	s_ashr_i32 s22, s6, 2
	s_mul_i32 s5, s33, s5
	s_mul_hi_u32 s6, s33, s4
	s_ashr_i32 s23, s16, 2
	s_mul_i32 s16, s10, s4
	s_add_i32 s5, s6, s5
	s_mul_i32 s4, s33, s4
	s_add_i32 s5, s5, s16
	s_add_u32 s4, s18, s4
	s_addc_u32 s5, s19, s5
	s_xor_b32 s6, s12, s9
	s_sub_i32 s9, s11, s35
	s_add_i32 s11, s3, 1
	s_sub_i32 s12, s9, s8
	s_cmp_ge_u32 s9, s8
	s_mul_i32 s10, s10, s26
	s_cselect_b32 s3, s11, s3
	s_cselect_b32 s9, s12, s9
	s_add_i32 s11, s3, 1
	s_cmp_ge_u32 s9, s8
	s_mul_i32 s8, s33, s27
	s_cselect_b32 s3, s11, s3
	v_mul_lo_u32 v4, s23, v0
	s_xor_b32 s3, s3, s6
	v_lshlrev_b32_e32 v5, 2, v21
	s_sub_i32 s3, s3, s6
	s_mul_hi_u32 s6, s33, s26
	s_mul_i32 s9, s3, s17
	s_mul_i32 s3, s3, s7
	s_ashr_i32 s11, s9, 31
	s_add_u32 s18, s4, s9
	s_addc_u32 s19, s5, s11
	s_add_i32 s4, s6, s8
	s_mul_i32 s5, s33, s26
	s_add_i32 s4, s4, s10
	s_add_u32 s5, s20, s5
	s_addc_u32 s4, s21, s4
	s_ashr_i32 s6, s3, 31
	s_add_u32 s20, s5, s3
	s_addc_u32 s21, s4, s6
	s_lshl_b32 s3, s23, 4
	v_dual_mov_b32 v36, 0xfeffffff :: v_dual_add_nc_u32 v3, v7, v3
	v_dual_mov_b32 v35, 0xfeffffff :: v_dual_add_nc_u32 v6, s3, v4
	v_mad_u32_u24 v46, 0x90, v0, v5
	s_delay_alu instid0(VALU_DEP_3) | instskip(NEXT) | instid1(VALU_DEP_3)
	v_mul_lo_u32 v0, s22, v3
	v_dual_mov_b32 v65, 0 :: v_dual_add_nc_u32 v8, s3, v6
	v_and_b32_e32 v29, 60, v38
	v_mad_u64_u32 v[18:19], null, v2, s2, v[17:18]
	v_ashrrev_i32_e32 v5, 31, v4
	s_delay_alu instid0(VALU_DEP_4)
	v_dual_mov_b32 v45, 0 :: v_dual_add_nc_u32 v10, s3, v8
	s_lshl_b32 s3, s22, 3
	v_lshlrev_b32_e32 v13, 2, v29
	v_add_nc_u32_e32 v12, s3, v0
	v_ashrrev_i32_e32 v7, 31, v6
	v_ashrrev_i32_e32 v9, 31, v8
	;; [unrolled: 1-line block ×3, first 2 shown]
	v_lshl_add_u32 v51, v1, 9, 0x2400
	v_add_nc_u32_e32 v14, s3, v12
	v_lshl_or_b32 v52, v3, 8, v13
	v_lshl_add_u32 v53, v1, 8, 0x2c00
	v_ashrrev_i32_e32 v1, 31, v0
	v_ashrrev_i32_e32 v13, 31, v12
	v_add_nc_u32_e32 v2, s3, v14
	v_ashrrev_i32_e32 v15, 31, v14
	v_lshlrev_b32_e32 v57, 3, v17
	v_lshlrev_b64 v[19:20], 2, v[4:5]
	v_lshlrev_b32_e32 v58, 2, v21
	v_ashrrev_i32_e32 v3, 31, v2
	v_lshlrev_b64 v[21:22], 2, v[6:7]
	v_lshlrev_b64 v[23:24], 2, v[8:9]
	;; [unrolled: 1-line block ×4, first 2 shown]
	v_lshlrev_b32_e32 v60, 2, v29
	v_lshlrev_b64 v[29:30], 2, v[12:13]
	v_lshlrev_b64 v[31:32], 2, v[14:15]
	;; [unrolled: 1-line block ×3, first 2 shown]
	v_dual_mov_b32 v68, 0 :: v_dual_add_nc_u32 v47, 0x900, v46
	v_dual_mov_b32 v67, 0 :: v_dual_add_nc_u32 v48, 0x1200, v46
	v_add_nc_u32_e32 v49, 0x1b00, v46
	v_mul_u32_u24_e32 v50, 0x90, v17
	v_add_nc_u32_e32 v54, 0x800, v52
	v_add_nc_u32_e32 v55, 0x1000, v52
	;; [unrolled: 1-line block ×3, first 2 shown]
	v_xor_b32_e32 v44, 16, v39
	v_xor_b32_e32 v43, 8, v39
	;; [unrolled: 1-line block ×5, first 2 shown]
	v_add_nc_u32_e32 v59, v53, v38
	v_add_nc_u32_e32 v61, 0x800, v57
	v_add_nc_u32_e32 v62, 0x1000, v57
	v_add_nc_u32_e32 v63, 0x1800, v57
	s_add_u32 s16, s0, 0xd0
	s_addc_u32 s17, s1, 0
.LBB27_9:                               ; =>This Inner Loop Header: Depth=1
	s_mul_hi_i32 s3, s13, s23
	s_mul_i32 s2, s13, s23
	v_dual_mov_b32 v69, 0 :: v_dual_mov_b32 v70, 0
	s_lshl_b64 s[2:3], s[2:3], 2
	v_dual_mov_b32 v71, 0 :: v_dual_mov_b32 v72, 0
	s_add_u32 s4, s18, s2
	s_addc_u32 s5, s19, s3
	v_add_co_u32 v0, vcc_lo, s4, v21
	v_add_co_u32 v1, s2, s4, v23
	v_add_co_u32 v2, s3, s4, v25
	;; [unrolled: 1-line block ×3, first 2 shown]
	s_delay_alu instid0(VALU_DEP_1)
	v_add_co_ci_u32_e64 v5, s4, s5, v20, s4
	v_add_co_ci_u32_e32 v6, vcc_lo, s5, v22, vcc_lo
	v_add_co_ci_u32_e64 v7, vcc_lo, s5, v24, s2
	v_add_co_ci_u32_e64 v10, vcc_lo, s5, v26, s3
	v_add_co_u32 v4, vcc_lo, v0, v58
	v_add_co_u32 v0, s4, v3, v58
	v_add_co_u32 v8, s2, v1, v58
	v_add_co_ci_u32_e64 v1, s4, 0, v5, s4
	v_add_co_u32 v12, s3, v2, v58
	v_add_co_ci_u32_e32 v5, vcc_lo, 0, v6, vcc_lo
	v_add_co_ci_u32_e64 v9, vcc_lo, 0, v7, s2
	v_add_co_ci_u32_e64 v13, vcc_lo, 0, v10, s3
	s_clause 0x3
	global_load_b128 v[73:76], v[0:1], off
	global_load_b128 v[77:80], v[4:5], off
	;; [unrolled: 1-line block ×4, first 2 shown]
	v_cmp_gt_i32_e64 s3, 32, v42
	v_cmp_gt_i32_e64 s4, 32, v41
	;; [unrolled: 1-line block ×4, first 2 shown]
	s_mul_hi_i32 s7, s13, s22
	s_mul_i32 s6, s13, s22
	s_waitcnt vmcnt(3)
	ds_store_b128 v46, v[73:76]
	s_waitcnt vmcnt(2)
	ds_store_b128 v47, v[77:80]
	s_waitcnt vmcnt(1)
	ds_store_b128 v48, v[81:84]
	s_waitcnt vmcnt(0)
	ds_store_b128 v49, v[85:88]
	s_waitcnt lgkmcnt(0)
	s_barrier
	buffer_gl0_inv
	ds_load_b128 v[73:76], v50
	ds_load_b128 v[77:80], v51
	ds_load_b128 v[81:84], v51 offset:256
	ds_load_b128 v[85:88], v50 offset:4608
	s_waitcnt lgkmcnt(2)
	;;#ASMSTART
	v_dot2_f32_f16 v69, v73, v77, v69
	;;#ASMEND
	;;#ASMSTART
	v_dot2_f32_f16 v69, v74, v78, v69
	;;#ASMEND
	;;#ASMSTART
	v_dot2_f32_f16 v69, v75, v79, v69
	;;#ASMEND
	;;#ASMSTART
	v_dot2_f32_f16 v69, v76, v80, v69
	;;#ASMEND
	s_waitcnt lgkmcnt(1)
	;;#ASMSTART
	v_dot2_f32_f16 v70, v73, v81, v70
	;;#ASMEND
	;;#ASMSTART
	v_dot2_f32_f16 v70, v74, v82, v70
	;;#ASMEND
	;;#ASMSTART
	v_dot2_f32_f16 v70, v75, v83, v70
	;;#ASMEND
	;;#ASMSTART
	v_dot2_f32_f16 v70, v76, v84, v70
	;;#ASMEND
	s_waitcnt lgkmcnt(0)
	;;#ASMSTART
	v_dot2_f32_f16 v71, v85, v77, v71
	;;#ASMEND
	;;#ASMSTART
	v_dot2_f32_f16 v71, v86, v78, v71
	;;#ASMEND
	;;#ASMSTART
	v_dot2_f32_f16 v71, v87, v79, v71
	;;#ASMEND
	;;#ASMSTART
	v_dot2_f32_f16 v71, v88, v80, v71
	;;#ASMEND
	;;#ASMSTART
	v_dot2_f32_f16 v72, v85, v81, v72
	;;#ASMEND
	;;#ASMSTART
	v_dot2_f32_f16 v72, v86, v82, v72
	;;#ASMEND
	;;#ASMSTART
	v_dot2_f32_f16 v72, v87, v83, v72
	;;#ASMEND
	;;#ASMSTART
	v_dot2_f32_f16 v72, v88, v84, v72
	;;#ASMEND
	ds_load_b128 v[73:76], v50 offset:16
	ds_load_b128 v[77:80], v51 offset:16
	ds_load_b128 v[81:84], v51 offset:272
	ds_load_b128 v[85:88], v50 offset:4624
	s_waitcnt lgkmcnt(2)
	;;#ASMSTART
	v_dot2_f32_f16 v69, v73, v77, v69
	;;#ASMEND
	;;#ASMSTART
	v_dot2_f32_f16 v69, v74, v78, v69
	;;#ASMEND
	;;#ASMSTART
	v_dot2_f32_f16 v69, v75, v79, v69
	;;#ASMEND
	;;#ASMSTART
	v_dot2_f32_f16 v69, v76, v80, v69
	;;#ASMEND
	s_waitcnt lgkmcnt(1)
	;;#ASMSTART
	v_dot2_f32_f16 v70, v73, v81, v70
	;;#ASMEND
	;;#ASMSTART
	v_dot2_f32_f16 v70, v74, v82, v70
	;;#ASMEND
	;;#ASMSTART
	v_dot2_f32_f16 v70, v75, v83, v70
	;;#ASMEND
	;;#ASMSTART
	v_dot2_f32_f16 v70, v76, v84, v70
	;;#ASMEND
	s_waitcnt lgkmcnt(0)
	;;#ASMSTART
	v_dot2_f32_f16 v71, v85, v77, v71
	;;#ASMEND
	;;#ASMSTART
	v_dot2_f32_f16 v71, v86, v78, v71
	;;#ASMEND
	;;#ASMSTART
	v_dot2_f32_f16 v71, v87, v79, v71
	;;#ASMEND
	;;#ASMSTART
	v_dot2_f32_f16 v71, v88, v80, v71
	;;#ASMEND
	;;#ASMSTART
	v_dot2_f32_f16 v72, v85, v81, v72
	;;#ASMEND
	;;#ASMSTART
	v_dot2_f32_f16 v72, v86, v82, v72
	;;#ASMEND
	;;#ASMSTART
	v_dot2_f32_f16 v72, v87, v83, v72
	;;#ASMEND
	;;#ASMSTART
	v_dot2_f32_f16 v72, v88, v84, v72
	;;#ASMEND
	ds_load_b128 v[73:76], v50 offset:32
	ds_load_b128 v[77:80], v51 offset:32
	;; [unrolled: 55-line block ×7, first 2 shown]
	ds_load_b128 v[81:84], v51 offset:368
	ds_load_b128 v[85:88], v50 offset:4720
	s_waitcnt lgkmcnt(2)
	;;#ASMSTART
	v_dot2_f32_f16 v69, v73, v77, v69
	;;#ASMEND
	;;#ASMSTART
	v_dot2_f32_f16 v69, v74, v78, v69
	;;#ASMEND
	;;#ASMSTART
	v_dot2_f32_f16 v69, v75, v79, v69
	;;#ASMEND
	;;#ASMSTART
	v_dot2_f32_f16 v69, v76, v80, v69
	;;#ASMEND
	s_waitcnt lgkmcnt(1)
	;;#ASMSTART
	v_dot2_f32_f16 v70, v73, v81, v70
	;;#ASMEND
	;;#ASMSTART
	v_dot2_f32_f16 v70, v74, v82, v70
	;;#ASMEND
	;;#ASMSTART
	v_dot2_f32_f16 v70, v75, v83, v70
	;;#ASMEND
	;;#ASMSTART
	v_dot2_f32_f16 v70, v76, v84, v70
	;;#ASMEND
	;; [unrolled: 13-line block ×3, first 2 shown]
	;;#ASMSTART
	v_dot2_f32_f16 v72, v85, v81, v72
	;;#ASMEND
	;;#ASMSTART
	v_dot2_f32_f16 v72, v86, v82, v72
	;;#ASMEND
	;; [unrolled: 3-line block ×4, first 2 shown]
	s_barrier
	buffer_gl0_inv
	s_clause 0x3
	global_load_b128 v[0:3], v[0:1], off offset:128
	global_load_b128 v[4:7], v[4:5], off offset:128
	;; [unrolled: 1-line block ×4, first 2 shown]
	v_add_nc_u32_e32 v73, s13, v18
	s_waitcnt vmcnt(3)
	ds_store_b128 v46, v[0:3]
	s_waitcnt vmcnt(2)
	ds_store_b128 v47, v[4:7]
	;; [unrolled: 2-line block ×4, first 2 shown]
	s_waitcnt lgkmcnt(0)
	s_barrier
	buffer_gl0_inv
	ds_load_b128 v[0:3], v50
	ds_load_b128 v[4:7], v51 offset:128
	ds_load_b128 v[8:11], v51 offset:384
	ds_load_b128 v[12:15], v50 offset:4608
	s_waitcnt lgkmcnt(2)
	;;#ASMSTART
	v_dot2_f32_f16 v69, v0, v4, v69
	;;#ASMEND
	;;#ASMSTART
	v_dot2_f32_f16 v69, v1, v5, v69
	;;#ASMEND
	;;#ASMSTART
	v_dot2_f32_f16 v69, v2, v6, v69
	;;#ASMEND
	;;#ASMSTART
	v_dot2_f32_f16 v69, v3, v7, v69
	;;#ASMEND
	s_waitcnt lgkmcnt(1)
	;;#ASMSTART
	v_dot2_f32_f16 v70, v0, v8, v70
	;;#ASMEND
	;;#ASMSTART
	v_dot2_f32_f16 v70, v1, v9, v70
	;;#ASMEND
	;;#ASMSTART
	v_dot2_f32_f16 v70, v2, v10, v70
	;;#ASMEND
	;;#ASMSTART
	v_dot2_f32_f16 v70, v3, v11, v70
	;;#ASMEND
	s_waitcnt lgkmcnt(0)
	;;#ASMSTART
	v_dot2_f32_f16 v71, v12, v4, v71
	;;#ASMEND
	;;#ASMSTART
	v_dot2_f32_f16 v71, v13, v5, v71
	;;#ASMEND
	;;#ASMSTART
	v_dot2_f32_f16 v71, v14, v6, v71
	;;#ASMEND
	;;#ASMSTART
	v_dot2_f32_f16 v71, v15, v7, v71
	;;#ASMEND
	;;#ASMSTART
	v_dot2_f32_f16 v72, v12, v8, v72
	;;#ASMEND
	;;#ASMSTART
	v_dot2_f32_f16 v72, v13, v9, v72
	;;#ASMEND
	;;#ASMSTART
	v_dot2_f32_f16 v72, v14, v10, v72
	;;#ASMEND
	;;#ASMSTART
	v_dot2_f32_f16 v72, v15, v11, v72
	;;#ASMEND
	ds_load_b128 v[0:3], v50 offset:16
	ds_load_b128 v[4:7], v51 offset:144
	ds_load_b128 v[8:11], v51 offset:400
	ds_load_b128 v[12:15], v50 offset:4624
	s_waitcnt lgkmcnt(2)
	;;#ASMSTART
	v_dot2_f32_f16 v69, v0, v4, v69
	;;#ASMEND
	;;#ASMSTART
	v_dot2_f32_f16 v69, v1, v5, v69
	;;#ASMEND
	;;#ASMSTART
	v_dot2_f32_f16 v69, v2, v6, v69
	;;#ASMEND
	;;#ASMSTART
	v_dot2_f32_f16 v69, v3, v7, v69
	;;#ASMEND
	s_waitcnt lgkmcnt(1)
	;;#ASMSTART
	v_dot2_f32_f16 v70, v0, v8, v70
	;;#ASMEND
	;;#ASMSTART
	v_dot2_f32_f16 v70, v1, v9, v70
	;;#ASMEND
	;;#ASMSTART
	v_dot2_f32_f16 v70, v2, v10, v70
	;;#ASMEND
	;;#ASMSTART
	v_dot2_f32_f16 v70, v3, v11, v70
	;;#ASMEND
	s_waitcnt lgkmcnt(0)
	;;#ASMSTART
	v_dot2_f32_f16 v71, v12, v4, v71
	;;#ASMEND
	;;#ASMSTART
	v_dot2_f32_f16 v71, v13, v5, v71
	;;#ASMEND
	;;#ASMSTART
	v_dot2_f32_f16 v71, v14, v6, v71
	;;#ASMEND
	;;#ASMSTART
	v_dot2_f32_f16 v71, v15, v7, v71
	;;#ASMEND
	;;#ASMSTART
	v_dot2_f32_f16 v72, v12, v8, v72
	;;#ASMEND
	;;#ASMSTART
	v_dot2_f32_f16 v72, v13, v9, v72
	;;#ASMEND
	;;#ASMSTART
	v_dot2_f32_f16 v72, v14, v10, v72
	;;#ASMEND
	;;#ASMSTART
	v_dot2_f32_f16 v72, v15, v11, v72
	;;#ASMEND
	ds_load_b128 v[0:3], v50 offset:32
	;; [unrolled: 55-line block ×7, first 2 shown]
	ds_load_b128 v[4:7], v51 offset:240
	ds_load_b128 v[8:11], v51 offset:496
	;; [unrolled: 1-line block ×3, first 2 shown]
	s_waitcnt lgkmcnt(2)
	;;#ASMSTART
	v_dot2_f32_f16 v69, v0, v4, v69
	;;#ASMEND
	;;#ASMSTART
	v_dot2_f32_f16 v69, v1, v5, v69
	;;#ASMEND
	;; [unrolled: 3-line block ×4, first 2 shown]
	s_waitcnt lgkmcnt(1)
	;;#ASMSTART
	v_dot2_f32_f16 v70, v0, v8, v70
	;;#ASMEND
	v_mov_b32_e32 v0, v36
	v_ashrrev_i32_e32 v74, 31, v73
	;;#ASMSTART
	v_dot2_f32_f16 v70, v1, v9, v70
	;;#ASMEND
	;;#ASMSTART
	v_dot2_f32_f16 v70, v2, v10, v70
	;;#ASMEND
	;; [unrolled: 3-line block ×3, first 2 shown]
	s_waitcnt lgkmcnt(0)
	;;#ASMSTART
	v_dot2_f32_f16 v71, v12, v4, v71
	;;#ASMEND
	v_lshlrev_b64 v[73:74], 1, v[73:74]
	;;#ASMSTART
	v_dot2_f32_f16 v71, v13, v5, v71
	;;#ASMEND
	;;#ASMSTART
	v_dot2_f32_f16 v71, v14, v6, v71
	;;#ASMEND
	;; [unrolled: 3-line block ×5, first 2 shown]
	v_add_co_u32 v73, vcc_lo, s40, v73
	v_add_co_ci_u32_e32 v74, vcc_lo, s41, v74, vcc_lo
	;;#ASMSTART
	v_dot2_f32_f16 v72, v14, v10, v72
	;;#ASMEND
	;;#ASMSTART
	v_dot2_f32_f16 v72, v15, v11, v72
	;;#ASMEND
	s_clause 0x1
	flat_load_u16 v2, v[73:74]
	flat_load_u16 v3, v[73:74] offset:64
	v_cmp_gt_i32_e32 vcc_lo, 32, v44
	v_cndmask_b32_e64 v6, v39, v42, s3
	v_cndmask_b32_e64 v7, v39, v41, s4
	;; [unrolled: 1-line block ×3, first 2 shown]
	s_lshl_b64 s[2:3], s[6:7], 2
	s_delay_alu instid0(VALU_DEP_3)
	v_dual_cndmask_b32 v4, v39, v44 :: v_dual_lshlrev_b32 v79, 2, v6
	s_add_u32 s4, s20, s2
	v_cndmask_b32_e64 v8, v39, v40, s5
	s_addc_u32 s5, s21, s3
	s_or_b32 s6, s13, 32
	v_add_co_u32 v9, vcc_lo, s4, v29
	v_add_co_u32 v10, s2, s4, v31
	v_add_co_u32 v11, s3, s4, v33
	;; [unrolled: 1-line block ×3, first 2 shown]
	s_mul_hi_i32 s7, s6, s22
	s_mul_i32 s6, s6, s22
	v_dual_mov_b32 v1, v35 :: v_dual_lshlrev_b32 v78, 2, v5
	v_add_co_ci_u32_e64 v5, s4, s5, v28, s4
	v_add_co_ci_u32_e32 v6, vcc_lo, s5, v30, vcc_lo
	v_add_co_ci_u32_e64 v14, vcc_lo, s5, v34, s3
	v_add_co_u32 v35, s3, v11, v60
	s_waitcnt vmcnt(0) lgkmcnt(0)
	s_barrier
	buffer_gl0_inv
	v_cvt_f32_f16_e32 v2, v2
	v_lshlrev_b32_e32 v77, 2, v4
	v_lshlrev_b32_e32 v80, 2, v7
	v_cvt_f32_f16_e32 v3, v3
	v_add_co_ci_u32_e64 v7, vcc_lo, s5, v32, s2
	v_add_f32_e32 v69, v69, v2
	v_add_f32_e32 v2, v70, v2
	s_lshl_b64 s[4:5], s[6:7], 2
	v_add_co_u32 v12, s2, v10, v60
	s_add_u32 s6, s20, s4
	v_add_co_u32 v4, s4, v13, v60
	v_dual_add_f32 v71, v71, v3 :: v_dual_add_f32 v70, 0x40051340, v2
	v_lshlrev_b32_e32 v81, 2, v8
	v_add_co_u32 v8, vcc_lo, v9, v60
	v_add_co_ci_u32_e64 v5, s4, 0, v5, s4
	v_add_co_ci_u32_e32 v9, vcc_lo, 0, v6, vcc_lo
	v_add_co_ci_u32_e64 v13, vcc_lo, 0, v7, s2
	v_add_co_ci_u32_e64 v36, vcc_lo, 0, v14, s3
	s_addc_u32 s5, s21, s5
	v_add_co_u32 v6, vcc_lo, s6, v29
	v_add_co_u32 v7, s2, s6, v31
	v_add_co_u32 v10, s3, s6, v33
	;; [unrolled: 1-line block ×3, first 2 shown]
	s_delay_alu instid0(VALU_DEP_1)
	v_add_co_ci_u32_e64 v14, s4, s5, v28, s4
	v_add_co_ci_u32_e32 v15, vcc_lo, s5, v30, vcc_lo
	v_add_co_ci_u32_e64 v73, vcc_lo, s5, v32, s2
	v_add_co_ci_u32_e64 v74, vcc_lo, s5, v34, s3
	v_add_co_u32 v125, vcc_lo, v6, v60
	v_add_co_u32 v127, s2, v7, v60
	v_add_co_u32 v129, s3, v10, v60
	;; [unrolled: 1-line block ×3, first 2 shown]
	s_delay_alu instid0(VALU_DEP_1)
	v_add_co_ci_u32_e64 v132, s4, 0, v14, s4
	v_add_co_ci_u32_e32 v126, vcc_lo, 0, v15, vcc_lo
	v_add_co_ci_u32_e64 v128, vcc_lo, 0, v73, s2
	v_add_co_ci_u32_e64 v130, vcc_lo, 0, v74, s3
	s_clause 0x3
	global_load_b128 v[4:7], v[4:5], off
	global_load_b128 v[8:11], v[8:9], off
	;; [unrolled: 1-line block ×4, first 2 shown]
	v_add_f32_e32 v36, 0x40051340, v71
	v_add_f32_e32 v3, v72, v3
	s_delay_alu instid0(VALU_DEP_1) | instskip(NEXT) | instid1(VALU_DEP_1)
	v_dual_add_f32 v35, 0x40051340, v69 :: v_dual_add_f32 v72, 0x40051340, v3
	v_max3_f32 v35, v1, v35, v36
	s_delay_alu instid0(VALU_DEP_2)
	v_max3_f32 v36, v0, v70, v72
	ds_bpermute_b32 v70, v77, v35
	ds_bpermute_b32 v72, v77, v36
	s_waitcnt lgkmcnt(1)
	v_max_f32_e32 v70, v70, v70
	s_waitcnt lgkmcnt(0)
	s_delay_alu instid0(VALU_DEP_1) | instskip(SKIP_3) | instid1(VALU_DEP_1)
	v_dual_max_f32 v72, v72, v72 :: v_dual_max_f32 v35, v35, v70
	ds_bpermute_b32 v70, v78, v35
	s_waitcnt lgkmcnt(0)
	v_max_f32_e32 v70, v70, v70
	v_dual_max_f32 v36, v36, v72 :: v_dual_max_f32 v35, v35, v70
	ds_bpermute_b32 v72, v78, v36
	ds_bpermute_b32 v70, v79, v35
	s_waitcnt lgkmcnt(0)
	v_max_f32_e32 v70, v70, v70
	s_delay_alu instid0(VALU_DEP_1) | instskip(SKIP_3) | instid1(VALU_DEP_1)
	v_dual_max_f32 v72, v72, v72 :: v_dual_max_f32 v35, v35, v70
	ds_bpermute_b32 v70, v80, v35
	s_waitcnt lgkmcnt(0)
	v_max_f32_e32 v70, v70, v70
	v_dual_max_f32 v36, v36, v72 :: v_dual_max_f32 v35, v35, v70
	ds_bpermute_b32 v72, v79, v36
	ds_bpermute_b32 v70, v81, v35
	s_waitcnt lgkmcnt(0)
	v_max_f32_e32 v70, v70, v70
	s_delay_alu instid0(VALU_DEP_1) | instskip(NEXT) | instid1(VALU_DEP_1)
	v_dual_max_f32 v72, v72, v72 :: v_dual_max_f32 v35, v35, v70
	v_sub_f32_e32 v70, v71, v35
	s_delay_alu instid0(VALU_DEP_2) | instskip(SKIP_1) | instid1(VALU_DEP_3)
	v_dual_max_f32 v36, v36, v72 :: v_dual_sub_f32 v69, v69, v35
	v_sub_f32_e32 v1, v1, v35
	v_mul_f32_e32 v71, 0x3fb8aa3b, v70
	ds_bpermute_b32 v72, v80, v36
	v_mul_f32_e32 v77, 0x3fb8aa3b, v69
	v_cmp_ngt_f32_e64 s2, 0xc2ce8ed0, v69
	v_cmp_nlt_f32_e64 s8, 0x42b17218, v69
	v_mul_f32_e32 v78, 0x3fb8aa3b, v1
	v_cmp_ngt_f32_e64 s3, 0xc2ce8ed0, v1
	v_fma_f32 v85, 0x3fb8aa3b, v69, -v77
	v_rndne_f32_e32 v86, v77
	v_cmp_nlt_f32_e64 s9, 0x42b17218, v1
	v_fma_f32 v87, 0x3fb8aa3b, v1, -v78
	v_rndne_f32_e32 v88, v78
	v_fmac_f32_e32 v85, 0x32a5705f, v69
	v_sub_f32_e32 v69, v77, v86
	v_rndne_f32_e32 v82, v71
	v_fmac_f32_e32 v87, 0x32a5705f, v1
	v_sub_f32_e32 v1, v78, v88
	v_cmp_ngt_f32_e64 s6, 0xc2ce8ed0, v70
	v_cmp_nlt_f32_e64 s12, 0x42b17218, v70
	v_add_f32_e32 v69, v69, v85
	v_cvt_i32_f32_e32 v77, v86
	s_waitcnt lgkmcnt(0)
	v_dual_max_f32 v72, v72, v72 :: v_dual_add_f32 v1, v1, v87
	v_cvt_i32_f32_e32 v78, v88
	v_exp_f32_e32 v69, v69
	s_delay_alu instid0(VALU_DEP_2) | instskip(NEXT) | instid1(VALU_DEP_3)
	v_max_f32_e32 v36, v36, v72
	v_exp_f32_e32 v1, v1
	ds_bpermute_b32 v72, v81, v36
	v_fma_f32 v81, 0x3fb8aa3b, v70, -v71
	v_ldexp_f32 v69, v69, v77
	s_delay_alu instid0(VALU_DEP_2) | instskip(SKIP_1) | instid1(VALU_DEP_3)
	v_fmac_f32_e32 v81, 0x32a5705f, v70
	v_ldexp_f32 v1, v1, v78
	v_cndmask_b32_e64 v69, 0, v69, s2
	s_delay_alu instid0(VALU_DEP_2) | instskip(NEXT) | instid1(VALU_DEP_2)
	v_cndmask_b32_e64 v1, 0, v1, s3
	v_cndmask_b32_e64 v134, 0x7f800000, v69, s8
	s_delay_alu instid0(VALU_DEP_2) | instskip(SKIP_2) | instid1(VALU_DEP_2)
	v_cndmask_b32_e64 v136, 0x7f800000, v1, s9
	s_waitcnt lgkmcnt(0)
	v_max_f32_e32 v72, v72, v72
	v_cvt_f16_f32_e64 v121, v136
	s_delay_alu instid0(VALU_DEP_2) | instskip(NEXT) | instid1(VALU_DEP_1)
	v_max_f32_e32 v36, v36, v72
	v_sub_f32_e32 v2, v2, v36
	s_delay_alu instid0(VALU_DEP_1) | instskip(SKIP_2) | instid1(VALU_DEP_3)
	v_mul_f32_e32 v72, 0x3fb8aa3b, v2
	v_cmp_ngt_f32_e32 vcc_lo, 0xc2ce8ed0, v2
	v_cmp_nlt_f32_e64 s7, 0x42b17218, v2
	v_fma_f32 v83, 0x3fb8aa3b, v2, -v72
	v_rndne_f32_e32 v84, v72
	s_delay_alu instid0(VALU_DEP_2) | instskip(SKIP_1) | instid1(VALU_DEP_3)
	v_fmac_f32_e32 v83, 0x32a5705f, v2
	v_sub_f32_e32 v3, v3, v36
	v_sub_f32_e32 v2, v72, v84
	v_cvt_i32_f32_e32 v72, v84
	s_delay_alu instid0(VALU_DEP_3) | instskip(SKIP_3) | instid1(VALU_DEP_4)
	v_mul_f32_e32 v79, 0x3fb8aa3b, v3
	v_cmp_ngt_f32_e64 s4, 0xc2ce8ed0, v3
	v_cmp_nlt_f32_e64 s10, 0x42b17218, v3
	v_add_f32_e32 v2, v2, v83
	v_fma_f32 v89, 0x3fb8aa3b, v3, -v79
	v_sub_f32_e32 v0, v0, v36
	v_rndne_f32_e32 v90, v79
	s_delay_alu instid0(VALU_DEP_4) | instskip(NEXT) | instid1(VALU_DEP_3)
	v_exp_f32_e32 v2, v2
	v_fmac_f32_e32 v89, 0x32a5705f, v3
	s_delay_alu instid0(VALU_DEP_2) | instskip(SKIP_3) | instid1(VALU_DEP_4)
	v_dual_mul_f32 v80, 0x3fb8aa3b, v0 :: v_dual_sub_f32 v3, v79, v90
	v_cmp_ngt_f32_e64 s5, 0xc2ce8ed0, v0
	v_cmp_nlt_f32_e64 s11, 0x42b17218, v0
	v_cvt_i32_f32_e32 v79, v90
	v_fma_f32 v91, 0x3fb8aa3b, v0, -v80
	v_sub_f32_e32 v70, v71, v82
	v_rndne_f32_e32 v92, v80
	v_cvt_i32_f32_e32 v71, v82
	v_add_f32_e32 v3, v3, v89
	s_delay_alu instid0(VALU_DEP_4) | instskip(NEXT) | instid1(VALU_DEP_4)
	v_dual_fmac_f32 v91, 0x32a5705f, v0 :: v_dual_add_f32 v70, v70, v81
	v_sub_f32_e32 v0, v80, v92
	v_ldexp_f32 v2, v2, v72
	s_delay_alu instid0(VALU_DEP_4) | instskip(SKIP_2) | instid1(VALU_DEP_2)
	v_exp_f32_e32 v3, v3
	v_cvt_i32_f32_e32 v80, v92
	v_exp_f32_e32 v70, v70
	v_cndmask_b32_e32 v2, 0, v2, vcc_lo
	s_delay_alu instid0(VALU_DEP_1) | instskip(SKIP_4) | instid1(VALU_DEP_3)
	v_cndmask_b32_e64 v135, 0x7f800000, v2, s7
	s_waitcnt_depctr 0xfff
	v_ldexp_f32 v3, v3, v79
	v_ldexp_f32 v70, v70, v71
	v_cvt_f16_f32_e64 v2, v135
	v_cndmask_b32_e64 v3, 0, v3, s4
	s_delay_alu instid0(VALU_DEP_3) | instskip(NEXT) | instid1(VALU_DEP_2)
	v_cndmask_b32_e64 v70, 0, v70, s6
	v_cndmask_b32_e64 v137, 0x7f800000, v3, s10
	v_cvt_f16_f32_e64 v3, v134
	s_delay_alu instid0(VALU_DEP_3) | instskip(SKIP_1) | instid1(VALU_DEP_4)
	v_cndmask_b32_e64 v133, 0x7f800000, v70, s12
	v_add_f32_e32 v0, v0, v91
	v_cvt_f16_f32_e64 v69, v137
	s_delay_alu instid0(VALU_DEP_4) | instskip(NEXT) | instid1(VALU_DEP_4)
	v_pack_b32_f16 v2, v3, v2
	v_cvt_f16_f32_e64 v1, v133
	s_delay_alu instid0(VALU_DEP_4) | instskip(NEXT) | instid1(VALU_DEP_1)
	v_exp_f32_e32 v0, v0
	v_pack_b32_f16 v1, v1, v69
	ds_store_2addr_b32 v59, v2, v1 offset1:32
	s_waitcnt vmcnt(3)
	ds_store_b128 v52, v[4:7]
	s_waitcnt vmcnt(2)
	ds_store_b128 v54, v[8:11]
	;; [unrolled: 2-line block ×4, first 2 shown]
	v_ldexp_f32 v0, v0, v80
	s_waitcnt lgkmcnt(0)
	s_barrier
	buffer_gl0_inv
	ds_load_2addr_b64 v[1:4], v57 offset1:32
	ds_load_b128 v[5:8], v53
	ds_load_b128 v[9:12], v53 offset:16
	ds_load_b128 v[69:72], v53 offset:32
	;; [unrolled: 1-line block ×3, first 2 shown]
	ds_load_2addr_b64 v[77:80], v57 offset0:64 offset1:96
	ds_load_2addr_b64 v[81:84], v57 offset0:128 offset1:160
	ds_load_2addr_b64 v[85:88], v57 offset0:192 offset1:224
	ds_load_2addr_b64 v[89:92], v61 offset1:32
	ds_load_2addr_b64 v[93:96], v61 offset0:64 offset1:96
	ds_load_2addr_b64 v[97:100], v61 offset0:128 offset1:160
	;; [unrolled: 1-line block ×3, first 2 shown]
	ds_load_2addr_b64 v[105:108], v62 offset1:32
	ds_load_2addr_b64 v[109:112], v62 offset0:64 offset1:96
	ds_load_2addr_b64 v[113:116], v62 offset0:128 offset1:160
	ds_load_b128 v[117:120], v53 offset:64
	v_cndmask_b32_e64 v0, 0, v0, s5
	s_delay_alu instid0(VALU_DEP_1)
	v_cndmask_b32_e64 v0, 0x7f800000, v0, s11
	s_waitcnt lgkmcnt(14)
	v_pk_mul_f16 v13, v1, v5 op_sel_hi:[1,0]
	v_pk_mul_f16 v1, v1, v5 op_sel:[0,1]
	v_pk_mul_f16 v14, v2, v5 op_sel_hi:[1,0]
	v_cvt_f16_f32_e32 v122, v0
	s_delay_alu instid0(VALU_DEP_4) | instskip(NEXT) | instid1(VALU_DEP_3)
	v_pk_fma_f16 v13, v121, v66, v13 op_sel_hi:[0,1,1]
	v_pk_fma_f16 v14, v121, v67, v14 op_sel_hi:[0,1,1]
	s_delay_alu instid0(VALU_DEP_3) | instskip(SKIP_1) | instid1(VALU_DEP_4)
	v_pk_mul_f16 v123, v122, v64 op_sel_hi:[0,1]
	v_pk_fma_f16 v1, v122, v65, v1 op_sel_hi:[0,1,1]
	v_pk_fma_f16 v13, v3, v6, v13 op_sel_hi:[1,0,1]
	ds_load_b128 v[64:67], v53 offset:80
	v_pk_fma_f16 v2, v2, v5, v123 op_sel:[0,1,0]
	v_pk_fma_f16 v1, v3, v6, v1 op_sel:[0,1,0]
	s_waitcnt lgkmcnt(11)
	v_pk_fma_f16 v13, v77, v7, v13 op_sel_hi:[1,0,1]
	s_delay_alu instid0(VALU_DEP_3) | instskip(SKIP_2) | instid1(VALU_DEP_4)
	v_pk_fma_f16 v15, v4, v6, v2 op_sel:[0,1,0]
	v_pk_fma_f16 v6, v4, v6, v14 op_sel_hi:[1,0,1]
	v_pk_fma_f16 v1, v77, v7, v1 op_sel:[0,1,0]
	v_pk_fma_f16 v13, v79, v8, v13 op_sel_hi:[1,0,1]
	ds_load_2addr_b64 v[2:5], v62 offset0:192 offset1:224
	v_pk_fma_f16 v14, v78, v7, v15 op_sel:[0,1,0]
	v_pk_fma_f16 v6, v78, v7, v6 op_sel_hi:[1,0,1]
	v_pk_fma_f16 v1, v79, v8, v1 op_sel:[0,1,0]
	s_delay_alu instid0(VALU_DEP_3) | instskip(NEXT) | instid1(VALU_DEP_3)
	v_pk_fma_f16 v7, v80, v8, v14 op_sel:[0,1,0]
	v_pk_fma_f16 v6, v80, v8, v6 op_sel_hi:[1,0,1]
	s_waitcnt lgkmcnt(11)
	v_pk_fma_f16 v8, v81, v9, v13 op_sel_hi:[1,0,1]
	v_pk_fma_f16 v1, v81, v9, v1 op_sel:[0,1,0]
	ds_load_2addr_b64 v[77:80], v63 offset1:32
	ds_load_2addr_b64 v[121:124], v63 offset0:64 offset1:96
	v_pk_fma_f16 v7, v82, v9, v7 op_sel:[0,1,0]
	v_pk_fma_f16 v6, v82, v9, v6 op_sel_hi:[1,0,1]
	v_pk_fma_f16 v14, v83, v10, v8 op_sel_hi:[1,0,1]
	v_pk_fma_f16 v1, v83, v10, v1 op_sel:[0,1,0]
	s_delay_alu instid0(VALU_DEP_4) | instskip(NEXT) | instid1(VALU_DEP_4)
	v_pk_fma_f16 v13, v84, v10, v7 op_sel:[0,1,0]
	v_pk_fma_f16 v10, v84, v10, v6 op_sel_hi:[1,0,1]
	s_waitcnt lgkmcnt(12)
	v_pk_fma_f16 v14, v85, v11, v14 op_sel_hi:[1,0,1]
	v_pk_fma_f16 v1, v85, v11, v1 op_sel:[0,1,0]
	ds_load_2addr_b64 v[6:9], v63 offset0:128 offset1:160
	v_pk_fma_f16 v13, v86, v11, v13 op_sel:[0,1,0]
	v_pk_fma_f16 v10, v86, v11, v10 op_sel_hi:[1,0,1]
	v_pk_fma_f16 v14, v87, v12, v14 op_sel_hi:[1,0,1]
	v_pk_fma_f16 v1, v87, v12, v1 op_sel:[0,1,0]
	s_delay_alu instid0(VALU_DEP_4) | instskip(NEXT) | instid1(VALU_DEP_4)
	v_pk_fma_f16 v15, v88, v12, v13 op_sel:[0,1,0]
	v_pk_fma_f16 v85, v88, v12, v10 op_sel_hi:[1,0,1]
	s_waitcnt lgkmcnt(12)
	v_pk_fma_f16 v14, v89, v69, v14 op_sel_hi:[1,0,1]
	v_pk_fma_f16 v1, v89, v69, v1 op_sel:[0,1,0]
	ds_load_b128 v[10:13], v53 offset:96
	ds_load_b128 v[81:84], v53 offset:112
	v_pk_fma_f16 v15, v90, v69, v15 op_sel:[0,1,0]
	v_pk_fma_f16 v69, v90, v69, v85 op_sel_hi:[1,0,1]
	v_pk_fma_f16 v14, v91, v70, v14 op_sel_hi:[1,0,1]
	v_pk_fma_f16 v1, v91, v70, v1 op_sel:[0,1,0]
	ds_load_2addr_b64 v[85:88], v63 offset0:192 offset1:224
	v_pk_fma_f16 v15, v92, v70, v15 op_sel:[0,1,0]
	v_pk_fma_f16 v69, v92, v70, v69 op_sel_hi:[1,0,1]
	s_waitcnt lgkmcnt(14)
	v_pk_fma_f16 v14, v93, v71, v14 op_sel_hi:[1,0,1]
	v_pk_fma_f16 v1, v93, v71, v1 op_sel:[0,1,0]
	s_waitcnt lgkmcnt(0)
	v_pk_fma_f16 v15, v94, v71, v15 op_sel:[0,1,0]
	v_pk_fma_f16 v69, v94, v71, v69 op_sel_hi:[1,0,1]
	s_barrier
	buffer_gl0_inv
	v_pk_fma_f16 v14, v95, v72, v14 op_sel_hi:[1,0,1]
	v_pk_fma_f16 v15, v96, v72, v15 op_sel:[0,1,0]
	v_pk_fma_f16 v138, v95, v72, v1 op_sel:[0,1,0]
	v_pk_fma_f16 v139, v96, v72, v69 op_sel_hi:[1,0,1]
	s_clause 0x3
	global_load_b128 v[69:72], v[131:132], off
	global_load_b128 v[89:92], v[125:126], off
	;; [unrolled: 1-line block ×4, first 2 shown]
	v_pk_fma_f16 v14, v97, v73, v14 op_sel_hi:[1,0,1]
	v_pk_fma_f16 v15, v98, v73, v15 op_sel:[0,1,0]
	v_pk_fma_f16 v97, v97, v73, v138 op_sel:[0,1,0]
	v_pk_fma_f16 v73, v98, v73, v139 op_sel_hi:[1,0,1]
	v_mov_b32_e32 v129, v45
	v_add_f32_e32 v45, v134, v133
	v_pk_fma_f16 v15, v100, v74, v15 op_sel:[0,1,0]
	v_pk_fma_f16 v14, v99, v74, v14 op_sel_hi:[1,0,1]
	v_pk_fma_f16 v97, v99, v74, v97 op_sel:[0,1,0]
	v_pk_fma_f16 v73, v100, v74, v73 op_sel_hi:[1,0,1]
	v_fmac_f32_e32 v45, v129, v136
	v_pk_fma_f16 v15, v102, v75, v15 op_sel:[0,1,0]
	v_pk_fma_f16 v14, v101, v75, v14 op_sel_hi:[1,0,1]
	v_pk_fma_f16 v74, v101, v75, v97 op_sel:[0,1,0]
	v_pk_fma_f16 v73, v102, v75, v73 op_sel_hi:[1,0,1]
	v_mov_b32_e32 v1, v68
	v_pk_fma_f16 v15, v104, v76, v15 op_sel:[0,1,0]
	v_pk_fma_f16 v14, v103, v76, v14 op_sel_hi:[1,0,1]
	v_pk_fma_f16 v74, v103, v76, v74 op_sel:[0,1,0]
	v_pk_fma_f16 v73, v104, v76, v73 op_sel_hi:[1,0,1]
	v_add_f32_e32 v68, v135, v137
	v_pk_fma_f16 v15, v106, v117, v15 op_sel:[0,1,0]
	v_pk_fma_f16 v14, v105, v117, v14 op_sel_hi:[1,0,1]
	v_pk_fma_f16 v74, v105, v117, v74 op_sel:[0,1,0]
	v_pk_fma_f16 v73, v106, v117, v73 op_sel_hi:[1,0,1]
	v_fmac_f32_e32 v68, v1, v0
	v_pk_fma_f16 v15, v108, v118, v15 op_sel:[0,1,0]
	v_pk_fma_f16 v14, v107, v118, v14 op_sel_hi:[1,0,1]
	v_pk_fma_f16 v74, v107, v118, v74 op_sel:[0,1,0]
	v_pk_fma_f16 v73, v108, v118, v73 op_sel_hi:[1,0,1]
	s_waitcnt vmcnt(3)
	ds_store_b128 v52, v[69:72]
	s_waitcnt vmcnt(2)
	ds_store_b128 v54, v[89:92]
	;; [unrolled: 2-line block ×4, first 2 shown]
	v_pk_fma_f16 v15, v110, v119, v15 op_sel:[0,1,0]
	v_pk_fma_f16 v14, v109, v119, v14 op_sel_hi:[1,0,1]
	v_pk_fma_f16 v74, v109, v119, v74 op_sel:[0,1,0]
	v_pk_fma_f16 v73, v110, v119, v73 op_sel_hi:[1,0,1]
	s_waitcnt lgkmcnt(0)
	v_pk_fma_f16 v15, v112, v120, v15 op_sel:[0,1,0]
	v_pk_fma_f16 v14, v111, v120, v14 op_sel_hi:[1,0,1]
	v_pk_fma_f16 v74, v111, v120, v74 op_sel:[0,1,0]
	v_pk_fma_f16 v73, v112, v120, v73 op_sel_hi:[1,0,1]
	s_barrier
	v_pk_fma_f16 v15, v114, v64, v15 op_sel:[0,1,0]
	v_pk_fma_f16 v14, v113, v64, v14 op_sel_hi:[1,0,1]
	v_pk_fma_f16 v74, v113, v64, v74 op_sel:[0,1,0]
	v_pk_fma_f16 v64, v114, v64, v73 op_sel_hi:[1,0,1]
	buffer_gl0_inv
	v_pk_fma_f16 v15, v116, v65, v15 op_sel:[0,1,0]
	v_pk_fma_f16 v14, v115, v65, v14 op_sel_hi:[1,0,1]
	v_pk_fma_f16 v73, v115, v65, v74 op_sel:[0,1,0]
	v_pk_fma_f16 v64, v116, v65, v64 op_sel_hi:[1,0,1]
	s_delay_alu instid0(VALU_DEP_4) | instskip(NEXT) | instid1(VALU_DEP_4)
	v_pk_fma_f16 v15, v3, v66, v15 op_sel:[0,1,0]
	v_pk_fma_f16 v14, v2, v66, v14 op_sel_hi:[1,0,1]
	s_delay_alu instid0(VALU_DEP_4) | instskip(NEXT) | instid1(VALU_DEP_4)
	;; [unrolled: 3-line block ×20, first 2 shown]
	v_pk_fma_f16 v133, v87, v84, v2 op_sel:[0,1,0]
	v_pk_fma_f16 v134, v88, v84, v3 op_sel_hi:[1,0,1]
	ds_load_2addr_b64 v[2:5], v57 offset1:32
	ds_load_b128 v[6:9], v53 offset:128
	ds_load_b128 v[10:13], v53 offset:144
	;; [unrolled: 1-line block ×4, first 2 shown]
	ds_load_2addr_b64 v[73:76], v57 offset0:64 offset1:96
	ds_load_2addr_b64 v[77:80], v57 offset0:128 offset1:160
	;; [unrolled: 1-line block ×3, first 2 shown]
	ds_load_2addr_b64 v[85:88], v61 offset1:32
	ds_load_2addr_b64 v[89:92], v61 offset0:64 offset1:96
	ds_load_2addr_b64 v[93:96], v61 offset0:128 offset1:160
	;; [unrolled: 1-line block ×3, first 2 shown]
	ds_load_2addr_b64 v[101:104], v62 offset1:32
	ds_load_2addr_b64 v[105:108], v62 offset0:64 offset1:96
	ds_load_2addr_b64 v[109:112], v62 offset0:128 offset1:160
	ds_load_b128 v[113:116], v53 offset:192
	ds_load_b128 v[117:120], v53 offset:208
	ds_load_2addr_b64 v[121:124], v62 offset0:192 offset1:224
	ds_load_2addr_b64 v[125:128], v63 offset1:32
	ds_load_2addr_b64 v[129:132], v63 offset0:64 offset1:96
	s_waitcnt lgkmcnt(18)
	v_pk_fma_f16 v15, v2, v6, v15 op_sel_hi:[1,0,1]
	v_pk_fma_f16 v2, v2, v6, v133 op_sel:[0,1,0]
	v_pk_fma_f16 v133, v3, v6, v134 op_sel_hi:[1,0,1]
	v_pk_fma_f16 v3, v3, v6, v14 op_sel:[0,1,0]
	s_delay_alu instid0(VALU_DEP_4) | instskip(NEXT) | instid1(VALU_DEP_4)
	v_pk_fma_f16 v6, v4, v7, v15 op_sel_hi:[1,0,1]
	v_pk_fma_f16 v14, v4, v7, v2 op_sel:[0,1,0]
	s_delay_alu instid0(VALU_DEP_4) | instskip(NEXT) | instid1(VALU_DEP_4)
	v_pk_fma_f16 v15, v5, v7, v133 op_sel_hi:[1,0,1]
	v_pk_fma_f16 v7, v5, v7, v3 op_sel:[0,1,0]
	ds_load_2addr_b64 v[2:5], v63 offset0:128 offset1:160
	s_waitcnt lgkmcnt(15)
	v_pk_fma_f16 v6, v73, v8, v6 op_sel_hi:[1,0,1]
	v_pk_fma_f16 v14, v73, v8, v14 op_sel:[0,1,0]
	v_pk_fma_f16 v15, v74, v8, v15 op_sel_hi:[1,0,1]
	v_pk_fma_f16 v7, v74, v8, v7 op_sel:[0,1,0]
	s_delay_alu instid0(VALU_DEP_4) | instskip(NEXT) | instid1(VALU_DEP_4)
	v_pk_fma_f16 v133, v75, v9, v6 op_sel_hi:[1,0,1]
	v_pk_fma_f16 v14, v75, v9, v14 op_sel:[0,1,0]
	s_delay_alu instid0(VALU_DEP_4) | instskip(NEXT) | instid1(VALU_DEP_4)
	v_pk_fma_f16 v15, v76, v9, v15 op_sel_hi:[1,0,1]
	v_pk_fma_f16 v134, v76, v9, v7 op_sel:[0,1,0]
	ds_load_b128 v[6:9], v53 offset:224
	ds_load_b128 v[73:76], v53 offset:240
	s_waitcnt lgkmcnt(16)
	v_pk_fma_f16 v133, v77, v10, v133 op_sel_hi:[1,0,1]
	v_pk_fma_f16 v14, v77, v10, v14 op_sel:[0,1,0]
	v_pk_fma_f16 v15, v78, v10, v15 op_sel_hi:[1,0,1]
	v_pk_fma_f16 v10, v78, v10, v134 op_sel:[0,1,0]
	s_delay_alu instid0(VALU_DEP_4) | instskip(NEXT) | instid1(VALU_DEP_4)
	v_pk_fma_f16 v133, v79, v11, v133 op_sel_hi:[1,0,1]
	v_pk_fma_f16 v14, v79, v11, v14 op_sel:[0,1,0]
	s_delay_alu instid0(VALU_DEP_4) | instskip(NEXT) | instid1(VALU_DEP_4)
	v_pk_fma_f16 v15, v80, v11, v15 op_sel_hi:[1,0,1]
	v_pk_fma_f16 v10, v80, v11, v10 op_sel:[0,1,0]
	ds_load_2addr_b64 v[77:80], v63 offset0:192 offset1:224
	s_waitcnt lgkmcnt(16)
	v_pk_fma_f16 v11, v81, v12, v133 op_sel_hi:[1,0,1]
	v_pk_fma_f16 v14, v81, v12, v14 op_sel:[0,1,0]
	v_pk_fma_f16 v15, v82, v12, v15 op_sel_hi:[1,0,1]
	v_pk_fma_f16 v10, v82, v12, v10 op_sel:[0,1,0]
	s_waitcnt lgkmcnt(0)
	v_pk_fma_f16 v11, v83, v13, v11 op_sel_hi:[1,0,1]
	v_pk_fma_f16 v12, v83, v13, v14 op_sel:[0,1,0]
	v_pk_fma_f16 v14, v84, v13, v15 op_sel_hi:[1,0,1]
	v_pk_fma_f16 v10, v84, v13, v10 op_sel:[0,1,0]
	s_barrier
	v_pk_fma_f16 v11, v85, v64, v11 op_sel_hi:[1,0,1]
	v_pk_fma_f16 v12, v85, v64, v12 op_sel:[0,1,0]
	v_pk_fma_f16 v13, v86, v64, v14 op_sel_hi:[1,0,1]
	v_pk_fma_f16 v10, v86, v64, v10 op_sel:[0,1,0]
	buffer_gl0_inv
	v_pk_fma_f16 v11, v87, v65, v11 op_sel_hi:[1,0,1]
	v_pk_fma_f16 v12, v87, v65, v12 op_sel:[0,1,0]
	v_pk_fma_f16 v13, v88, v65, v13 op_sel_hi:[1,0,1]
	v_pk_fma_f16 v10, v88, v65, v10 op_sel:[0,1,0]
	s_load_b32 s2, s[16:17], 0x4
	v_pk_fma_f16 v11, v89, v66, v11 op_sel_hi:[1,0,1]
	v_pk_fma_f16 v12, v89, v66, v12 op_sel:[0,1,0]
	v_pk_fma_f16 v13, v90, v66, v13 op_sel_hi:[1,0,1]
	v_pk_fma_f16 v10, v90, v66, v10 op_sel:[0,1,0]
	s_delay_alu instid0(VALU_DEP_4) | instskip(NEXT) | instid1(VALU_DEP_4)
	v_pk_fma_f16 v11, v91, v67, v11 op_sel_hi:[1,0,1]
	v_pk_fma_f16 v12, v91, v67, v12 op_sel:[0,1,0]
	s_delay_alu instid0(VALU_DEP_4) | instskip(NEXT) | instid1(VALU_DEP_4)
	;; [unrolled: 3-line block ×6, first 2 shown]
	v_pk_fma_f16 v13, v96, v70, v13 op_sel_hi:[1,0,1]
	v_pk_fma_f16 v10, v96, v70, v10 op_sel:[0,1,0]
	s_waitcnt lgkmcnt(0)
	s_lshl_b32 s2, s2, 6
	v_pk_fma_f16 v11, v97, v71, v11 op_sel_hi:[1,0,1]
	v_pk_fma_f16 v12, v97, v71, v12 op_sel:[0,1,0]
	v_pk_fma_f16 v13, v98, v71, v13 op_sel_hi:[1,0,1]
	v_pk_fma_f16 v10, v98, v71, v10 op_sel:[0,1,0]
	s_add_i32 s13, s2, s13
	v_pk_fma_f16 v11, v99, v72, v11 op_sel_hi:[1,0,1]
	v_pk_fma_f16 v12, v99, v72, v12 op_sel:[0,1,0]
	v_pk_fma_f16 v13, v100, v72, v13 op_sel_hi:[1,0,1]
	v_pk_fma_f16 v10, v100, v72, v10 op_sel:[0,1,0]
	s_cmp_ge_i32 s13, s34
	v_pk_fma_f16 v11, v101, v113, v11 op_sel_hi:[1,0,1]
	v_pk_fma_f16 v12, v101, v113, v12 op_sel:[0,1,0]
	v_pk_fma_f16 v13, v102, v113, v13 op_sel_hi:[1,0,1]
	v_pk_fma_f16 v10, v102, v113, v10 op_sel:[0,1,0]
	s_delay_alu instid0(VALU_DEP_4) | instskip(NEXT) | instid1(VALU_DEP_4)
	v_pk_fma_f16 v11, v103, v114, v11 op_sel_hi:[1,0,1]
	v_pk_fma_f16 v12, v103, v114, v12 op_sel:[0,1,0]
	s_delay_alu instid0(VALU_DEP_4) | instskip(NEXT) | instid1(VALU_DEP_4)
	;; [unrolled: 3-line block ×30, first 2 shown]
	v_pk_fma_f16 v67, v80, v76, v2 op_sel_hi:[1,0,1]
	v_pk_fma_f16 v64, v80, v76, v3 op_sel:[0,1,0]
	s_cbranch_scc0 .LBB27_9
; %bb.10:
	v_mov_b32_e32 v0, 32
	v_mov_b32_e32 v4, v39
.LBB27_11:
	s_delay_alu instid0(VALU_DEP_2)
	v_cmp_lt_i32_e32 vcc_lo, v44, v0
	s_cmp_lg_u64 s[24:25], 0
	s_cselect_b32 s2, -1, 0
	s_cmp_eq_u32 s14, 0
	v_cndmask_b32_e32 v1, v4, v44, vcc_lo
	v_cmp_lt_i32_e32 vcc_lo, v43, v0
	s_cselect_b32 s3, -1, 0
	s_delay_alu instid0(SALU_CYCLE_1)
	s_and_b32 s2, s3, s2
	v_cndmask_b32_e32 v3, v4, v43, vcc_lo
	v_cmp_lt_i32_e32 vcc_lo, v42, v0
	v_dual_cndmask_b32 v6, v4, v42 :: v_dual_lshlrev_b32 v1, 2, v1
	ds_bpermute_b32 v2, v1, v45
	ds_bpermute_b32 v1, v1, v68
	v_cmp_lt_i32_e32 vcc_lo, v41, v0
	v_lshlrev_b32_e32 v6, 2, v6
	s_waitcnt lgkmcnt(1)
	v_dual_add_f32 v2, v45, v2 :: v_dual_lshlrev_b32 v3, 2, v3
	s_waitcnt lgkmcnt(0)
	v_add_f32_e32 v1, v68, v1
	ds_bpermute_b32 v5, v3, v2
	s_waitcnt lgkmcnt(0)
	v_add_f32_e32 v2, v2, v5
	ds_bpermute_b32 v3, v3, v1
	s_waitcnt lgkmcnt(0)
	v_add_f32_e32 v1, v1, v3
	ds_bpermute_b32 v3, v6, v2
	ds_bpermute_b32 v5, v6, v1
	v_cndmask_b32_e32 v6, v4, v41, vcc_lo
	v_cmp_lt_i32_e32 vcc_lo, v40, v0
	s_delay_alu instid0(VALU_DEP_2)
	v_lshlrev_b32_e32 v6, 2, v6
	s_waitcnt lgkmcnt(0)
	v_dual_add_f32 v2, v2, v3 :: v_dual_add_f32 v1, v1, v5
	ds_bpermute_b32 v3, v6, v2
	ds_bpermute_b32 v5, v6, v1
	v_cndmask_b32_e32 v0, v4, v40, vcc_lo
	s_and_b32 vcc_lo, exec_lo, s2
	s_waitcnt lgkmcnt(0)
	s_delay_alu instid0(VALU_DEP_1)
	v_dual_add_f32 v1, v1, v5 :: v_dual_lshlrev_b32 v0, 2, v0
	ds_bpermute_b32 v4, v0, v1
	s_waitcnt lgkmcnt(0)
	v_dual_add_f32 v2, v2, v3 :: v_dual_add_f32 v1, v1, v4
	ds_bpermute_b32 v3, v0, v2
	s_waitcnt lgkmcnt(0)
	v_add_f32_e32 v0, v2, v3
	s_cbranch_vccz .LBB27_14
; %bb.12:
	v_add_nc_u32_e32 v2, s15, v37
	s_delay_alu instid0(VALU_DEP_1) | instskip(NEXT) | instid1(VALU_DEP_1)
	v_ashrrev_i32_e32 v3, 31, v2
	v_lshlrev_b64 v[2:3], 2, v[2:3]
	s_delay_alu instid0(VALU_DEP_1) | instskip(NEXT) | instid1(VALU_DEP_2)
	v_add_co_u32 v2, vcc_lo, s24, v2
	v_add_co_ci_u32_e32 v3, vcc_lo, s25, v3, vcc_lo
	global_load_b64 v[2:3], v[2:3], off
	v_max_f32_e32 v4, v35, v35
	s_waitcnt vmcnt(0)
	v_dual_max_f32 v6, v36, v36 :: v_dual_max_f32 v5, v2, v2
	s_delay_alu instid0(VALU_DEP_1) | instskip(NEXT) | instid1(VALU_DEP_1)
	v_dual_max_f32 v7, v3, v3 :: v_dual_max_f32 v4, v4, v5
	v_dual_max_f32 v5, v6, v7 :: v_dual_sub_f32 v6, v35, v4
	s_delay_alu instid0(VALU_DEP_1) | instskip(SKIP_2) | instid1(VALU_DEP_4)
	v_sub_f32_e32 v7, v36, v5
	v_dual_sub_f32 v3, v3, v5 :: v_dual_sub_f32 v2, v2, v4
	v_mov_b32_e32 v36, v5
	v_cmp_ngt_f32_e32 vcc_lo, 0xc2ce8ed0, v6
	s_delay_alu instid0(VALU_DEP_4) | instskip(NEXT) | instid1(VALU_DEP_4)
	v_mul_f32_e32 v10, 0x3fb8aa3b, v7
	v_mul_f32_e32 v11, 0x3fb8aa3b, v3
	;; [unrolled: 1-line block ×3, first 2 shown]
	v_mov_b32_e32 v35, v4
	s_delay_alu instid0(VALU_DEP_4) | instskip(NEXT) | instid1(VALU_DEP_4)
	v_fma_f32 v18, 0x3fb8aa3b, v7, -v10
	v_fma_f32 v20, 0x3fb8aa3b, v3, -v11
	s_delay_alu instid0(VALU_DEP_4)
	v_rndne_f32_e32 v15, v9
	v_mul_f32_e32 v8, 0x3fb8aa3b, v6
	v_fma_f32 v14, 0x3fb8aa3b, v2, -v9
	v_rndne_f32_e32 v21, v11
	v_fmac_f32_e32 v20, 0x32a5705f, v3
	v_sub_f32_e32 v9, v9, v15
	v_fma_f32 v12, 0x3fb8aa3b, v6, -v8
	v_rndne_f32_e32 v13, v8
	v_dual_sub_f32 v11, v11, v21 :: v_dual_fmac_f32 v14, 0x32a5705f, v2
	v_rndne_f32_e32 v19, v10
	s_delay_alu instid0(VALU_DEP_2) | instskip(NEXT) | instid1(VALU_DEP_3)
	v_dual_fmac_f32 v12, 0x32a5705f, v6 :: v_dual_add_f32 v11, v11, v20
	v_dual_sub_f32 v8, v8, v13 :: v_dual_add_f32 v9, v9, v14
	s_delay_alu instid0(VALU_DEP_3) | instskip(SKIP_1) | instid1(VALU_DEP_4)
	v_sub_f32_e32 v10, v10, v19
	v_cvt_i32_f32_e32 v14, v19
	v_exp_f32_e32 v11, v11
	s_delay_alu instid0(VALU_DEP_3)
	v_add_f32_e32 v8, v8, v12
	v_exp_f32_e32 v9, v9
	v_cvt_i32_f32_e32 v12, v13
	v_cvt_i32_f32_e32 v13, v15
	;; [unrolled: 1-line block ×3, first 2 shown]
	v_exp_f32_e32 v8, v8
	s_delay_alu instid0(TRANS32_DEP_3) | instid1(VALU_DEP_1)
	v_ldexp_f32 v11, v11, v15
	s_waitcnt_depctr 0xfff
	v_ldexp_f32 v9, v9, v13
	v_ldexp_f32 v8, v8, v12
	s_delay_alu instid0(VALU_DEP_1) | instskip(SKIP_1) | instid1(VALU_DEP_4)
	v_cndmask_b32_e32 v8, 0, v8, vcc_lo
	v_cmp_ngt_f32_e32 vcc_lo, 0xc2ce8ed0, v2
	v_dual_fmac_f32 v18, 0x32a5705f, v7 :: v_dual_cndmask_b32 v9, 0, v9
	s_delay_alu instid0(VALU_DEP_1) | instskip(SKIP_1) | instid1(VALU_DEP_2)
	v_add_f32_e32 v10, v10, v18
	v_cmp_ngt_f32_e32 vcc_lo, 0xc2ce8ed0, v7
	v_exp_f32_e32 v10, v10
	s_waitcnt_depctr 0xfff
	v_ldexp_f32 v10, v10, v14
	s_delay_alu instid0(VALU_DEP_1)
	v_cndmask_b32_e32 v10, 0, v10, vcc_lo
	v_cmp_ngt_f32_e32 vcc_lo, 0xc2ce8ed0, v3
	v_cndmask_b32_e32 v11, 0, v11, vcc_lo
	v_cmp_nlt_f32_e32 vcc_lo, 0x42b17218, v6
	v_cndmask_b32_e32 v6, 0x7f800000, v8, vcc_lo
	v_cmp_nlt_f32_e32 vcc_lo, 0x42b17218, v2
	s_delay_alu instid0(VALU_DEP_2) | instskip(SKIP_2) | instid1(VALU_DEP_3)
	v_cvt_f16_f32_e32 v8, v6
	v_cndmask_b32_e32 v2, 0x7f800000, v9, vcc_lo
	v_cmp_nlt_f32_e32 vcc_lo, 0x42b17218, v7
	v_pk_mul_f16 v66, v8, v66 op_sel_hi:[0,1]
	s_delay_alu instid0(VALU_DEP_3) | instskip(SKIP_3) | instid1(VALU_DEP_4)
	v_fmac_f32_e32 v2, v0, v6
	v_cndmask_b32_e32 v7, 0x7f800000, v10, vcc_lo
	v_cmp_nlt_f32_e32 vcc_lo, 0x42b17218, v3
	v_pk_mul_f16 v67, v8, v67 op_sel_hi:[0,1]
	v_mov_b32_e32 v0, v2
	s_delay_alu instid0(VALU_DEP_4) | instskip(SKIP_1) | instid1(VALU_DEP_2)
	v_cvt_f16_f32_e32 v4, v7
	v_cndmask_b32_e32 v3, 0x7f800000, v11, vcc_lo
	v_pk_mul_f16 v65, v4, v65 op_sel_hi:[0,1]
	s_delay_alu instid0(VALU_DEP_2) | instskip(SKIP_1) | instid1(VALU_DEP_2)
	v_fmac_f32_e32 v3, v1, v7
	v_pk_mul_f16 v64, v4, v64 op_sel_hi:[0,1]
	v_mov_b32_e32 v1, v3
	s_mov_b32 s2, exec_lo
	v_cmpx_gt_i32_e64 s38, v16
	s_cbranch_execnz .LBB27_15
.LBB27_13:
	s_nop 0
	s_sendmsg sendmsg(MSG_DEALLOC_VGPRS)
	s_endpgm
.LBB27_14:
	s_delay_alu instid0(VALU_DEP_1)
	v_dual_mov_b32 v3, v1 :: v_dual_mov_b32 v2, v0
	s_mov_b32 s2, exec_lo
	v_cmpx_gt_i32_e64 s38, v16
	s_cbranch_execz .LBB27_13
.LBB27_15:
	s_load_b32 s1, s[0:1], 0xd4
	v_mov_b32_e32 v6, 1.0
	s_waitcnt lgkmcnt(0)
	s_cmp_lg_u32 s1, 1
	s_cselect_b32 s3, -1, 0
	s_cmp_eq_u32 s1, 1
	s_cselect_b32 s2, -1, 0
	s_and_b32 vcc_lo, exec_lo, s3
	s_cbranch_vccnz .LBB27_17
; %bb.16:
	v_div_scale_f32 v4, null, v0, v0, 1.0
	s_delay_alu instid0(VALU_DEP_1) | instskip(SKIP_2) | instid1(VALU_DEP_1)
	v_rcp_f32_e32 v5, v4
	s_waitcnt_depctr 0xfff
	v_fma_f32 v6, -v4, v5, 1.0
	v_fmac_f32_e32 v5, v6, v5
	v_div_scale_f32 v6, vcc_lo, 1.0, v0, 1.0
	s_delay_alu instid0(VALU_DEP_1) | instskip(NEXT) | instid1(VALU_DEP_1)
	v_mul_f32_e32 v7, v6, v5
	v_fma_f32 v8, -v4, v7, v6
	s_delay_alu instid0(VALU_DEP_1) | instskip(NEXT) | instid1(VALU_DEP_1)
	v_fmac_f32_e32 v7, v8, v5
	v_fma_f32 v4, -v4, v7, v6
	s_delay_alu instid0(VALU_DEP_1) | instskip(NEXT) | instid1(VALU_DEP_1)
	v_div_fmas_f32 v4, v4, v5, v7
	v_div_fixup_f32 v6, v4, v0, 1.0
.LBB27_17:
	v_mad_u64_u32 v[4:5], null, s33, s38, v[16:17]
	v_cvt_f32_f16_e32 v9, v66
	v_mov_b32_e32 v8, 0
	v_cvt_f32_f16_e32 v10, v67
	v_cmp_eq_u32_e32 vcc_lo, 0, v17
	v_mul_lo_u32 v0, v4, s39
	s_delay_alu instid0(VALU_DEP_1) | instskip(NEXT) | instid1(VALU_DEP_1)
	v_add3_u32 v0, s15, v37, v0
	v_mad_u64_u32 v[4:5], null, s1, v0, s[14:15]
	v_lshrrev_b32_e32 v5, 16, v67
	v_lshrrev_b32_e32 v0, 16, v66
	s_delay_alu instid0(VALU_DEP_2) | instskip(NEXT) | instid1(VALU_DEP_4)
	v_cvt_f32_f16_e32 v5, v5
	v_lshl_add_u32 v7, v4, 7, v38
	s_delay_alu instid0(VALU_DEP_3) | instskip(NEXT) | instid1(VALU_DEP_2)
	v_cvt_f32_f16_e32 v0, v0
	v_lshlrev_b64 v[11:12], 2, v[7:8]
	v_mul_f32_e32 v7, v6, v9
	v_mul_f32_e32 v9, v6, v10
	;; [unrolled: 1-line block ×4, first 2 shown]
	v_add_co_u32 v5, s0, s28, v11
	s_delay_alu instid0(VALU_DEP_1)
	v_add_co_ci_u32_e64 v6, s0, s29, v12, s0
	s_and_b32 s0, vcc_lo, s3
	global_store_b128 v[5:6], v[7:10], off
	s_and_saveexec_b32 s3, s0
	s_cbranch_execz .LBB27_19
; %bb.18:
	v_ashrrev_i32_e32 v5, 31, v4
	v_dual_mov_b32 v7, v35 :: v_dual_mov_b32 v8, v2
	s_delay_alu instid0(VALU_DEP_2) | instskip(NEXT) | instid1(VALU_DEP_1)
	v_lshlrev_b64 v[5:6], 3, v[4:5]
	v_add_co_u32 v5, vcc_lo, s30, v5
	s_delay_alu instid0(VALU_DEP_2)
	v_add_co_ci_u32_e32 v6, vcc_lo, s31, v6, vcc_lo
	global_store_b64 v[5:6], v[7:8], off
.LBB27_19:
	s_or_b32 exec_lo, exec_lo, s3
	v_mov_b32_e32 v2, 1.0
	s_and_not1_b32 vcc_lo, exec_lo, s2
	s_cbranch_vccnz .LBB27_21
; %bb.20:
	v_div_scale_f32 v0, null, v1, v1, 1.0
	s_delay_alu instid0(VALU_DEP_1) | instskip(SKIP_2) | instid1(VALU_DEP_1)
	v_rcp_f32_e32 v2, v0
	s_waitcnt_depctr 0xfff
	v_fma_f32 v5, -v0, v2, 1.0
	v_fmac_f32_e32 v2, v5, v2
	v_div_scale_f32 v5, vcc_lo, 1.0, v1, 1.0
	s_delay_alu instid0(VALU_DEP_1) | instskip(NEXT) | instid1(VALU_DEP_1)
	v_mul_f32_e32 v6, v5, v2
	v_fma_f32 v7, -v0, v6, v5
	s_delay_alu instid0(VALU_DEP_1) | instskip(NEXT) | instid1(VALU_DEP_1)
	v_fmac_f32_e32 v6, v7, v2
	v_fma_f32 v0, -v0, v6, v5
	s_delay_alu instid0(VALU_DEP_1) | instskip(NEXT) | instid1(VALU_DEP_1)
	v_div_fmas_f32 v0, v0, v2, v6
	v_div_fixup_f32 v2, v0, v1, 1.0
.LBB27_21:
	v_dual_mov_b32 v5, 0 :: v_dual_add_nc_u32 v0, s1, v4
	v_lshrrev_b32_e32 v1, 16, v65
	v_lshrrev_b32_e32 v6, 16, v64
	v_cvt_f32_f16_e32 v7, v65
	s_delay_alu instid0(VALU_DEP_4) | instskip(SKIP_3) | instid1(VALU_DEP_4)
	v_lshl_add_u32 v4, v0, 7, v38
	v_cvt_f32_f16_e32 v10, v64
	v_cvt_f32_f16_e32 v1, v1
	;; [unrolled: 1-line block ×3, first 2 shown]
	v_lshlrev_b64 v[8:9], 2, v[4:5]
	v_mul_f32_e32 v4, v2, v7
	s_delay_alu instid0(VALU_DEP_4)
	v_mul_f32_e32 v5, v2, v1
	v_mul_f32_e32 v6, v2, v10
	;; [unrolled: 1-line block ×3, first 2 shown]
	v_add_co_u32 v1, vcc_lo, s28, v8
	v_add_co_ci_u32_e32 v2, vcc_lo, s29, v9, vcc_lo
	global_store_b128 v[1:2], v[4:7], off
	s_and_b32 exec_lo, exec_lo, s0
	s_cbranch_execz .LBB27_13
; %bb.22:
	v_ashrrev_i32_e32 v1, 31, v0
	v_mov_b32_e32 v2, v36
	s_delay_alu instid0(VALU_DEP_2) | instskip(NEXT) | instid1(VALU_DEP_1)
	v_lshlrev_b64 v[0:1], 3, v[0:1]
	v_add_co_u32 v0, vcc_lo, s30, v0
	s_delay_alu instid0(VALU_DEP_2)
	v_add_co_ci_u32_e32 v1, vcc_lo, s31, v1, vcc_lo
	global_store_b64 v[0:1], v[2:3], off
	s_nop 0
	s_sendmsg sendmsg(MSG_DEALLOC_VGPRS)
	s_endpgm
	.section	.rodata,"a",@progbits
	.p2align	6, 0x0
	.amdhsa_kernel _ZL15flash_attn_tileILi128ELi128ELi2ELi4ELb0EEvPKcS1_S1_S1_S1_PKiPfP15HIP_vector_typeIfLj2EEffffjfiS5_IjLj3EEiiiiiiiiiiiliiliiiiil
		.amdhsa_group_segment_fixed_size 12288
		.amdhsa_private_segment_fixed_size 0
		.amdhsa_kernarg_size 464
		.amdhsa_user_sgpr_count 13
		.amdhsa_user_sgpr_dispatch_ptr 0
		.amdhsa_user_sgpr_queue_ptr 0
		.amdhsa_user_sgpr_kernarg_segment_ptr 1
		.amdhsa_user_sgpr_dispatch_id 0
		.amdhsa_user_sgpr_private_segment_size 0
		.amdhsa_wavefront_size32 1
		.amdhsa_uses_dynamic_stack 0
		.amdhsa_enable_private_segment 0
		.amdhsa_system_sgpr_workgroup_id_x 1
		.amdhsa_system_sgpr_workgroup_id_y 1
		.amdhsa_system_sgpr_workgroup_id_z 1
		.amdhsa_system_sgpr_workgroup_info 0
		.amdhsa_system_vgpr_workitem_id 1
		.amdhsa_next_free_vgpr 140
		.amdhsa_next_free_sgpr 42
		.amdhsa_reserve_vcc 1
		.amdhsa_float_round_mode_32 0
		.amdhsa_float_round_mode_16_64 0
		.amdhsa_float_denorm_mode_32 3
		.amdhsa_float_denorm_mode_16_64 3
		.amdhsa_dx10_clamp 1
		.amdhsa_ieee_mode 1
		.amdhsa_fp16_overflow 0
		.amdhsa_workgroup_processor_mode 1
		.amdhsa_memory_ordered 1
		.amdhsa_forward_progress 0
		.amdhsa_shared_vgpr_count 0
		.amdhsa_exception_fp_ieee_invalid_op 0
		.amdhsa_exception_fp_denorm_src 0
		.amdhsa_exception_fp_ieee_div_zero 0
		.amdhsa_exception_fp_ieee_overflow 0
		.amdhsa_exception_fp_ieee_underflow 0
		.amdhsa_exception_fp_ieee_inexact 0
		.amdhsa_exception_int_div_zero 0
	.end_amdhsa_kernel
	.section	.text._ZL15flash_attn_tileILi128ELi128ELi2ELi4ELb0EEvPKcS1_S1_S1_S1_PKiPfP15HIP_vector_typeIfLj2EEffffjfiS5_IjLj3EEiiiiiiiiiiiliiliiiiil,"axG",@progbits,_ZL15flash_attn_tileILi128ELi128ELi2ELi4ELb0EEvPKcS1_S1_S1_S1_PKiPfP15HIP_vector_typeIfLj2EEffffjfiS5_IjLj3EEiiiiiiiiiiiliiliiiiil,comdat
.Lfunc_end27:
	.size	_ZL15flash_attn_tileILi128ELi128ELi2ELi4ELb0EEvPKcS1_S1_S1_S1_PKiPfP15HIP_vector_typeIfLj2EEffffjfiS5_IjLj3EEiiiiiiiiiiiliiliiiiil, .Lfunc_end27-_ZL15flash_attn_tileILi128ELi128ELi2ELi4ELb0EEvPKcS1_S1_S1_S1_PKiPfP15HIP_vector_typeIfLj2EEffffjfiS5_IjLj3EEiiiiiiiiiiiliiliiiiil
                                        ; -- End function
	.section	.AMDGPU.csdata,"",@progbits
; Kernel info:
; codeLenInByte = 14124
; NumSgprs: 44
; NumVgprs: 140
; ScratchSize: 0
; MemoryBound: 0
; FloatMode: 240
; IeeeMode: 1
; LDSByteSize: 12288 bytes/workgroup (compile time only)
; SGPRBlocks: 5
; VGPRBlocks: 17
; NumSGPRsForWavesPerEU: 44
; NumVGPRsForWavesPerEU: 140
; Occupancy: 10
; WaveLimiterHint : 1
; COMPUTE_PGM_RSRC2:SCRATCH_EN: 0
; COMPUTE_PGM_RSRC2:USER_SGPR: 13
; COMPUTE_PGM_RSRC2:TRAP_HANDLER: 0
; COMPUTE_PGM_RSRC2:TGID_X_EN: 1
; COMPUTE_PGM_RSRC2:TGID_Y_EN: 1
; COMPUTE_PGM_RSRC2:TGID_Z_EN: 1
; COMPUTE_PGM_RSRC2:TIDIG_COMP_CNT: 1
	.section	.text._ZL33flash_attn_stream_k_fixup_uniformILi128ELi2ELi4EEvPfPK15HIP_vector_typeIfLj2EEiiiiiiS1_IjLj3EES5_S5_,"axG",@progbits,_ZL33flash_attn_stream_k_fixup_uniformILi128ELi2ELi4EEvPfPK15HIP_vector_typeIfLj2EEiiiiiiS1_IjLj3EES5_S5_,comdat
	.globl	_ZL33flash_attn_stream_k_fixup_uniformILi128ELi2ELi4EEvPfPK15HIP_vector_typeIfLj2EEiiiiiiS1_IjLj3EES5_S5_ ; -- Begin function _ZL33flash_attn_stream_k_fixup_uniformILi128ELi2ELi4EEvPfPK15HIP_vector_typeIfLj2EEiiiiiiS1_IjLj3EES5_S5_
	.p2align	8
	.type	_ZL33flash_attn_stream_k_fixup_uniformILi128ELi2ELi4EEvPfPK15HIP_vector_typeIfLj2EEiiiiiiS1_IjLj3EES5_S5_,@function
_ZL33flash_attn_stream_k_fixup_uniformILi128ELi2ELi4EEvPfPK15HIP_vector_typeIfLj2EEiiiiiiS1_IjLj3EES5_S5_: ; @_ZL33flash_attn_stream_k_fixup_uniformILi128ELi2ELi4EEvPfPK15HIP_vector_typeIfLj2EEiiiiiiS1_IjLj3EES5_S5_
; %bb.0:
	s_clause 0x1
	s_load_b256 s[4:11], s[0:1], 0x1c
	s_load_b128 s[16:19], s[0:1], 0x3c
	s_waitcnt lgkmcnt(0)
	s_mul_hi_u32 s2, s7, s13
	s_delay_alu instid0(SALU_CYCLE_1) | instskip(NEXT) | instid1(SALU_CYCLE_1)
	s_add_i32 s2, s13, s2
	s_lshr_b32 s2, s2, s8
	s_delay_alu instid0(SALU_CYCLE_1) | instskip(SKIP_2) | instid1(SALU_CYCLE_1)
	s_mul_i32 s3, s2, s9
	s_load_b64 s[8:9], s[0:1], 0x10
	s_sub_i32 s7, s13, s3
	s_mul_hi_u32 s3, s7, s10
	s_delay_alu instid0(SALU_CYCLE_1) | instskip(NEXT) | instid1(SALU_CYCLE_1)
	s_add_i32 s3, s7, s3
	s_lshr_b32 s3, s3, s11
	s_delay_alu instid0(SALU_CYCLE_1) | instskip(NEXT) | instid1(SALU_CYCLE_1)
	s_mul_i32 s10, s3, s16
	s_sub_i32 s7, s7, s10
	s_delay_alu instid0(SALU_CYCLE_1) | instskip(NEXT) | instid1(SALU_CYCLE_1)
	s_mul_hi_u32 s10, s7, s17
	s_add_i32 s10, s7, s10
	s_delay_alu instid0(SALU_CYCLE_1) | instskip(NEXT) | instid1(SALU_CYCLE_1)
	s_lshr_b32 s10, s10, s18
	s_mul_i32 s11, s10, s19
	s_lshl_b32 s10, s10, 2
	s_sub_i32 s7, s7, s11
	s_delay_alu instid0(SALU_CYCLE_1) | instskip(NEXT) | instid1(SALU_CYCLE_1)
	s_lshl_b32 s11, s7, 1
	s_add_i32 s11, s11, s14
	s_waitcnt lgkmcnt(0)
	s_cmp_lt_i32 s11, s8
	s_cselect_b32 s11, -1, 0
	s_add_i32 s12, s10, s15
	s_delay_alu instid0(SALU_CYCLE_1) | instskip(SKIP_1) | instid1(SALU_CYCLE_1)
	s_cmp_lt_i32 s12, s5
	s_cselect_b32 s12, -1, 0
	s_and_b32 s11, s11, s12
	s_delay_alu instid0(SALU_CYCLE_1)
	s_and_not1_b32 vcc_lo, exec_lo, s11
	s_cbranch_vccnz .LBB28_6
; %bb.1:
	s_mul_i32 s2, s2, s8
	s_mul_i32 s5, s3, s5
	s_add_i32 s2, s2, s14
	s_mul_i32 s7, s9, s7
	s_mul_i32 s2, s2, s9
	s_lshl_b32 s7, s7, 8
	s_add_i32 s8, s2, s15
	s_load_b128 s[0:3], s[0:1], 0x0
	s_add_i32 s5, s8, s5
	s_lshl_b32 s9, s14, 2
	s_add_i32 s5, s5, s10
	s_delay_alu instid0(SALU_CYCLE_1) | instskip(NEXT) | instid1(SALU_CYCLE_1)
	s_lshl_b32 s5, s5, 7
	s_add_i32 s7, s7, s5
	s_mul_i32 s5, s13, s6
	v_or_b32_e32 v1, s7, v0
	s_add_i32 s10, s5, s6
	s_delay_alu instid0(VALU_DEP_1) | instskip(NEXT) | instid1(VALU_DEP_1)
	v_ashrrev_i32_e32 v2, 31, v1
	v_lshlrev_b64 v[1:2], 2, v[1:2]
	s_waitcnt lgkmcnt(0)
	s_delay_alu instid0(VALU_DEP_1) | instskip(NEXT) | instid1(VALU_DEP_2)
	v_add_co_u32 v1, vcc_lo, s0, v1
	v_add_co_ci_u32_e32 v2, vcc_lo, s1, v2, vcc_lo
	s_add_i32 s0, s9, s15
	s_lshl_b32 s1, s10, 3
	s_delay_alu instid0(SALU_CYCLE_1) | instskip(SKIP_2) | instid1(SALU_CYCLE_1)
	s_add_i32 s0, s0, s1
	global_load_b32 v5, v[1:2], off
	s_add_i32 s0, s0, -8
	s_ashr_i32 s1, s0, 31
	s_delay_alu instid0(SALU_CYCLE_1) | instskip(NEXT) | instid1(SALU_CYCLE_1)
	s_lshl_b64 s[0:1], s[0:1], 3
	s_add_u32 s0, s2, s0
	s_addc_u32 s1, s3, s1
	s_add_i32 s7, s10, -2
	s_load_b32 s11, s[0:1], 0x4
	s_cmp_lt_i32 s7, s5
	s_cbranch_scc1 .LBB28_4
; %bb.2:
	s_lshl_b32 s16, s4, 5
	s_load_b32 s12, s[0:1], 0x0
	s_ashr_i32 s17, s16, 31
	s_delay_alu instid0(SALU_CYCLE_1) | instskip(NEXT) | instid1(SALU_CYCLE_1)
	s_lshl_b64 s[0:1], s[16:17], 2
	s_add_u32 s7, s2, s0
	s_addc_u32 s8, s3, s1
	s_add_i32 s13, s13, 1
	s_lshl_b32 s0, s14, 9
	s_lshl_b32 s1, s15, 7
	s_mul_i32 s6, s6, s13
	s_add_i32 s0, s1, s0
	s_lshl_b32 s1, s6, 10
	s_delay_alu instid0(SALU_CYCLE_1)
	s_add_i32 s0, s0, s1
	s_lshl_b32 s1, s6, 3
	v_or_b32_e32 v0, s0, v0
	s_lshl_b32 s0, s4, 3
	s_add_i32 s1, s15, s1
	s_waitcnt lgkmcnt(0)
	v_mov_b32_e32 v6, s11
	s_add_i32 s0, s1, s0
	v_dual_mov_b32 v0, s12 :: v_dual_add_nc_u32 v3, 0xfffff800, v0
	s_add_i32 s0, s0, s9
	s_add_i32 s4, s10, -1
	s_add_i32 s0, s0, -16
.LBB28_3:                               ; =>This Inner Loop Header: Depth=1
	s_delay_alu instid0(VALU_DEP_1) | instskip(SKIP_1) | instid1(SALU_CYCLE_1)
	v_ashrrev_i32_e32 v4, 31, v3
	s_ashr_i32 s1, s0, 31
	s_lshl_b64 s[10:11], s[0:1], 3
	s_delay_alu instid0(SALU_CYCLE_1) | instskip(NEXT) | instid1(VALU_DEP_1)
	s_add_u32 s10, s2, s10
	v_lshlrev_b64 v[7:8], 2, v[3:4]
	s_addc_u32 s11, s3, s11
	s_add_i32 s4, s4, -1
	s_add_i32 s0, s0, -8
	s_cmp_le_i32 s4, s5
	s_load_b64 s[10:11], s[10:11], 0x0
	v_add_co_u32 v7, vcc_lo, s7, v7
	v_add_co_ci_u32_e32 v8, vcc_lo, s8, v8, vcc_lo
	global_load_b32 v4, v[7:8], off
	v_max_f32_e32 v7, v0, v0
	s_waitcnt lgkmcnt(0)
	v_max_f32_e64 v8, s10, s10
	s_delay_alu instid0(VALU_DEP_1) | instskip(NEXT) | instid1(VALU_DEP_1)
	v_max_f32_e32 v7, v7, v8
	v_sub_f32_e32 v8, s10, v7
	s_delay_alu instid0(VALU_DEP_1) | instskip(NEXT) | instid1(VALU_DEP_1)
	v_dual_sub_f32 v0, v0, v7 :: v_dual_mul_f32 v9, 0x3fb8aa3b, v8
	v_fma_f32 v10, 0x3fb8aa3b, v8, -v9
	v_rndne_f32_e32 v11, v9
	s_delay_alu instid0(VALU_DEP_3) | instskip(NEXT) | instid1(VALU_DEP_2)
	v_mul_f32_e32 v12, 0x3fb8aa3b, v0
	v_dual_fmac_f32 v10, 0x32a5705f, v8 :: v_dual_sub_f32 v9, v9, v11
	v_cvt_i32_f32_e32 v11, v11
	s_delay_alu instid0(VALU_DEP_3) | instskip(SKIP_1) | instid1(VALU_DEP_4)
	v_fma_f32 v13, 0x3fb8aa3b, v0, -v12
	v_rndne_f32_e32 v14, v12
	v_add_f32_e32 v9, v9, v10
	v_cmp_ngt_f32_e32 vcc_lo, 0xc2ce8ed0, v8
	s_delay_alu instid0(VALU_DEP_3) | instskip(NEXT) | instid1(VALU_DEP_3)
	v_sub_f32_e32 v10, v12, v14
	v_exp_f32_e32 v9, v9
	s_waitcnt_depctr 0xfff
	v_ldexp_f32 v9, v9, v11
	v_cvt_i32_f32_e32 v11, v14
	s_delay_alu instid0(VALU_DEP_2) | instskip(SKIP_1) | instid1(VALU_DEP_2)
	v_cndmask_b32_e32 v9, 0, v9, vcc_lo
	v_cmp_nlt_f32_e32 vcc_lo, 0x42b17218, v8
	v_cndmask_b32_e32 v9, 0x7f800000, v9, vcc_lo
	v_cmp_ngt_f32_e32 vcc_lo, 0xc2ce8ed0, v0
	v_fmac_f32_e32 v13, 0x32a5705f, v0
	s_delay_alu instid0(VALU_DEP_1) | instskip(NEXT) | instid1(VALU_DEP_1)
	v_add_f32_e32 v10, v10, v13
	v_exp_f32_e32 v10, v10
	s_waitcnt_depctr 0xfff
	v_ldexp_f32 v10, v10, v11
	s_delay_alu instid0(VALU_DEP_1)
	v_dual_mov_b32 v11, v6 :: v_dual_cndmask_b32 v10, 0, v10
	v_cmp_le_f32_e32 vcc_lo, 0xc1a00000, v8
	s_waitcnt vmcnt(1)
	v_dual_cndmask_b32 v8, 0, v9 :: v_dual_mov_b32 v9, v5
	v_cmp_nlt_f32_e32 vcc_lo, 0x42b17218, v0
	v_cndmask_b32_e32 v5, 0x7f800000, v10, vcc_lo
	s_delay_alu instid0(VALU_DEP_3) | instskip(SKIP_2) | instid1(VALU_DEP_3)
	v_mul_f32_e32 v10, s11, v8
	v_cmp_le_f32_e32 vcc_lo, 0xc1a00000, v0
	v_mov_b32_e32 v0, v7
	v_mov_b32_e32 v6, v10
	s_waitcnt vmcnt(0)
	v_dual_cndmask_b32 v12, 0, v5 :: v_dual_mul_f32 v5, v4, v8
	s_delay_alu instid0(VALU_DEP_1) | instskip(NEXT) | instid1(VALU_DEP_2)
	v_dual_fmac_f32 v6, v11, v12 :: v_dual_add_nc_u32 v3, 0xfffffc00, v3
	v_fmac_f32_e32 v5, v9, v12
	s_cbranch_scc0 .LBB28_3
	s_branch .LBB28_5
.LBB28_4:
	s_waitcnt lgkmcnt(0)
	v_mov_b32_e32 v6, s11
.LBB28_5:
	s_waitcnt vmcnt(0)
	s_delay_alu instid0(VALU_DEP_1) | instskip(NEXT) | instid1(VALU_DEP_1)
	v_div_scale_f32 v0, null, v6, v6, v5
	v_rcp_f32_e32 v3, v0
	s_waitcnt_depctr 0xfff
	v_fma_f32 v4, -v0, v3, 1.0
	s_delay_alu instid0(VALU_DEP_1) | instskip(SKIP_1) | instid1(VALU_DEP_1)
	v_fmac_f32_e32 v3, v4, v3
	v_div_scale_f32 v4, vcc_lo, v5, v6, v5
	v_mul_f32_e32 v7, v4, v3
	s_delay_alu instid0(VALU_DEP_1) | instskip(NEXT) | instid1(VALU_DEP_1)
	v_fma_f32 v8, -v0, v7, v4
	v_fmac_f32_e32 v7, v8, v3
	s_delay_alu instid0(VALU_DEP_1) | instskip(NEXT) | instid1(VALU_DEP_1)
	v_fma_f32 v0, -v0, v7, v4
	v_div_fmas_f32 v0, v0, v3, v7
	s_delay_alu instid0(VALU_DEP_1)
	v_div_fixup_f32 v0, v0, v6, v5
	global_store_b32 v[1:2], v0, off
.LBB28_6:
	s_nop 0
	s_sendmsg sendmsg(MSG_DEALLOC_VGPRS)
	s_endpgm
	.section	.rodata,"a",@progbits
	.p2align	6, 0x0
	.amdhsa_kernel _ZL33flash_attn_stream_k_fixup_uniformILi128ELi2ELi4EEvPfPK15HIP_vector_typeIfLj2EEiiiiiiS1_IjLj3EES5_S5_
		.amdhsa_group_segment_fixed_size 0
		.amdhsa_private_segment_fixed_size 0
		.amdhsa_kernarg_size 76
		.amdhsa_user_sgpr_count 13
		.amdhsa_user_sgpr_dispatch_ptr 0
		.amdhsa_user_sgpr_queue_ptr 0
		.amdhsa_user_sgpr_kernarg_segment_ptr 1
		.amdhsa_user_sgpr_dispatch_id 0
		.amdhsa_user_sgpr_private_segment_size 0
		.amdhsa_wavefront_size32 1
		.amdhsa_uses_dynamic_stack 0
		.amdhsa_enable_private_segment 0
		.amdhsa_system_sgpr_workgroup_id_x 1
		.amdhsa_system_sgpr_workgroup_id_y 1
		.amdhsa_system_sgpr_workgroup_id_z 1
		.amdhsa_system_sgpr_workgroup_info 0
		.amdhsa_system_vgpr_workitem_id 0
		.amdhsa_next_free_vgpr 15
		.amdhsa_next_free_sgpr 20
		.amdhsa_reserve_vcc 1
		.amdhsa_float_round_mode_32 0
		.amdhsa_float_round_mode_16_64 0
		.amdhsa_float_denorm_mode_32 3
		.amdhsa_float_denorm_mode_16_64 3
		.amdhsa_dx10_clamp 1
		.amdhsa_ieee_mode 1
		.amdhsa_fp16_overflow 0
		.amdhsa_workgroup_processor_mode 1
		.amdhsa_memory_ordered 1
		.amdhsa_forward_progress 0
		.amdhsa_shared_vgpr_count 0
		.amdhsa_exception_fp_ieee_invalid_op 0
		.amdhsa_exception_fp_denorm_src 0
		.amdhsa_exception_fp_ieee_div_zero 0
		.amdhsa_exception_fp_ieee_overflow 0
		.amdhsa_exception_fp_ieee_underflow 0
		.amdhsa_exception_fp_ieee_inexact 0
		.amdhsa_exception_int_div_zero 0
	.end_amdhsa_kernel
	.section	.text._ZL33flash_attn_stream_k_fixup_uniformILi128ELi2ELi4EEvPfPK15HIP_vector_typeIfLj2EEiiiiiiS1_IjLj3EES5_S5_,"axG",@progbits,_ZL33flash_attn_stream_k_fixup_uniformILi128ELi2ELi4EEvPfPK15HIP_vector_typeIfLj2EEiiiiiiS1_IjLj3EES5_S5_,comdat
.Lfunc_end28:
	.size	_ZL33flash_attn_stream_k_fixup_uniformILi128ELi2ELi4EEvPfPK15HIP_vector_typeIfLj2EEiiiiiiS1_IjLj3EES5_S5_, .Lfunc_end28-_ZL33flash_attn_stream_k_fixup_uniformILi128ELi2ELi4EEvPfPK15HIP_vector_typeIfLj2EEiiiiiiS1_IjLj3EES5_S5_
                                        ; -- End function
	.section	.AMDGPU.csdata,"",@progbits
; Kernel info:
; codeLenInByte = 996
; NumSgprs: 22
; NumVgprs: 15
; ScratchSize: 0
; MemoryBound: 0
; FloatMode: 240
; IeeeMode: 1
; LDSByteSize: 0 bytes/workgroup (compile time only)
; SGPRBlocks: 2
; VGPRBlocks: 1
; NumSGPRsForWavesPerEU: 22
; NumVGPRsForWavesPerEU: 15
; Occupancy: 16
; WaveLimiterHint : 0
; COMPUTE_PGM_RSRC2:SCRATCH_EN: 0
; COMPUTE_PGM_RSRC2:USER_SGPR: 13
; COMPUTE_PGM_RSRC2:TRAP_HANDLER: 0
; COMPUTE_PGM_RSRC2:TGID_X_EN: 1
; COMPUTE_PGM_RSRC2:TGID_Y_EN: 1
; COMPUTE_PGM_RSRC2:TGID_Z_EN: 1
; COMPUTE_PGM_RSRC2:TIDIG_COMP_CNT: 0
	.section	.text._ZL33flash_attn_stream_k_fixup_generalILi128ELi2ELi4EEvPfPK15HIP_vector_typeIfLj2EEiiiiS1_IjLj3EES5_S5_S5_,"axG",@progbits,_ZL33flash_attn_stream_k_fixup_generalILi128ELi2ELi4EEvPfPK15HIP_vector_typeIfLj2EEiiiiS1_IjLj3EES5_S5_S5_,comdat
	.globl	_ZL33flash_attn_stream_k_fixup_generalILi128ELi2ELi4EEvPfPK15HIP_vector_typeIfLj2EEiiiiS1_IjLj3EES5_S5_S5_ ; -- Begin function _ZL33flash_attn_stream_k_fixup_generalILi128ELi2ELi4EEvPfPK15HIP_vector_typeIfLj2EEiiiiS1_IjLj3EES5_S5_S5_
	.p2align	8
	.type	_ZL33flash_attn_stream_k_fixup_generalILi128ELi2ELi4EEvPfPK15HIP_vector_typeIfLj2EEiiiiS1_IjLj3EES5_S5_S5_,@function
_ZL33flash_attn_stream_k_fixup_generalILi128ELi2ELi4EEvPfPK15HIP_vector_typeIfLj2EEiiiiS1_IjLj3EES5_S5_S5_: ; @_ZL33flash_attn_stream_k_fixup_generalILi128ELi2ELi4EEvPfPK15HIP_vector_typeIfLj2EEiiiiS1_IjLj3EES5_S5_S5_
; %bb.0:
	s_clause 0x1
	s_load_b128 s[4:7], s[0:1], 0x10
	s_load_b32 s20, s[0:1], 0x50
	s_mov_b32 s2, 0
	s_waitcnt lgkmcnt(0)
	s_mul_hi_i32 s3, s7, s13
	s_mul_i32 s12, s7, s13
	s_cmp_lg_u64 s[2:3], 0
	s_cbranch_scc0 .LBB29_21
; %bb.1:
	v_cvt_f32_ubyte0_e32 v1, 0
	v_cvt_f32_u32_e32 v2, s20
	s_sub_u32 s10, 0, s20
	s_subb_u32 s11, 0, 0
	s_delay_alu instid0(VALU_DEP_1) | instskip(NEXT) | instid1(VALU_DEP_1)
	v_fmamk_f32 v1, v1, 0x4f800000, v2
	v_rcp_f32_e32 v1, v1
	s_waitcnt_depctr 0xfff
	v_mul_f32_e32 v1, 0x5f7ffffc, v1
	s_delay_alu instid0(VALU_DEP_1) | instskip(NEXT) | instid1(VALU_DEP_1)
	v_mul_f32_e32 v2, 0x2f800000, v1
	v_trunc_f32_e32 v2, v2
	s_delay_alu instid0(VALU_DEP_1) | instskip(SKIP_1) | instid1(VALU_DEP_2)
	v_fmamk_f32 v1, v2, 0xcf800000, v1
	v_cvt_u32_f32_e32 v2, v2
	v_cvt_u32_f32_e32 v1, v1
	s_delay_alu instid0(VALU_DEP_2) | instskip(NEXT) | instid1(VALU_DEP_2)
	v_readfirstlane_b32 s8, v2
	v_readfirstlane_b32 s9, v1
	s_delay_alu instid0(VALU_DEP_2) | instskip(NEXT) | instid1(VALU_DEP_1)
	s_mul_i32 s16, s10, s8
	s_mul_hi_u32 s18, s10, s9
	s_mul_i32 s17, s11, s9
	s_add_i32 s16, s18, s16
	s_mul_i32 s19, s10, s9
	s_add_i32 s16, s16, s17
	s_mul_hi_u32 s18, s9, s19
	s_mul_hi_u32 s21, s8, s19
	s_mul_i32 s17, s8, s19
	s_mul_hi_u32 s19, s9, s16
	s_mul_i32 s9, s9, s16
	s_mul_hi_u32 s22, s8, s16
	s_add_u32 s9, s18, s9
	s_addc_u32 s18, 0, s19
	s_add_u32 s9, s9, s17
	s_mul_i32 s16, s8, s16
	s_addc_u32 s9, s18, s21
	s_addc_u32 s17, s22, 0
	s_add_u32 s9, s9, s16
	s_addc_u32 s16, 0, s17
	v_add_co_u32 v1, s9, v1, s9
	s_delay_alu instid0(VALU_DEP_1) | instskip(SKIP_1) | instid1(VALU_DEP_1)
	s_cmp_lg_u32 s9, 0
	s_addc_u32 s8, s8, s16
	v_readfirstlane_b32 s9, v1
	s_mul_i32 s16, s10, s8
	s_delay_alu instid0(VALU_DEP_1)
	s_mul_hi_u32 s17, s10, s9
	s_mul_i32 s11, s11, s9
	s_add_i32 s16, s17, s16
	s_mul_i32 s10, s10, s9
	s_add_i32 s16, s16, s11
	s_mul_hi_u32 s17, s8, s10
	s_mul_i32 s18, s8, s10
	s_mul_hi_u32 s10, s9, s10
	s_mul_hi_u32 s19, s9, s16
	s_mul_i32 s9, s9, s16
	s_mul_hi_u32 s11, s8, s16
	s_add_u32 s9, s10, s9
	s_addc_u32 s10, 0, s19
	s_add_u32 s9, s9, s18
	s_mul_i32 s16, s8, s16
	s_addc_u32 s9, s10, s17
	s_addc_u32 s10, s11, 0
	s_add_u32 s9, s9, s16
	s_addc_u32 s10, 0, s10
	v_add_co_u32 v1, s9, v1, s9
	s_delay_alu instid0(VALU_DEP_1) | instskip(SKIP_2) | instid1(SALU_CYCLE_1)
	s_cmp_lg_u32 s9, 0
	s_addc_u32 s16, s8, s10
	s_ashr_i32 s8, s3, 31
	s_add_u32 s10, s12, s8
	s_addc_u32 s11, s3, s8
	v_readfirstlane_b32 s3, v1
	s_mov_b32 s9, s8
	s_delay_alu instid0(SALU_CYCLE_1) | instskip(NEXT) | instid1(SALU_CYCLE_1)
	s_xor_b64 s[10:11], s[10:11], s[8:9]
	s_mul_i32 s18, s10, s16
	s_delay_alu instid0(VALU_DEP_1)
	s_mul_hi_u32 s19, s10, s3
	s_mul_hi_u32 s17, s10, s16
	;; [unrolled: 1-line block ×3, first 2 shown]
	s_mul_i32 s3, s11, s3
	s_add_u32 s18, s19, s18
	s_addc_u32 s17, 0, s17
	s_mul_hi_u32 s21, s11, s16
	s_add_u32 s3, s18, s3
	s_mul_i32 s16, s11, s16
	s_addc_u32 s3, s17, s22
	s_addc_u32 s17, s21, 0
	s_add_u32 s3, s3, s16
	s_addc_u32 s16, 0, s17
	s_mul_i32 s18, s20, s3
	s_add_u32 s17, s3, 1
	v_sub_co_u32 v1, s10, s10, s18
	s_mul_hi_u32 s18, s20, s3
	s_addc_u32 s19, s16, 0
	s_mul_i32 s21, s20, s16
	s_delay_alu instid0(VALU_DEP_1)
	v_sub_co_u32 v2, s22, v1, s20
	s_add_u32 s23, s3, 2
	s_addc_u32 s24, s16, 0
	s_add_i32 s18, s18, s21
	s_cmp_lg_u32 s10, 0
	v_readfirstlane_b32 s10, v2
	s_subb_u32 s11, s11, s18
	s_cmp_lg_u32 s22, 0
	s_subb_u32 s18, s11, 0
	s_delay_alu instid0(VALU_DEP_1) | instskip(SKIP_4) | instid1(SALU_CYCLE_1)
	s_cmp_ge_u32 s10, s20
	s_cselect_b32 s10, -1, 0
	s_cmp_eq_u32 s18, 0
	v_readfirstlane_b32 s18, v1
	s_cselect_b32 s10, s10, -1
	s_cmp_lg_u32 s10, 0
	s_cselect_b32 s10, s23, s17
	s_cselect_b32 s17, s24, s19
	s_cmp_ge_u32 s18, s20
	s_cselect_b32 s18, -1, 0
	s_cmp_eq_u32 s11, 0
	s_cselect_b32 s11, s18, -1
	s_delay_alu instid0(SALU_CYCLE_1) | instskip(SKIP_2) | instid1(SALU_CYCLE_1)
	s_cmp_lg_u32 s11, 0
	s_cselect_b32 s11, s17, s16
	s_cselect_b32 s10, s10, s3
	s_xor_b64 s[10:11], s[10:11], s[8:9]
	s_delay_alu instid0(SALU_CYCLE_1)
	s_sub_u32 s16, s10, s8
	s_load_b128 s[8:11], s[0:1], 0x44
	s_and_not1_b32 vcc_lo, exec_lo, s2
	s_cbranch_vccnz .LBB29_3
.LBB29_2:
	v_cvt_f32_u32_e32 v1, s20
	s_sub_i32 s3, 0, s20
	s_delay_alu instid0(VALU_DEP_1) | instskip(SKIP_2) | instid1(VALU_DEP_1)
	v_rcp_iflag_f32_e32 v1, v1
	s_waitcnt_depctr 0xfff
	v_mul_f32_e32 v1, 0x4f7ffffe, v1
	v_cvt_u32_f32_e32 v1, v1
	s_delay_alu instid0(VALU_DEP_1) | instskip(NEXT) | instid1(VALU_DEP_1)
	v_readfirstlane_b32 s2, v1
	s_mul_i32 s3, s3, s2
	s_delay_alu instid0(SALU_CYCLE_1) | instskip(NEXT) | instid1(SALU_CYCLE_1)
	s_mul_hi_u32 s3, s2, s3
	s_add_i32 s2, s2, s3
	s_delay_alu instid0(SALU_CYCLE_1) | instskip(NEXT) | instid1(SALU_CYCLE_1)
	s_mul_hi_u32 s2, s12, s2
	s_mul_i32 s3, s2, s20
	s_waitcnt lgkmcnt(0)
	s_add_i32 s11, s2, 1
	s_sub_i32 s3, s12, s3
	s_delay_alu instid0(SALU_CYCLE_1)
	s_sub_i32 s12, s3, s20
	s_cmp_ge_u32 s3, s20
	s_cselect_b32 s2, s11, s2
	s_cselect_b32 s3, s12, s3
	s_add_i32 s11, s2, 1
	s_cmp_ge_u32 s3, s20
	s_cselect_b32 s16, s11, s2
.LBB29_3:
	s_waitcnt lgkmcnt(0)
	s_add_i32 s11, s13, 1
	s_mov_b32 s2, 0
	s_mul_hi_i32 s3, s7, s11
	s_mul_i32 s11, s7, s11
	s_cmp_lg_u64 s[2:3], 0
	s_cbranch_scc0 .LBB29_22
; %bb.4:
	v_cvt_f32_ubyte0_e32 v1, 0
	v_cvt_f32_u32_e32 v2, s20
	s_sub_u32 s18, 0, s20
	s_subb_u32 s19, 0, 0
	s_delay_alu instid0(VALU_DEP_1) | instskip(NEXT) | instid1(VALU_DEP_1)
	v_fmamk_f32 v1, v1, 0x4f800000, v2
	v_rcp_f32_e32 v1, v1
	s_waitcnt_depctr 0xfff
	v_mul_f32_e32 v1, 0x5f7ffffc, v1
	s_delay_alu instid0(VALU_DEP_1) | instskip(NEXT) | instid1(VALU_DEP_1)
	v_mul_f32_e32 v2, 0x2f800000, v1
	v_trunc_f32_e32 v2, v2
	s_delay_alu instid0(VALU_DEP_1) | instskip(SKIP_1) | instid1(VALU_DEP_2)
	v_fmamk_f32 v1, v2, 0xcf800000, v1
	v_cvt_u32_f32_e32 v2, v2
	v_cvt_u32_f32_e32 v1, v1
	s_delay_alu instid0(VALU_DEP_2) | instskip(NEXT) | instid1(VALU_DEP_2)
	v_readfirstlane_b32 s12, v2
	v_readfirstlane_b32 s17, v1
	s_delay_alu instid0(VALU_DEP_2) | instskip(NEXT) | instid1(VALU_DEP_1)
	s_mul_i32 s21, s18, s12
	s_mul_hi_u32 s23, s18, s17
	s_mul_i32 s22, s19, s17
	s_add_i32 s21, s23, s21
	s_mul_i32 s24, s18, s17
	s_add_i32 s21, s21, s22
	s_mul_hi_u32 s23, s17, s24
	s_mul_hi_u32 s25, s12, s24
	s_mul_i32 s22, s12, s24
	s_mul_hi_u32 s24, s17, s21
	s_mul_i32 s17, s17, s21
	s_mul_hi_u32 s26, s12, s21
	s_add_u32 s17, s23, s17
	s_addc_u32 s23, 0, s24
	s_add_u32 s17, s17, s22
	s_mul_i32 s21, s12, s21
	s_addc_u32 s17, s23, s25
	s_addc_u32 s22, s26, 0
	s_add_u32 s17, s17, s21
	s_addc_u32 s21, 0, s22
	v_add_co_u32 v1, s17, v1, s17
	s_delay_alu instid0(VALU_DEP_1) | instskip(SKIP_1) | instid1(VALU_DEP_1)
	s_cmp_lg_u32 s17, 0
	s_addc_u32 s12, s12, s21
	v_readfirstlane_b32 s17, v1
	s_mul_i32 s21, s18, s12
	s_delay_alu instid0(VALU_DEP_1)
	s_mul_hi_u32 s22, s18, s17
	s_mul_i32 s19, s19, s17
	s_add_i32 s21, s22, s21
	s_mul_i32 s18, s18, s17
	s_add_i32 s21, s21, s19
	s_mul_hi_u32 s22, s12, s18
	s_mul_i32 s23, s12, s18
	s_mul_hi_u32 s18, s17, s18
	s_mul_hi_u32 s24, s17, s21
	s_mul_i32 s17, s17, s21
	s_mul_hi_u32 s19, s12, s21
	s_add_u32 s17, s18, s17
	s_addc_u32 s18, 0, s24
	s_add_u32 s17, s17, s23
	s_mul_i32 s21, s12, s21
	s_addc_u32 s17, s18, s22
	s_addc_u32 s18, s19, 0
	s_add_u32 s17, s17, s21
	s_addc_u32 s18, 0, s18
	v_add_co_u32 v1, s17, v1, s17
	s_delay_alu instid0(VALU_DEP_1) | instskip(SKIP_2) | instid1(SALU_CYCLE_1)
	s_cmp_lg_u32 s17, 0
	s_addc_u32 s12, s12, s18
	s_ashr_i32 s18, s3, 31
	s_add_u32 s22, s11, s18
	s_addc_u32 s23, s3, s18
	v_readfirstlane_b32 s3, v1
	s_mov_b32 s19, s18
	s_delay_alu instid0(SALU_CYCLE_1) | instskip(NEXT) | instid1(SALU_CYCLE_1)
	s_xor_b64 s[22:23], s[22:23], s[18:19]
	s_mul_i32 s21, s22, s12
	s_delay_alu instid0(VALU_DEP_1)
	s_mul_hi_u32 s24, s22, s3
	s_mul_hi_u32 s17, s22, s12
	;; [unrolled: 1-line block ×3, first 2 shown]
	s_mul_i32 s3, s23, s3
	s_add_u32 s21, s24, s21
	s_addc_u32 s17, 0, s17
	s_mul_hi_u32 s25, s23, s12
	s_add_u32 s3, s21, s3
	s_mul_i32 s12, s23, s12
	s_addc_u32 s3, s17, s26
	s_addc_u32 s17, s25, 0
	s_add_u32 s3, s3, s12
	s_addc_u32 s12, 0, s17
	s_mul_i32 s21, s20, s3
	s_add_u32 s17, s3, 1
	v_sub_co_u32 v1, s21, s22, s21
	s_mul_hi_u32 s22, s20, s3
	s_addc_u32 s24, s12, 0
	s_mul_i32 s25, s20, s12
	s_delay_alu instid0(VALU_DEP_1)
	v_sub_co_u32 v2, s26, v1, s20
	s_add_u32 s27, s3, 2
	s_addc_u32 s28, s12, 0
	s_add_i32 s22, s22, s25
	s_cmp_lg_u32 s21, 0
	v_readfirstlane_b32 s21, v2
	s_subb_u32 s22, s23, s22
	s_cmp_lg_u32 s26, 0
	s_subb_u32 s23, s22, 0
	s_delay_alu instid0(VALU_DEP_1) | instskip(SKIP_4) | instid1(SALU_CYCLE_1)
	s_cmp_ge_u32 s21, s20
	s_cselect_b32 s21, -1, 0
	s_cmp_eq_u32 s23, 0
	v_readfirstlane_b32 s23, v1
	s_cselect_b32 s21, s21, -1
	s_cmp_lg_u32 s21, 0
	s_cselect_b32 s17, s27, s17
	s_cselect_b32 s21, s28, s24
	s_cmp_ge_u32 s23, s20
	s_cselect_b32 s23, -1, 0
	s_cmp_eq_u32 s22, 0
	s_cselect_b32 s22, s23, -1
	s_delay_alu instid0(SALU_CYCLE_1) | instskip(SKIP_2) | instid1(SALU_CYCLE_1)
	s_cmp_lg_u32 s22, 0
	s_cselect_b32 s23, s21, s12
	s_cselect_b32 s22, s17, s3
	s_xor_b64 s[22:23], s[22:23], s[18:19]
	s_delay_alu instid0(SALU_CYCLE_1)
	s_sub_u32 s18, s22, s18
	s_and_not1_b32 vcc_lo, exec_lo, s2
	s_cbranch_vccnz .LBB29_6
.LBB29_5:
	v_cvt_f32_u32_e32 v1, s20
	s_sub_i32 s3, 0, s20
	s_delay_alu instid0(VALU_DEP_1) | instskip(SKIP_2) | instid1(VALU_DEP_1)
	v_rcp_iflag_f32_e32 v1, v1
	s_waitcnt_depctr 0xfff
	v_mul_f32_e32 v1, 0x4f7ffffe, v1
	v_cvt_u32_f32_e32 v1, v1
	s_delay_alu instid0(VALU_DEP_1) | instskip(NEXT) | instid1(VALU_DEP_1)
	v_readfirstlane_b32 s2, v1
	s_mul_i32 s3, s3, s2
	s_delay_alu instid0(SALU_CYCLE_1) | instskip(NEXT) | instid1(SALU_CYCLE_1)
	s_mul_hi_u32 s3, s2, s3
	s_add_i32 s2, s2, s3
	s_delay_alu instid0(SALU_CYCLE_1) | instskip(NEXT) | instid1(SALU_CYCLE_1)
	s_mul_hi_u32 s2, s11, s2
	s_mul_i32 s3, s2, s20
	s_delay_alu instid0(SALU_CYCLE_1)
	s_sub_i32 s3, s11, s3
	s_add_i32 s11, s2, 1
	s_sub_i32 s12, s3, s20
	s_cmp_ge_u32 s3, s20
	s_cselect_b32 s2, s11, s2
	s_cselect_b32 s3, s12, s3
	s_add_i32 s11, s2, 1
	s_cmp_ge_u32 s3, s20
	s_cselect_b32 s18, s11, s2
.LBB29_6:
	s_delay_alu instid0(SALU_CYCLE_1) | instskip(SKIP_3) | instid1(SALU_CYCLE_1)
	s_cmp_eq_u32 s16, s18
	s_mul_hi_u32 s2, s16, s8
	s_cselect_b32 s3, -1, 0
	s_add_i32 s2, s2, s16
	s_lshr_b32 s11, s2, s9
	s_delay_alu instid0(SALU_CYCLE_1) | instskip(NEXT) | instid1(SALU_CYCLE_1)
	s_mul_i32 s2, s11, s10
	s_cmp_eq_u32 s2, s16
	s_mul_hi_u32 s2, s18, s8
	s_cselect_b32 s12, -1, 0
	s_add_i32 s2, s2, s18
	s_delay_alu instid0(SALU_CYCLE_1) | instskip(NEXT) | instid1(SALU_CYCLE_1)
	s_lshr_b32 s2, s2, s9
	s_cmp_eq_u32 s11, s2
	s_mul_i32 s2, s2, s10
	s_cselect_b32 s17, -1, 0
	s_cmp_lg_u32 s2, s18
	s_cselect_b32 s2, -1, 0
	s_or_b32 s3, s3, s12
	s_and_b32 s2, s17, s2
	s_delay_alu instid0(SALU_CYCLE_1) | instskip(NEXT) | instid1(SALU_CYCLE_1)
	s_or_b32 s2, s3, s2
	s_and_b32 vcc_lo, exec_lo, s2
	s_cbranch_vccnz .LBB29_24
; %bb.7:
	s_load_b256 s[24:31], s[0:1], 0x20
	s_waitcnt lgkmcnt(0)
	s_mul_hi_u32 s2, s16, s24
	s_delay_alu instid0(SALU_CYCLE_1) | instskip(NEXT) | instid1(SALU_CYCLE_1)
	s_add_i32 s2, s2, s16
	s_lshr_b32 s17, s2, s25
	s_load_b32 s2, s[0:1], 0x40
	s_mul_i32 s3, s17, s26
	s_delay_alu instid0(SALU_CYCLE_1) | instskip(NEXT) | instid1(SALU_CYCLE_1)
	s_sub_i32 s3, s16, s3
	s_mul_hi_u32 s12, s3, s27
	s_delay_alu instid0(SALU_CYCLE_1) | instskip(NEXT) | instid1(SALU_CYCLE_1)
	s_add_i32 s12, s3, s12
	s_lshr_b32 s21, s12, s28
	s_delay_alu instid0(SALU_CYCLE_1) | instskip(NEXT) | instid1(SALU_CYCLE_1)
	s_mul_i32 s12, s21, s29
	s_sub_i32 s3, s3, s12
	s_delay_alu instid0(SALU_CYCLE_1) | instskip(NEXT) | instid1(SALU_CYCLE_1)
	s_mul_hi_u32 s12, s3, s30
	s_add_i32 s12, s3, s12
	s_delay_alu instid0(SALU_CYCLE_1)
	s_lshr_b32 s12, s12, s31
	s_waitcnt lgkmcnt(0)
	s_mul_i32 s2, s12, s2
	s_lshl_b32 s23, s12, 2
	s_sub_i32 s2, s3, s2
	s_mov_b32 s12, 0
	s_mul_hi_u32 s3, s2, s8
	s_delay_alu instid0(SALU_CYCLE_1) | instskip(NEXT) | instid1(SALU_CYCLE_1)
	s_add_i32 s2, s2, s3
	s_lshr_b32 s22, s2, s9
	s_delay_alu instid0(SALU_CYCLE_1) | instskip(NEXT) | instid1(SALU_CYCLE_1)
	s_lshl_b32 s2, s22, 1
	s_add_i32 s2, s2, s14
	s_delay_alu instid0(SALU_CYCLE_1) | instskip(SKIP_2) | instid1(SALU_CYCLE_1)
	s_cmp_lt_i32 s2, s4
	s_cselect_b32 s2, -1, 0
	s_add_i32 s3, s23, s15
	s_cmp_lt_i32 s3, s6
	s_cselect_b32 s3, -1, 0
	s_delay_alu instid0(SALU_CYCLE_1) | instskip(NEXT) | instid1(SALU_CYCLE_1)
	s_and_b32 s2, s2, s3
	s_and_not1_b32 vcc_lo, exec_lo, s2
	s_cbranch_vccnz .LBB29_24
; %bb.8:
	s_load_b128 s[0:3], s[0:1], 0x0
	s_lshl_b32 s18, s20, 5
	s_mov_b32 s19, s12
	s_lshl_b32 s24, s14, 2
	s_lshl_b64 s[18:19], s[18:19], 2
	s_mul_i32 s4, s17, s4
	s_add_i32 s17, s24, s15
	s_mul_i32 s21, s21, s6
	v_cvt_f32_ubyte0_e32 v4, 0
	v_cvt_f32_u32_e32 v5, s20
	s_waitcnt lgkmcnt(0)
	s_add_u32 s18, s2, s18
	s_addc_u32 s19, s3, s19
	s_add_i32 s4, s4, s14
	s_delay_alu instid0(SALU_CYCLE_1) | instskip(SKIP_4) | instid1(SALU_CYCLE_1)
	s_mul_i32 s4, s4, s5
	s_mul_i32 s5, s5, s22
	s_add_i32 s4, s4, s15
	s_lshl_b32 s5, s5, 8
	s_add_i32 s4, s4, s21
	s_add_i32 s4, s4, s23
	s_delay_alu instid0(SALU_CYCLE_1) | instskip(NEXT) | instid1(SALU_CYCLE_1)
	s_lshl_b32 s4, s4, 7
	s_add_i32 s5, s5, s4
	s_delay_alu instid0(SALU_CYCLE_1) | instskip(SKIP_1) | instid1(VALU_DEP_2)
	v_or_b32_e32 v1, s5, v0
	v_lshl_or_b32 v0, s17, 7, v0
	v_ashrrev_i32_e32 v2, 31, v1
	s_delay_alu instid0(VALU_DEP_1) | instskip(NEXT) | instid1(VALU_DEP_1)
	v_lshlrev_b64 v[1:2], 2, v[1:2]
	v_add_co_u32 v1, vcc_lo, s0, v1
	s_delay_alu instid0(VALU_DEP_2) | instskip(SKIP_1) | instid1(SALU_CYCLE_1)
	v_add_co_ci_u32_e32 v2, vcc_lo, s1, v2, vcc_lo
	s_lshl_b32 s0, s13, 3
	s_add_i32 s0, s17, s0
	global_load_b32 v3, v[1:2], off
	s_ashr_i32 s1, s0, 31
	s_delay_alu instid0(SALU_CYCLE_1) | instskip(NEXT) | instid1(SALU_CYCLE_1)
	s_lshl_b64 s[0:1], s[0:1], 3
	s_add_u32 s0, s2, s0
	s_addc_u32 s1, s3, s1
	s_add_i32 s14, s13, -1
	s_load_b64 s[0:1], s[0:1], 0x0
	v_fmac_f32_e32 v5, 0x4f800000, v4
	s_sub_i32 s6, 0, s20
	s_waitcnt lgkmcnt(0)
	v_mov_b32_e32 v8, s0
	s_delay_alu instid0(VALU_DEP_2) | instskip(SKIP_2) | instid1(VALU_DEP_2)
	v_rcp_f32_e32 v4, v5
	v_cvt_f32_u32_e32 v5, s20
	v_mov_b32_e32 v7, s1
	v_rcp_iflag_f32_e32 v5, v5
	s_waitcnt_depctr 0xfff
	v_mul_f32_e32 v4, 0x5f7ffffc, v4
	s_delay_alu instid0(VALU_DEP_1) | instskip(SKIP_1) | instid1(VALU_DEP_2)
	v_mul_f32_e32 v6, 0x2f800000, v4
	v_mul_f32_e32 v9, 0x4f7ffffe, v5
	v_trunc_f32_e32 v6, v6
	s_delay_alu instid0(VALU_DEP_1) | instskip(SKIP_1) | instid1(VALU_DEP_4)
	v_fmac_f32_e32 v4, 0xcf800000, v6
	v_cvt_u32_f32_e32 v5, v6
	v_cvt_u32_f32_e32 v6, v9
	s_delay_alu instid0(VALU_DEP_3)
	v_cvt_u32_f32_e32 v4, v4
.LBB29_9:                               ; =>This Inner Loop Header: Depth=1
	s_mul_hi_i32 s13, s14, s7
	s_mul_i32 s4, s14, s7
	s_cmp_lg_u64 s[12:13], 0
	s_mov_b32 s5, -1
                                        ; implicit-def: $sgpr0_sgpr1
	s_cbranch_scc0 .LBB29_11
; %bb.10:                               ;   in Loop: Header=BB29_9 Depth=1
	v_readfirstlane_b32 s0, v4
	v_readfirstlane_b32 s1, v5
	s_sub_u32 s5, 0, s20
	s_subb_u32 s15, 0, 0
	s_delay_alu instid0(VALU_DEP_2) | instskip(NEXT) | instid1(VALU_DEP_1)
	s_mul_hi_u32 s21, s5, s0
	s_mul_i32 s22, s5, s1
	s_mul_i32 s23, s15, s0
	s_add_i32 s21, s21, s22
	s_mul_i32 s22, s5, s0
	s_add_i32 s21, s21, s23
	s_mul_hi_u32 s23, s0, s22
	s_mul_i32 s24, s0, s21
	s_mul_hi_u32 s0, s0, s21
	s_add_u32 s23, s23, s24
	s_mul_i32 s25, s1, s22
	s_addc_u32 s0, 0, s0
	s_mul_hi_u32 s22, s1, s22
	s_mul_hi_u32 s24, s1, s21
	s_add_u32 s23, s23, s25
	s_addc_u32 s0, s0, s22
	s_mul_i32 s21, s1, s21
	s_addc_u32 s22, s24, 0
	s_add_u32 s0, s0, s21
	s_addc_u32 s21, 0, s22
	v_add_co_u32 v9, s0, v4, s0
	s_delay_alu instid0(VALU_DEP_1) | instskip(SKIP_1) | instid1(VALU_DEP_1)
	s_cmp_lg_u32 s0, 0
	s_addc_u32 s1, s1, s21
	v_readfirstlane_b32 s0, v9
	s_mul_i32 s21, s5, s1
	s_delay_alu instid0(VALU_DEP_1)
	s_mul_hi_u32 s22, s5, s0
	s_mul_i32 s15, s15, s0
	s_add_i32 s21, s22, s21
	s_mul_i32 s5, s5, s0
	s_add_i32 s21, s21, s15
	s_mul_hi_u32 s15, s1, s5
	s_mul_i32 s23, s1, s5
	s_mul_i32 s24, s0, s21
	s_mul_hi_u32 s5, s0, s5
	s_mul_hi_u32 s0, s0, s21
	s_add_u32 s5, s5, s24
	s_addc_u32 s0, 0, s0
	s_mul_hi_u32 s22, s1, s21
	s_add_u32 s5, s5, s23
	s_addc_u32 s0, s0, s15
	s_mul_i32 s5, s1, s21
	s_addc_u32 s15, s22, 0
	s_add_u32 s0, s0, s5
	s_addc_u32 s5, 0, s15
	v_add_co_u32 v9, s0, v9, s0
	s_delay_alu instid0(VALU_DEP_1) | instskip(SKIP_2) | instid1(SALU_CYCLE_1)
	s_cmp_lg_u32 s0, 0
	s_addc_u32 s5, s1, s5
	s_ashr_i32 s0, s13, 31
	s_add_u32 s22, s4, s0
	s_addc_u32 s23, s13, s0
	v_readfirstlane_b32 s13, v9
	s_mov_b32 s1, s0
	s_delay_alu instid0(SALU_CYCLE_1) | instskip(NEXT) | instid1(SALU_CYCLE_1)
	s_xor_b64 s[22:23], s[22:23], s[0:1]
	s_mul_i32 s15, s22, s5
	s_delay_alu instid0(VALU_DEP_1)
	s_mul_hi_u32 s21, s22, s13
	s_mul_hi_u32 s24, s22, s5
	s_add_u32 s15, s21, s15
	s_mul_i32 s25, s23, s13
	s_addc_u32 s21, 0, s24
	s_mul_hi_u32 s13, s23, s13
	s_mul_hi_u32 s24, s23, s5
	s_add_u32 s15, s15, s25
	s_addc_u32 s13, s21, s13
	s_mul_i32 s5, s23, s5
	s_addc_u32 s15, s24, 0
	s_add_u32 s5, s13, s5
	s_addc_u32 s13, 0, s15
	s_mul_i32 s21, s20, s5
	s_add_u32 s15, s5, 1
	v_sub_co_u32 v9, s21, s22, s21
	s_addc_u32 s22, s13, 0
	s_mul_i32 s25, s20, s13
	s_mul_hi_u32 s27, s20, s5
	s_delay_alu instid0(VALU_DEP_1)
	v_sub_co_u32 v10, s26, v9, s20
	s_add_u32 s24, s5, 2
	s_addc_u32 s28, s13, 0
	s_add_i32 s27, s27, s25
	s_cmp_lg_u32 s21, 0
	v_readfirstlane_b32 s21, v10
	s_subb_u32 s23, s23, s27
	s_cmp_lg_u32 s26, 0
	s_subb_u32 s25, s23, 0
	s_delay_alu instid0(VALU_DEP_1) | instskip(SKIP_4) | instid1(SALU_CYCLE_1)
	s_cmp_ge_u32 s21, s20
	s_cselect_b32 s21, -1, 0
	s_cmp_eq_u32 s25, 0
	v_readfirstlane_b32 s25, v9
	s_cselect_b32 s21, s21, -1
	s_cmp_lg_u32 s21, 0
	s_cselect_b32 s15, s24, s15
	s_cselect_b32 s21, s28, s22
	s_cmp_ge_u32 s25, s20
	s_cselect_b32 s22, -1, 0
	s_cmp_eq_u32 s23, 0
	s_cselect_b32 s22, s22, -1
	s_delay_alu instid0(SALU_CYCLE_1) | instskip(SKIP_4) | instid1(SALU_CYCLE_1)
	s_cmp_lg_u32 s22, 0
	s_cselect_b32 s23, s21, s13
	s_cselect_b32 s22, s15, s5
	s_mov_b32 s5, 0
	s_xor_b64 s[22:23], s[22:23], s[0:1]
	s_sub_u32 s0, s22, s0
.LBB29_11:                              ;   in Loop: Header=BB29_9 Depth=1
	s_and_not1_b32 vcc_lo, exec_lo, s5
	s_cbranch_vccnz .LBB29_13
; %bb.12:                               ;   in Loop: Header=BB29_9 Depth=1
	v_readfirstlane_b32 s0, v6
	s_delay_alu instid0(VALU_DEP_1) | instskip(NEXT) | instid1(SALU_CYCLE_1)
	s_mul_i32 s1, s6, s0
	s_mul_hi_u32 s1, s0, s1
	s_delay_alu instid0(SALU_CYCLE_1) | instskip(NEXT) | instid1(SALU_CYCLE_1)
	s_add_i32 s0, s0, s1
	s_mul_hi_u32 s0, s4, s0
	s_delay_alu instid0(SALU_CYCLE_1) | instskip(NEXT) | instid1(SALU_CYCLE_1)
	s_mul_i32 s1, s0, s20
	s_sub_i32 s1, s4, s1
	s_add_i32 s4, s0, 1
	s_sub_i32 s5, s1, s20
	s_cmp_ge_u32 s1, s20
	s_cselect_b32 s0, s4, s0
	s_cselect_b32 s1, s5, s1
	s_add_i32 s4, s0, 1
	s_cmp_ge_u32 s1, s20
	s_cselect_b32 s0, s4, s0
.LBB29_13:                              ;   in Loop: Header=BB29_9 Depth=1
	s_delay_alu instid0(SALU_CYCLE_1)
	s_cmp_lg_u32 s16, s0
	s_cbranch_scc0 .LBB29_17
; %bb.14:                               ;   in Loop: Header=BB29_9 Depth=1
	s_add_i32 s1, s14, s20
	s_mov_b32 s5, s12
	s_lshl_b32 s1, s1, 3
	s_mov_b32 s15, s16
	s_add_i32 s4, s1, s17
	s_mul_hi_u32 s1, s0, s8
	s_lshl_b64 s[4:5], s[4:5], 3
	s_delay_alu instid0(SALU_CYCLE_1) | instskip(SKIP_2) | instid1(SALU_CYCLE_1)
	s_add_u32 s4, s2, s4
	s_addc_u32 s5, s3, s5
	s_add_i32 s1, s1, s0
	s_lshr_b32 s1, s1, s9
	s_delay_alu instid0(SALU_CYCLE_1) | instskip(NEXT) | instid1(SALU_CYCLE_1)
	s_mul_i32 s13, s1, s10
	s_cmp_eq_u32 s13, s0
	s_cselect_b32 s13, -1, 0
	s_cmp_lt_u32 s1, s11
	s_cselect_b32 s1, -1, 0
	s_delay_alu instid0(SALU_CYCLE_1)
	s_or_b32 s1, s1, s13
	s_mov_b32 s13, -1
	s_and_b32 vcc_lo, exec_lo, s1
	s_mov_b32 s1, s14
	s_cbranch_vccnz .LBB29_16
; %bb.15:                               ;   in Loop: Header=BB29_9 Depth=1
	s_add_i32 s1, s14, -1
	s_mov_b32 s13, 0
	s_mov_b32 s15, s0
.LBB29_16:                              ;   in Loop: Header=BB29_9 Depth=1
	v_lshl_add_u32 v9, s14, 10, v0
	s_load_b64 s[4:5], s[4:5], 0x0
	s_delay_alu instid0(VALU_DEP_1) | instskip(NEXT) | instid1(VALU_DEP_1)
	v_ashrrev_i32_e32 v10, 31, v9
	v_lshlrev_b64 v[9:10], 2, v[9:10]
	s_delay_alu instid0(VALU_DEP_1) | instskip(NEXT) | instid1(VALU_DEP_2)
	v_add_co_u32 v9, vcc_lo, s18, v9
	v_add_co_ci_u32_e32 v10, vcc_lo, s19, v10, vcc_lo
	s_waitcnt lgkmcnt(0)
	v_max_f32_e64 v11, s4, s4
	global_load_b32 v10, v[9:10], off
	v_max_f32_e32 v9, v8, v8
	s_delay_alu instid0(VALU_DEP_1) | instskip(NEXT) | instid1(VALU_DEP_1)
	v_max_f32_e32 v9, v9, v11
	v_sub_f32_e32 v12, v8, v9
	s_delay_alu instid0(VALU_DEP_1) | instskip(NEXT) | instid1(VALU_DEP_1)
	v_dual_mul_f32 v14, 0x3fb8aa3b, v12 :: v_dual_sub_f32 v11, s4, v9
	v_rndne_f32_e32 v18, v14
	s_delay_alu instid0(VALU_DEP_2) | instskip(SKIP_2) | instid1(VALU_DEP_4)
	v_mul_f32_e32 v13, 0x3fb8aa3b, v11
	v_fma_f32 v17, 0x3fb8aa3b, v12, -v14
	v_cmp_ngt_f32_e32 vcc_lo, 0xc2ce8ed0, v11
	v_sub_f32_e32 v14, v14, v18
	s_delay_alu instid0(VALU_DEP_4) | instskip(SKIP_2) | instid1(VALU_DEP_3)
	v_fma_f32 v15, 0x3fb8aa3b, v11, -v13
	v_rndne_f32_e32 v16, v13
	v_fmac_f32_e32 v17, 0x32a5705f, v12
	v_fmac_f32_e32 v15, 0x32a5705f, v11
	s_delay_alu instid0(VALU_DEP_2) | instskip(NEXT) | instid1(VALU_DEP_1)
	v_dual_sub_f32 v13, v13, v16 :: v_dual_add_f32 v14, v14, v17
	v_add_f32_e32 v13, v13, v15
	s_delay_alu instid0(VALU_DEP_2) | instskip(SKIP_2) | instid1(VALU_DEP_3)
	v_exp_f32_e32 v14, v14
	v_cvt_i32_f32_e32 v15, v16
	v_cvt_i32_f32_e32 v16, v18
	v_exp_f32_e32 v13, v13
	s_waitcnt_depctr 0xfff
	v_ldexp_f32 v14, v14, v16
	v_ldexp_f32 v13, v13, v15
	s_delay_alu instid0(VALU_DEP_1) | instskip(SKIP_1) | instid1(VALU_DEP_4)
	v_cndmask_b32_e32 v13, 0, v13, vcc_lo
	v_cmp_ngt_f32_e32 vcc_lo, 0xc2ce8ed0, v12
	v_cndmask_b32_e32 v14, 0, v14, vcc_lo
	v_cmp_nlt_f32_e32 vcc_lo, 0x42b17218, v11
	s_delay_alu instid0(VALU_DEP_4) | instskip(SKIP_1) | instid1(VALU_DEP_4)
	v_cndmask_b32_e32 v13, 0x7f800000, v13, vcc_lo
	v_cmp_nlt_f32_e32 vcc_lo, 0x42b17218, v12
	v_cndmask_b32_e32 v14, 0x7f800000, v14, vcc_lo
	v_cmp_le_f32_e32 vcc_lo, 0xc1a00000, v11
	s_delay_alu instid0(VALU_DEP_4) | instskip(SKIP_1) | instid1(VALU_DEP_4)
	v_cndmask_b32_e32 v11, 0, v13, vcc_lo
	v_cmp_le_f32_e32 vcc_lo, 0xc1a00000, v12
	v_cndmask_b32_e32 v12, 0, v14, vcc_lo
	s_waitcnt vmcnt(0)
	s_delay_alu instid0(VALU_DEP_3) | instskip(NEXT) | instid1(VALU_DEP_1)
	v_mul_f32_e32 v10, v10, v11
	v_dual_mul_f32 v11, s5, v11 :: v_dual_fmac_f32 v10, v3, v12
	s_delay_alu instid0(VALU_DEP_1)
	v_fmac_f32_e32 v11, v7, v12
	s_cbranch_execz .LBB29_18
	s_branch .LBB29_19
.LBB29_17:                              ;   in Loop: Header=BB29_9 Depth=1
                                        ; implicit-def: $sgpr13
                                        ; implicit-def: $vgpr10
                                        ; implicit-def: $vgpr9
                                        ; implicit-def: $vgpr11
                                        ; implicit-def: $sgpr1
                                        ; implicit-def: $sgpr15
.LBB29_18:                              ;   in Loop: Header=BB29_9 Depth=1
	v_mov_b32_e32 v11, v7
	s_waitcnt vmcnt(0)
	v_dual_mov_b32 v9, v8 :: v_dual_mov_b32 v10, v3
	s_add_i32 s1, s14, -1
	s_mov_b32 s13, 0
	s_mov_b32 s15, s16
.LBB29_19:                              ;   in Loop: Header=BB29_9 Depth=1
	s_and_not1_b32 vcc_lo, exec_lo, s13
	s_cbranch_vccz .LBB29_23
; %bb.20:                               ;   in Loop: Header=BB29_9 Depth=1
	v_dual_mov_b32 v7, v11 :: v_dual_mov_b32 v8, v9
	s_waitcnt vmcnt(0)
	v_mov_b32_e32 v3, v10
	s_mov_b32 s16, s15
	s_mov_b32 s14, s1
	s_branch .LBB29_9
.LBB29_21:
                                        ; implicit-def: $sgpr16_sgpr17
	s_load_b128 s[8:11], s[0:1], 0x44
	s_branch .LBB29_2
.LBB29_22:
                                        ; implicit-def: $sgpr18_sgpr19
	s_branch .LBB29_5
.LBB29_23:
	v_div_scale_f32 v0, null, v11, v11, v10
	s_waitcnt vmcnt(0)
	s_delay_alu instid0(VALU_DEP_1) | instskip(SKIP_2) | instid1(VALU_DEP_1)
	v_rcp_f32_e32 v3, v0
	s_waitcnt_depctr 0xfff
	v_fma_f32 v4, -v0, v3, 1.0
	v_fmac_f32_e32 v3, v4, v3
	v_div_scale_f32 v4, vcc_lo, v10, v11, v10
	s_delay_alu instid0(VALU_DEP_1) | instskip(NEXT) | instid1(VALU_DEP_1)
	v_mul_f32_e32 v5, v4, v3
	v_fma_f32 v6, -v0, v5, v4
	s_delay_alu instid0(VALU_DEP_1) | instskip(NEXT) | instid1(VALU_DEP_1)
	v_fmac_f32_e32 v5, v6, v3
	v_fma_f32 v0, -v0, v5, v4
	s_delay_alu instid0(VALU_DEP_1) | instskip(NEXT) | instid1(VALU_DEP_1)
	v_div_fmas_f32 v0, v0, v3, v5
	v_div_fixup_f32 v0, v0, v11, v10
	global_store_b32 v[1:2], v0, off
.LBB29_24:
	s_nop 0
	s_sendmsg sendmsg(MSG_DEALLOC_VGPRS)
	s_endpgm
	.section	.rodata,"a",@progbits
	.p2align	6, 0x0
	.amdhsa_kernel _ZL33flash_attn_stream_k_fixup_generalILi128ELi2ELi4EEvPfPK15HIP_vector_typeIfLj2EEiiiiS1_IjLj3EES5_S5_S5_
		.amdhsa_group_segment_fixed_size 0
		.amdhsa_private_segment_fixed_size 0
		.amdhsa_kernarg_size 336
		.amdhsa_user_sgpr_count 13
		.amdhsa_user_sgpr_dispatch_ptr 0
		.amdhsa_user_sgpr_queue_ptr 0
		.amdhsa_user_sgpr_kernarg_segment_ptr 1
		.amdhsa_user_sgpr_dispatch_id 0
		.amdhsa_user_sgpr_private_segment_size 0
		.amdhsa_wavefront_size32 1
		.amdhsa_uses_dynamic_stack 0
		.amdhsa_enable_private_segment 0
		.amdhsa_system_sgpr_workgroup_id_x 1
		.amdhsa_system_sgpr_workgroup_id_y 1
		.amdhsa_system_sgpr_workgroup_id_z 1
		.amdhsa_system_sgpr_workgroup_info 0
		.amdhsa_system_vgpr_workitem_id 0
		.amdhsa_next_free_vgpr 19
		.amdhsa_next_free_sgpr 32
		.amdhsa_reserve_vcc 1
		.amdhsa_float_round_mode_32 0
		.amdhsa_float_round_mode_16_64 0
		.amdhsa_float_denorm_mode_32 3
		.amdhsa_float_denorm_mode_16_64 3
		.amdhsa_dx10_clamp 1
		.amdhsa_ieee_mode 1
		.amdhsa_fp16_overflow 0
		.amdhsa_workgroup_processor_mode 1
		.amdhsa_memory_ordered 1
		.amdhsa_forward_progress 0
		.amdhsa_shared_vgpr_count 0
		.amdhsa_exception_fp_ieee_invalid_op 0
		.amdhsa_exception_fp_denorm_src 0
		.amdhsa_exception_fp_ieee_div_zero 0
		.amdhsa_exception_fp_ieee_overflow 0
		.amdhsa_exception_fp_ieee_underflow 0
		.amdhsa_exception_fp_ieee_inexact 0
		.amdhsa_exception_int_div_zero 0
	.end_amdhsa_kernel
	.section	.text._ZL33flash_attn_stream_k_fixup_generalILi128ELi2ELi4EEvPfPK15HIP_vector_typeIfLj2EEiiiiS1_IjLj3EES5_S5_S5_,"axG",@progbits,_ZL33flash_attn_stream_k_fixup_generalILi128ELi2ELi4EEvPfPK15HIP_vector_typeIfLj2EEiiiiS1_IjLj3EES5_S5_S5_,comdat
.Lfunc_end29:
	.size	_ZL33flash_attn_stream_k_fixup_generalILi128ELi2ELi4EEvPfPK15HIP_vector_typeIfLj2EEiiiiS1_IjLj3EES5_S5_S5_, .Lfunc_end29-_ZL33flash_attn_stream_k_fixup_generalILi128ELi2ELi4EEvPfPK15HIP_vector_typeIfLj2EEiiiiS1_IjLj3EES5_S5_S5_
                                        ; -- End function
	.section	.AMDGPU.csdata,"",@progbits
; Kernel info:
; codeLenInByte = 3224
; NumSgprs: 34
; NumVgprs: 19
; ScratchSize: 0
; MemoryBound: 0
; FloatMode: 240
; IeeeMode: 1
; LDSByteSize: 0 bytes/workgroup (compile time only)
; SGPRBlocks: 4
; VGPRBlocks: 2
; NumSGPRsForWavesPerEU: 34
; NumVGPRsForWavesPerEU: 19
; Occupancy: 16
; WaveLimiterHint : 0
; COMPUTE_PGM_RSRC2:SCRATCH_EN: 0
; COMPUTE_PGM_RSRC2:USER_SGPR: 13
; COMPUTE_PGM_RSRC2:TRAP_HANDLER: 0
; COMPUTE_PGM_RSRC2:TGID_X_EN: 1
; COMPUTE_PGM_RSRC2:TGID_Y_EN: 1
; COMPUTE_PGM_RSRC2:TGID_Z_EN: 1
; COMPUTE_PGM_RSRC2:TIDIG_COMP_CNT: 0
	.section	.text._ZL15flash_attn_tileILi128ELi128ELi1ELi4ELb0EEvPKcS1_S1_S1_S1_PKiPfP15HIP_vector_typeIfLj2EEffffjfiS5_IjLj3EEiiiiiiiiiiiliiliiiiil,"axG",@progbits,_ZL15flash_attn_tileILi128ELi128ELi1ELi4ELb0EEvPKcS1_S1_S1_S1_PKiPfP15HIP_vector_typeIfLj2EEffffjfiS5_IjLj3EEiiiiiiiiiiiliiliiiiil,comdat
	.globl	_ZL15flash_attn_tileILi128ELi128ELi1ELi4ELb0EEvPKcS1_S1_S1_S1_PKiPfP15HIP_vector_typeIfLj2EEffffjfiS5_IjLj3EEiiiiiiiiiiiliiliiiiil ; -- Begin function _ZL15flash_attn_tileILi128ELi128ELi1ELi4ELb0EEvPKcS1_S1_S1_S1_PKiPfP15HIP_vector_typeIfLj2EEffffjfiS5_IjLj3EEiiiiiiiiiiiliiliiiiil
	.p2align	8
	.type	_ZL15flash_attn_tileILi128ELi128ELi1ELi4ELb0EEvPKcS1_S1_S1_S1_PKiPfP15HIP_vector_typeIfLj2EEffffjfiS5_IjLj3EEiiiiiiiiiiiliiliiiiil,@function
_ZL15flash_attn_tileILi128ELi128ELi1ELi4ELb0EEvPKcS1_S1_S1_S1_PKiPfP15HIP_vector_typeIfLj2EEffffjfiS5_IjLj3EEiiiiiiiiiiiliiliiiiil: ; @_ZL15flash_attn_tileILi128ELi128ELi1ELi4ELb0EEvPKcS1_S1_S1_S1_PKiPfP15HIP_vector_typeIfLj2EEffffjfiS5_IjLj3EEiiiiiiiiiiiliiliiiiil
; %bb.0:
	s_clause 0x1
	s_load_b128 s[8:11], s[0:1], 0x5c
	s_load_b64 s[34:35], s[0:1], 0x80
	s_mov_b64 s[36:37], 0
	s_waitcnt lgkmcnt(0)
	s_ashr_i32 s2, s11, 31
	s_delay_alu instid0(SALU_CYCLE_1) | instskip(NEXT) | instid1(SALU_CYCLE_1)
	s_lshr_b32 s2, s2, 30
	s_add_i32 s2, s11, s2
	s_delay_alu instid0(SALU_CYCLE_1) | instskip(NEXT) | instid1(SALU_CYCLE_1)
	s_ashr_i32 s2, s2, 2
	v_cvt_f32_u32_e32 v1, s2
	s_sub_i32 s4, 0, s2
	s_delay_alu instid0(VALU_DEP_1) | instskip(SKIP_2) | instid1(VALU_DEP_1)
	v_rcp_iflag_f32_e32 v1, v1
	s_waitcnt_depctr 0xfff
	v_mul_f32_e32 v1, 0x4f7ffffe, v1
	v_cvt_u32_f32_e32 v1, v1
	s_delay_alu instid0(VALU_DEP_1) | instskip(NEXT) | instid1(VALU_DEP_1)
	v_readfirstlane_b32 s3, v1
	s_mul_i32 s4, s4, s3
	s_delay_alu instid0(SALU_CYCLE_1) | instskip(NEXT) | instid1(SALU_CYCLE_1)
	s_mul_hi_u32 s4, s3, s4
	s_add_i32 s3, s3, s4
	s_delay_alu instid0(SALU_CYCLE_1) | instskip(NEXT) | instid1(SALU_CYCLE_1)
	s_mul_hi_u32 s3, s15, s3
	s_mul_i32 s4, s3, s2
	s_add_i32 s5, s3, 1
	s_sub_i32 s4, s15, s4
	s_delay_alu instid0(SALU_CYCLE_1)
	s_sub_i32 s6, s4, s2
	s_cmp_ge_u32 s4, s2
	s_cselect_b32 s3, s5, s3
	s_cselect_b32 s4, s6, s4
	s_add_i32 s5, s3, 1
	s_cmp_ge_u32 s4, s2
	s_cselect_b32 s12, s5, s3
	s_abs_i32 s2, s35
	s_abs_i32 s7, s11
	v_cvt_f32_u32_e32 v1, s2
	s_sub_i32 s4, 0, s2
	s_lshl_b32 s5, s15, 2
	s_mul_i32 s6, s12, s11
	s_delay_alu instid0(VALU_DEP_1) | instskip(SKIP_3) | instid1(VALU_DEP_1)
	v_rcp_iflag_f32_e32 v1, v1
	s_sub_i32 s15, s5, s6
	s_waitcnt_depctr 0xfff
	v_mul_f32_e32 v1, 0x4f7ffffe, v1
	v_cvt_u32_f32_e32 v1, v1
	s_delay_alu instid0(VALU_DEP_1) | instskip(NEXT) | instid1(VALU_DEP_1)
	v_readfirstlane_b32 s3, v1
	s_mul_i32 s4, s4, s3
	s_delay_alu instid0(SALU_CYCLE_1) | instskip(NEXT) | instid1(SALU_CYCLE_1)
	s_mul_hi_u32 s4, s3, s4
	s_add_i32 s3, s3, s4
	s_xor_b32 s4, s11, s35
	s_mul_hi_u32 s3, s7, s3
	s_ashr_i32 s4, s4, 31
	s_mul_i32 s5, s3, s2
	s_add_i32 s6, s3, 1
	s_sub_i32 s5, s7, s5
	s_delay_alu instid0(SALU_CYCLE_1)
	s_sub_i32 s7, s5, s2
	s_cmp_ge_u32 s5, s2
	s_cselect_b32 s3, s6, s3
	s_cselect_b32 s5, s7, s5
	s_add_i32 s6, s3, 1
	s_cmp_ge_u32 s5, s2
	s_cselect_b32 s2, s6, s3
	s_delay_alu instid0(SALU_CYCLE_1) | instskip(NEXT) | instid1(SALU_CYCLE_1)
	s_xor_b32 s2, s2, s4
	s_sub_i32 s35, s2, s4
	s_clause 0x1
	s_load_b512 s[16:31], s[0:1], 0x0
	s_load_b64 s[2:3], s[0:1], 0xb8
	s_abs_i32 s33, s35
	s_delay_alu instid0(SALU_CYCLE_1) | instskip(NEXT) | instid1(VALU_DEP_1)
	v_cvt_f32_u32_e32 v1, s33
	v_rcp_iflag_f32_e32 v1, v1
	s_waitcnt_depctr 0xfff
	v_mul_f32_e32 v1, 0x4f7ffffe, v1
	s_waitcnt lgkmcnt(0)
	s_cmp_eq_u64 s[22:23], 0
	s_delay_alu instid0(VALU_DEP_1) | instskip(NEXT) | instid1(VALU_DEP_1)
	v_cvt_u32_f32_e32 v1, v1
	v_readfirstlane_b32 s38, v1
	s_cbranch_scc1 .LBB30_2
; %bb.1:
	s_abs_i32 s2, s2
	s_abs_i32 s6, s12
	v_cvt_f32_u32_e32 v1, s2
	s_sub_i32 s5, 0, s2
	s_delay_alu instid0(VALU_DEP_1) | instskip(SKIP_2) | instid1(VALU_DEP_1)
	v_rcp_iflag_f32_e32 v1, v1
	s_waitcnt_depctr 0xfff
	v_mul_f32_e32 v1, 0x4f7ffffe, v1
	v_cvt_u32_f32_e32 v1, v1
	s_delay_alu instid0(VALU_DEP_1) | instskip(NEXT) | instid1(VALU_DEP_1)
	v_readfirstlane_b32 s4, v1
	s_mul_i32 s5, s5, s4
	s_delay_alu instid0(SALU_CYCLE_1) | instskip(NEXT) | instid1(SALU_CYCLE_1)
	s_mul_hi_u32 s5, s4, s5
	s_add_i32 s7, s4, s5
	s_load_b64 s[4:5], s[0:1], 0xc8
	s_mul_hi_u32 s7, s6, s7
	s_delay_alu instid0(SALU_CYCLE_1) | instskip(NEXT) | instid1(SALU_CYCLE_1)
	s_mul_i32 s7, s7, s2
	s_sub_i32 s6, s6, s7
	s_ashr_i32 s7, s12, 31
	s_sub_i32 s36, s6, s2
	s_cmp_ge_u32 s6, s2
	s_cselect_b32 s6, s36, s6
	s_delay_alu instid0(SALU_CYCLE_1) | instskip(SKIP_2) | instid1(SALU_CYCLE_1)
	s_sub_i32 s36, s6, s2
	s_cmp_ge_u32 s6, s2
	s_cselect_b32 s2, s36, s6
	s_xor_b32 s2, s2, s7
	s_delay_alu instid0(SALU_CYCLE_1)
	s_sub_i32 s2, s2, s7
	s_waitcnt lgkmcnt(0)
	s_mul_i32 s5, s2, s5
	s_mul_hi_u32 s6, s2, s4
	s_ashr_i32 s7, s2, 31
	s_add_i32 s5, s6, s5
	s_mul_i32 s7, s7, s4
	s_mul_i32 s2, s2, s4
	s_add_i32 s5, s5, s7
	s_add_u32 s36, s22, s2
	s_addc_u32 s37, s23, s5
.LBB30_2:
	v_bfe_u32 v2, v0, 10, 10
	s_load_b128 s[4:7], s[0:1], 0x70
	v_and_b32_e32 v0, 0x3ff, v0
	s_delay_alu instid0(VALU_DEP_2) | instskip(SKIP_1) | instid1(VALU_DEP_3)
	v_lshrrev_b32_e32 v1, 2, v2
	v_and_b32_e32 v20, 3, v2
	v_lshlrev_b32_e32 v11, 1, v0
	s_delay_alu instid0(VALU_DEP_3) | instskip(NEXT) | instid1(VALU_DEP_1)
	v_add_nc_u32_e32 v1, s13, v1
	v_mul_hi_u32 v3, s8, v1
	s_waitcnt lgkmcnt(0)
	s_mul_i32 s2, s12, s6
	s_mul_i32 s6, s15, s5
	s_delay_alu instid0(VALU_DEP_1)
	v_add_nc_u32_e32 v3, v1, v3
	s_ashr_i32 s7, s2, 31
	s_add_u32 s2, s16, s2
	s_addc_u32 s7, s17, s7
	s_ashr_i32 s8, s6, 31
	v_lshrrev_b32_e32 v3, s9, v3
	s_add_u32 s2, s2, s6
	s_addc_u32 s6, s7, s8
	s_ashr_i32 s7, s5, 31
	s_ashr_i32 s8, s4, 31
	v_mul_lo_u32 v3, v3, s10
	v_alignbit_b32 v7, s7, s5, 2
	v_alignbit_b32 v9, s8, s4, 2
	s_lshr_b32 s4, s7, 2
	s_delay_alu instid0(VALU_DEP_2) | instskip(NEXT) | instid1(VALU_DEP_4)
	v_mad_u64_u32 v[5:6], null, v7, v20, 0
	v_sub_nc_u32_e32 v4, v1, v3
	s_delay_alu instid0(VALU_DEP_1) | instskip(NEXT) | instid1(VALU_DEP_1)
	v_mad_u64_u32 v[7:8], null, v9, v4, 0
	v_dual_mov_b32 v3, v6 :: v_dual_mov_b32 v6, v8
	s_delay_alu instid0(VALU_DEP_1) | instskip(SKIP_2) | instid1(VALU_DEP_2)
	v_mad_u64_u32 v[8:9], null, s4, v20, v[3:4]
	s_lshr_b32 s4, s8, 2
	s_cmp_eq_u64 s[26:27], 0
	v_mad_u64_u32 v[9:10], null, s4, v4, v[6:7]
	s_delay_alu instid0(VALU_DEP_2) | instskip(NEXT) | instid1(VALU_DEP_2)
	v_mov_b32_e32 v6, v8
	v_mov_b32_e32 v8, v9
	s_delay_alu instid0(VALU_DEP_2) | instskip(NEXT) | instid1(VALU_DEP_2)
	v_lshlrev_b64 v[5:6], 2, v[5:6]
	v_lshlrev_b64 v[7:8], 2, v[7:8]
	s_delay_alu instid0(VALU_DEP_2) | instskip(NEXT) | instid1(VALU_DEP_3)
	v_add_co_u32 v3, vcc_lo, s2, v5
	v_add_co_ci_u32_e32 v5, vcc_lo, s6, v6, vcc_lo
	v_lshlrev_b32_e32 v6, 4, v0
	s_delay_alu instid0(VALU_DEP_3) | instskip(NEXT) | instid1(VALU_DEP_3)
	v_add_co_u32 v3, vcc_lo, v3, v7
	v_add_co_ci_u32_e32 v7, vcc_lo, v5, v8, vcc_lo
	s_load_b32 s2, s[0:1], 0x40
	s_delay_alu instid0(VALU_DEP_2) | instskip(SKIP_1) | instid1(VALU_DEP_3)
	v_add_co_u32 v5, vcc_lo, v3, v6
	v_lshlrev_b32_e32 v3, 6, v2
	v_add_co_ci_u32_e32 v6, vcc_lo, 0, v7, vcc_lo
	s_delay_alu instid0(VALU_DEP_2) | instskip(SKIP_4) | instid1(VALU_DEP_2)
	v_add_lshl_u32 v3, v3, v11, 2
	global_load_b128 v[5:8], v[5:6], off
	s_waitcnt vmcnt(0) lgkmcnt(0)
	v_fma_mixlo_f16 v10, v7, s2, 0
	v_fma_mixlo_f16 v9, v5, s2, 0
	v_fma_mixhi_f16 v10, v8, s2, 0
	s_delay_alu instid0(VALU_DEP_2)
	v_fma_mixhi_f16 v9, v6, s2, 0
	ds_store_b64 v3, v[9:10] offset:9216
	s_waitcnt lgkmcnt(0)
	s_barrier
	buffer_gl0_inv
	s_cbranch_scc1 .LBB30_4
; %bb.3:
	s_load_b32 s2, s[0:1], 0xd0
	s_mov_b32 s5, 0
	s_waitcnt lgkmcnt(0)
	s_mul_i32 s2, s2, s12
	s_delay_alu instid0(SALU_CYCLE_1) | instskip(NEXT) | instid1(SALU_CYCLE_1)
	s_add_i32 s4, s2, s13
	s_lshl_b64 s[4:5], s[4:5], 2
	s_delay_alu instid0(SALU_CYCLE_1)
	s_add_u32 s4, s26, s4
	s_addc_u32 s5, s27, s5
	s_load_b32 s34, s[4:5], 0x0
.LBB30_4:
	v_mbcnt_lo_u32_b32 v22, -1, 0
	s_lshl_b32 s13, s14, 6
	s_waitcnt lgkmcnt(0)
	s_cmp_lt_i32 s13, s34
	s_cbranch_scc1 .LBB30_6
; %bb.5:
	v_mbcnt_lo_u32_b32 v5, -1, 0
	v_mov_b32_e32 v3, 32
	s_mov_b32 s2, 0
	s_mov_b32 s4, 0xfeffffff
	s_delay_alu instid0(VALU_DEP_2)
	v_xor_b32_e32 v27, 16, v5
	v_xor_b32_e32 v26, 8, v5
	;; [unrolled: 1-line block ×5, first 2 shown]
	s_branch .LBB30_7
.LBB30_6:
	s_mov_b32 s2, -1
                                        ; implicit-def: $sgpr4
                                        ; implicit-def: $vgpr5
                                        ; implicit-def: $vgpr3
                                        ; implicit-def: $vgpr27
                                        ; implicit-def: $vgpr26
                                        ; implicit-def: $vgpr25
                                        ; implicit-def: $vgpr24
                                        ; implicit-def: $vgpr23
.LBB30_7:
	s_delay_alu instid0(SALU_CYCLE_1) | instskip(SKIP_2) | instid1(VALU_DEP_3)
	v_cndmask_b32_e64 v6, 0, 1, s2
	v_dual_mov_b32 v47, s2 :: v_dual_mov_b32 v48, s2
	v_dual_mov_b32 v46, s2 :: v_dual_lshlrev_b32 v21, 2, v0
	v_cmp_ne_u32_e32 vcc_lo, 1, v6
	v_mov_b32_e32 v19, s4
	s_cbranch_vccnz .LBB30_11
; %bb.8:
	s_clause 0x1
	s_load_b128 s[4:7], s[0:1], 0x98
	s_load_b64 s[8:9], s[0:1], 0x8c
	s_sub_i32 s2, 0, s33
	s_abs_i32 s26, s15
	s_mul_i32 s2, s2, s38
	s_ashr_i32 s27, s15, 31
	s_mul_hi_u32 s2, s38, s2
	s_ashr_i32 s35, s35, 31
	s_add_i32 s38, s38, s2
	s_ashr_i32 s2, s3, 1
	s_mul_hi_u32 s3, s26, s38
	s_ashr_i32 s38, s12, 31
	s_load_b64 s[22:23], s[0:1], 0xa8
	s_mul_i32 s39, s3, s33
	v_lshrrev_b32_e32 v3, 3, v0
	v_dual_mov_b32 v46, 0 :: v_dual_and_b32 v23, 28, v21
	v_lshrrev_b32_e32 v8, 4, v0
	v_mov_b32_e32 v19, 0xfeffffff
	s_delay_alu instid0(VALU_DEP_4)
	v_lshl_add_u32 v3, v2, 2, v3
	s_waitcnt lgkmcnt(0)
	s_ashr_i32 s16, s6, 2
	s_mul_i32 s5, s12, s5
	s_mul_hi_u32 s6, s12, s4
	s_ashr_i32 s17, s8, 2
	s_mul_i32 s8, s38, s4
	s_add_i32 s5, s6, s5
	s_mul_i32 s4, s12, s4
	s_add_i32 s5, s5, s8
	s_add_u32 s4, s18, s4
	s_addc_u32 s5, s19, s5
	s_sub_i32 s8, s26, s39
	s_xor_b32 s6, s27, s35
	s_add_i32 s18, s3, 1
	s_sub_i32 s19, s8, s33
	s_cmp_ge_u32 s8, s33
	s_mul_i32 s38, s38, s22
	s_cselect_b32 s3, s18, s3
	s_cselect_b32 s8, s19, s8
	s_add_i32 s18, s3, 1
	s_cmp_ge_u32 s8, s33
	s_mul_i32 s8, s12, s23
	s_cselect_b32 s3, s18, s3
	s_mul_hi_u32 s23, s12, s22
	s_xor_b32 s3, s3, s6
	v_mul_lo_u32 v5, s17, v3
	s_sub_i32 s3, s3, s6
	v_lshlrev_b32_e32 v6, 2, v23
	s_mul_i32 s6, s3, s9
	s_mul_i32 s9, s12, s22
	s_ashr_i32 s19, s6, 31
	s_add_u32 s18, s4, s6
	s_addc_u32 s19, s5, s19
	s_add_i32 s4, s23, s8
	s_mul_i32 s3, s3, s7
	s_add_i32 s4, s4, s38
	s_add_u32 s5, s20, s9
	s_addc_u32 s4, s21, s4
	s_ashr_i32 s6, s3, 31
	s_add_u32 s7, s5, s3
	s_addc_u32 s20, s4, s6
	s_lshl_b32 s3, s17, 4
	v_mad_u32_u24 v28, 0x90, v3, v6
	v_lshl_add_u32 v3, v2, 1, v8
	v_dual_mov_b32 v48, 0 :: v_dual_add_nc_u32 v7, s3, v5
	v_and_b32_e32 v42, 60, v21
	v_ashrrev_i32_e32 v6, 31, v5
	s_delay_alu instid0(VALU_DEP_4) | instskip(NEXT) | instid1(VALU_DEP_4)
	v_mul_lo_u32 v13, s16, v3
	v_add_nc_u32_e32 v9, s3, v7
	v_ashrrev_i32_e32 v8, 31, v7
	v_lshlrev_b32_e32 v14, 2, v42
	v_lshl_add_u32 v34, v2, 7, 0x2800
	v_lshlrev_b32_e32 v40, 3, v0
	v_add_nc_u32_e32 v11, s3, v9
	s_lshl_b32 s3, s16, 3
	v_ashrrev_i32_e32 v10, 31, v9
	v_add_nc_u32_e32 v15, s3, v13
	v_lshl_or_b32 v35, v3, 8, v14
	v_ashrrev_i32_e32 v12, 31, v11
	v_ashrrev_i32_e32 v14, 31, v13
	v_lshl_add_u32 v32, v2, 8, 0x2400
	v_add_nc_u32_e32 v17, s3, v15
	v_ashrrev_i32_e32 v16, 31, v15
	v_mad_u64_u32 v[2:3], null, v4, s2, v[0:1]
	v_lshlrev_b64 v[3:4], 2, v[5:6]
	s_delay_alu instid0(VALU_DEP_4)
	v_add_nc_u32_e32 v43, s3, v17
	v_ashrrev_i32_e32 v18, 31, v17
	v_lshlrev_b64 v[5:6], 2, v[7:8]
	v_lshlrev_b64 v[7:8], 2, v[9:10]
	;; [unrolled: 1-line block ×3, first 2 shown]
	v_ashrrev_i32_e32 v44, 31, v43
	v_lshlrev_b64 v[11:12], 2, v[13:14]
	v_lshlrev_b64 v[13:14], 2, v[15:16]
	;; [unrolled: 1-line block ×3, first 2 shown]
	v_add_nc_u32_e32 v29, 0x900, v28
	v_lshlrev_b64 v[17:18], 2, v[43:44]
	v_dual_mov_b32 v47, 0 :: v_dual_add_nc_u32 v30, 0x1200, v28
	v_add_nc_u32_e32 v31, 0x1b00, v28
	v_mul_u32_u24_e32 v33, 0x90, v0
	v_lshl_add_u32 v36, v0, 1, v34
	v_add_nc_u32_e32 v37, 0x800, v35
	v_add_nc_u32_e32 v38, 0x1000, v35
	v_add_nc_u32_e32 v39, 0x1800, v35
	v_lshlrev_b32_e32 v41, 2, v23
	v_xor_b32_e32 v27, 16, v22
	v_xor_b32_e32 v26, 8, v22
	;; [unrolled: 1-line block ×5, first 2 shown]
	v_lshlrev_b32_e32 v42, 2, v42
	v_add_nc_u32_e32 v43, 0x800, v40
	v_add_nc_u32_e32 v44, 0x1000, v40
	;; [unrolled: 1-line block ×3, first 2 shown]
	s_add_u32 s8, s0, 0xd0
	s_addc_u32 s9, s1, 0
.LBB30_9:                               ; =>This Inner Loop Header: Depth=1
	s_mul_hi_i32 s3, s13, s17
	s_mul_i32 s2, s13, s17
	s_mul_hi_i32 s23, s13, s16
	s_lshl_b64 s[2:3], s[2:3], 2
	s_mul_i32 s22, s13, s16
	s_add_u32 s4, s18, s2
	s_addc_u32 s5, s19, s3
	v_add_co_u32 v49, vcc_lo, s4, v5
	v_add_co_u32 v50, s2, s4, v7
	v_add_co_u32 v51, s3, s4, v9
	;; [unrolled: 1-line block ×3, first 2 shown]
	s_delay_alu instid0(VALU_DEP_1)
	v_add_co_ci_u32_e64 v53, s4, s5, v4, s4
	v_add_co_ci_u32_e32 v54, vcc_lo, s5, v6, vcc_lo
	v_add_co_ci_u32_e64 v55, vcc_lo, s5, v8, s2
	v_add_co_ci_u32_e64 v56, vcc_lo, s5, v10, s3
	v_add_co_u32 v73, s4, v52, v41
	v_add_co_u32 v67, vcc_lo, v49, v41
	v_add_co_u32 v69, s2, v50, v41
	v_add_co_ci_u32_e64 v74, s4, 0, v53, s4
	v_add_co_u32 v71, s3, v51, v41
	v_add_co_ci_u32_e32 v68, vcc_lo, 0, v54, vcc_lo
	v_add_co_ci_u32_e64 v70, vcc_lo, 0, v55, s2
	v_add_co_ci_u32_e64 v72, vcc_lo, 0, v56, s3
	s_clause 0x3
	global_load_b128 v[51:54], v[73:74], off
	global_load_b128 v[55:58], v[67:68], off
	;; [unrolled: 1-line block ×4, first 2 shown]
	v_dual_mov_b32 v49, 0 :: v_dual_mov_b32 v50, 0
	v_cmp_gt_i32_e64 s2, 32, v26
	v_cmp_gt_i32_e64 s3, 32, v25
	;; [unrolled: 1-line block ×4, first 2 shown]
	s_waitcnt vmcnt(3)
	ds_store_b128 v28, v[51:54]
	s_waitcnt vmcnt(2)
	ds_store_b128 v29, v[55:58]
	s_waitcnt vmcnt(1)
	ds_store_b128 v30, v[59:62]
	s_waitcnt vmcnt(0)
	ds_store_b128 v31, v[63:66]
	s_waitcnt lgkmcnt(0)
	s_barrier
	buffer_gl0_inv
	ds_load_b128 v[51:54], v33
	ds_load_b128 v[55:58], v32
	ds_load_b128 v[59:62], v33 offset:4608
	s_waitcnt lgkmcnt(1)
	;;#ASMSTART
	v_dot2_f32_f16 v49, v51, v55, v49
	;;#ASMEND
	;;#ASMSTART
	v_dot2_f32_f16 v49, v52, v56, v49
	;;#ASMEND
	;;#ASMSTART
	v_dot2_f32_f16 v49, v53, v57, v49
	;;#ASMEND
	;;#ASMSTART
	v_dot2_f32_f16 v49, v54, v58, v49
	;;#ASMEND
	s_waitcnt lgkmcnt(0)
	;;#ASMSTART
	v_dot2_f32_f16 v50, v59, v55, v50
	;;#ASMEND
	;;#ASMSTART
	v_dot2_f32_f16 v50, v60, v56, v50
	;;#ASMEND
	;;#ASMSTART
	v_dot2_f32_f16 v50, v61, v57, v50
	;;#ASMEND
	;;#ASMSTART
	v_dot2_f32_f16 v50, v62, v58, v50
	;;#ASMEND
	ds_load_b128 v[51:54], v33 offset:16
	ds_load_b128 v[55:58], v32 offset:16
	ds_load_b128 v[59:62], v33 offset:4624
	s_waitcnt lgkmcnt(1)
	;;#ASMSTART
	v_dot2_f32_f16 v49, v51, v55, v49
	;;#ASMEND
	;;#ASMSTART
	v_dot2_f32_f16 v49, v52, v56, v49
	;;#ASMEND
	;;#ASMSTART
	v_dot2_f32_f16 v49, v53, v57, v49
	;;#ASMEND
	;;#ASMSTART
	v_dot2_f32_f16 v49, v54, v58, v49
	;;#ASMEND
	s_waitcnt lgkmcnt(0)
	;;#ASMSTART
	v_dot2_f32_f16 v50, v59, v55, v50
	;;#ASMEND
	;;#ASMSTART
	v_dot2_f32_f16 v50, v60, v56, v50
	;;#ASMEND
	;;#ASMSTART
	v_dot2_f32_f16 v50, v61, v57, v50
	;;#ASMEND
	;;#ASMSTART
	v_dot2_f32_f16 v50, v62, v58, v50
	;;#ASMEND
	ds_load_b128 v[51:54], v33 offset:32
	ds_load_b128 v[55:58], v32 offset:32
	;; [unrolled: 29-line block ×7, first 2 shown]
	ds_load_b128 v[59:62], v33 offset:4720
	s_waitcnt lgkmcnt(1)
	;;#ASMSTART
	v_dot2_f32_f16 v49, v51, v55, v49
	;;#ASMEND
	;;#ASMSTART
	v_dot2_f32_f16 v49, v52, v56, v49
	;;#ASMEND
	;; [unrolled: 3-line block ×4, first 2 shown]
	s_waitcnt lgkmcnt(0)
	;;#ASMSTART
	v_dot2_f32_f16 v50, v59, v55, v50
	;;#ASMEND
	;;#ASMSTART
	v_dot2_f32_f16 v50, v60, v56, v50
	;;#ASMEND
	;; [unrolled: 3-line block ×4, first 2 shown]
	s_barrier
	buffer_gl0_inv
	s_clause 0x3
	global_load_b128 v[51:54], v[73:74], off offset:128
	global_load_b128 v[55:58], v[67:68], off offset:128
	;; [unrolled: 1-line block ×4, first 2 shown]
	v_add_nc_u32_e32 v67, s13, v2
	s_waitcnt vmcnt(3)
	ds_store_b128 v28, v[51:54]
	s_waitcnt vmcnt(2)
	ds_store_b128 v29, v[55:58]
	;; [unrolled: 2-line block ×4, first 2 shown]
	s_waitcnt lgkmcnt(0)
	s_barrier
	buffer_gl0_inv
	ds_load_b128 v[51:54], v33
	ds_load_b128 v[55:58], v32 offset:128
	ds_load_b128 v[59:62], v33 offset:4608
	s_waitcnt lgkmcnt(1)
	;;#ASMSTART
	v_dot2_f32_f16 v49, v51, v55, v49
	;;#ASMEND
	;;#ASMSTART
	v_dot2_f32_f16 v49, v52, v56, v49
	;;#ASMEND
	;;#ASMSTART
	v_dot2_f32_f16 v49, v53, v57, v49
	;;#ASMEND
	;;#ASMSTART
	v_dot2_f32_f16 v49, v54, v58, v49
	;;#ASMEND
	s_waitcnt lgkmcnt(0)
	;;#ASMSTART
	v_dot2_f32_f16 v50, v59, v55, v50
	;;#ASMEND
	;;#ASMSTART
	v_dot2_f32_f16 v50, v60, v56, v50
	;;#ASMEND
	;;#ASMSTART
	v_dot2_f32_f16 v50, v61, v57, v50
	;;#ASMEND
	;;#ASMSTART
	v_dot2_f32_f16 v50, v62, v58, v50
	;;#ASMEND
	ds_load_b128 v[51:54], v33 offset:16
	ds_load_b128 v[55:58], v32 offset:144
	ds_load_b128 v[59:62], v33 offset:4624
	s_waitcnt lgkmcnt(1)
	;;#ASMSTART
	v_dot2_f32_f16 v49, v51, v55, v49
	;;#ASMEND
	;;#ASMSTART
	v_dot2_f32_f16 v49, v52, v56, v49
	;;#ASMEND
	;;#ASMSTART
	v_dot2_f32_f16 v49, v53, v57, v49
	;;#ASMEND
	;;#ASMSTART
	v_dot2_f32_f16 v49, v54, v58, v49
	;;#ASMEND
	s_waitcnt lgkmcnt(0)
	;;#ASMSTART
	v_dot2_f32_f16 v50, v59, v55, v50
	;;#ASMEND
	;;#ASMSTART
	v_dot2_f32_f16 v50, v60, v56, v50
	;;#ASMEND
	;;#ASMSTART
	v_dot2_f32_f16 v50, v61, v57, v50
	;;#ASMEND
	;;#ASMSTART
	v_dot2_f32_f16 v50, v62, v58, v50
	;;#ASMEND
	ds_load_b128 v[51:54], v33 offset:32
	;; [unrolled: 29-line block ×7, first 2 shown]
	ds_load_b128 v[55:58], v32 offset:240
	ds_load_b128 v[59:62], v33 offset:4720
	v_ashrrev_i32_e32 v68, 31, v67
	s_waitcnt lgkmcnt(1)
	;;#ASMSTART
	v_dot2_f32_f16 v49, v51, v55, v49
	;;#ASMEND
	s_delay_alu instid0(VALU_DEP_1)
	v_lshlrev_b64 v[67:68], 1, v[67:68]
	;;#ASMSTART
	v_dot2_f32_f16 v49, v52, v56, v49
	;;#ASMEND
	;;#ASMSTART
	v_dot2_f32_f16 v49, v53, v57, v49
	;;#ASMEND
	;; [unrolled: 3-line block ×3, first 2 shown]
	s_waitcnt lgkmcnt(0)
	;;#ASMSTART
	v_dot2_f32_f16 v50, v59, v55, v50
	;;#ASMEND
	;;#ASMSTART
	v_dot2_f32_f16 v50, v60, v56, v50
	;;#ASMEND
	v_add_co_u32 v67, vcc_lo, s36, v67
	v_add_co_ci_u32_e32 v68, vcc_lo, s37, v68, vcc_lo
	;;#ASMSTART
	v_dot2_f32_f16 v50, v61, v57, v50
	;;#ASMEND
	;;#ASMSTART
	v_dot2_f32_f16 v50, v62, v58, v50
	;;#ASMEND
	s_clause 0x1
	flat_load_u16 v69, v[67:68]
	flat_load_u16 v67, v[67:68] offset:64
	v_mov_b32_e32 v68, v19
	v_cmp_gt_i32_e32 vcc_lo, 32, v27
	v_cndmask_b32_e64 v51, v22, v26, s2
	v_cndmask_b32_e64 v52, v22, v25, s3
	s_lshl_b64 s[2:3], s[22:23], 2
	v_cndmask_b32_e64 v53, v22, v24, s4
	v_cndmask_b32_e64 v54, v22, v23, s5
	s_add_u32 s4, s7, s2
	s_addc_u32 s5, s20, s3
	s_or_b32 s6, s13, 32
	v_dual_cndmask_b32 v19, v22, v27 :: v_dual_lshlrev_b32 v72, 2, v53
	v_add_co_u32 v55, vcc_lo, s4, v13
	v_add_co_u32 v56, s2, s4, v15
	v_add_co_u32 v57, s3, s4, v17
	;; [unrolled: 1-line block ×3, first 2 shown]
	s_mul_hi_i32 s23, s6, s16
	s_mul_i32 s22, s6, s16
	v_add_co_ci_u32_e32 v53, vcc_lo, s5, v14, vcc_lo
	v_add_co_ci_u32_e64 v61, vcc_lo, s5, v18, s3
	v_add_co_u32 v63, s3, v57, v42
	s_waitcnt vmcnt(0) lgkmcnt(0)
	s_barrier
	buffer_gl0_inv
	v_lshlrev_b32_e32 v19, 2, v19
	v_cvt_f32_f16_e32 v69, v69
	v_cvt_f32_f16_e32 v67, v67
	v_lshlrev_b32_e32 v71, 2, v52
	v_add_co_ci_u32_e64 v52, s4, s5, v12, s4
	s_delay_alu instid0(VALU_DEP_4) | instskip(NEXT) | instid1(VALU_DEP_4)
	v_dual_add_f32 v49, v49, v69 :: v_dual_lshlrev_b32 v70, 2, v51
	v_dual_add_f32 v50, v50, v67 :: v_dual_lshlrev_b32 v73, 2, v54
	v_add_co_ci_u32_e64 v54, vcc_lo, s5, v16, s2
	s_lshl_b64 s[4:5], s[22:23], 2
	v_add_co_u32 v55, vcc_lo, v55, v42
	v_add_co_u32 v59, s2, v56, v42
	s_add_u32 s6, s7, s4
	v_add_co_u32 v51, s4, v58, v42
	s_delay_alu instid0(VALU_DEP_1)
	v_add_co_ci_u32_e64 v52, s4, 0, v52, s4
	v_add_co_ci_u32_e32 v56, vcc_lo, 0, v53, vcc_lo
	v_add_co_ci_u32_e64 v60, vcc_lo, 0, v54, s2
	v_add_co_ci_u32_e64 v64, vcc_lo, 0, v61, s3
	s_addc_u32 s5, s20, s5
	v_add_co_u32 v53, vcc_lo, s6, v13
	v_add_co_u32 v54, s2, s6, v15
	v_add_co_u32 v57, s3, s6, v17
	;; [unrolled: 1-line block ×3, first 2 shown]
	s_delay_alu instid0(VALU_DEP_1)
	v_add_co_ci_u32_e64 v61, s4, s5, v12, s4
	v_add_co_ci_u32_e32 v62, vcc_lo, s5, v14, vcc_lo
	v_add_co_ci_u32_e64 v65, vcc_lo, s5, v16, s2
	v_add_co_ci_u32_e64 v66, vcc_lo, s5, v18, s3
	v_add_co_u32 v101, vcc_lo, v53, v42
	v_add_co_u32 v103, s2, v54, v42
	v_add_co_u32 v105, s3, v57, v42
	;; [unrolled: 1-line block ×3, first 2 shown]
	s_delay_alu instid0(VALU_DEP_1)
	v_add_co_ci_u32_e64 v98, s4, 0, v61, s4
	v_add_co_ci_u32_e32 v102, vcc_lo, 0, v62, vcc_lo
	v_add_co_ci_u32_e64 v104, vcc_lo, 0, v65, s2
	v_add_co_ci_u32_e64 v106, vcc_lo, 0, v66, s3
	s_clause 0x3
	global_load_b128 v[51:54], v[51:52], off
	global_load_b128 v[55:58], v[55:56], off
	;; [unrolled: 1-line block ×4, first 2 shown]
	v_add_f32_e32 v67, 0x40051340, v49
	v_add_f32_e32 v69, 0x40051340, v50
	s_delay_alu instid0(VALU_DEP_1) | instskip(SKIP_3) | instid1(VALU_DEP_1)
	v_max3_f32 v67, v68, v67, v69
	ds_bpermute_b32 v19, v19, v67
	s_waitcnt lgkmcnt(0)
	v_max_f32_e32 v19, v19, v19
	v_max_f32_e32 v19, v67, v19
	ds_bpermute_b32 v67, v70, v19
	s_waitcnt lgkmcnt(0)
	v_max_f32_e32 v67, v67, v67
	s_delay_alu instid0(VALU_DEP_1) | instskip(SKIP_3) | instid1(VALU_DEP_1)
	v_max_f32_e32 v19, v19, v67
	ds_bpermute_b32 v67, v71, v19
	s_waitcnt lgkmcnt(0)
	v_max_f32_e32 v67, v67, v67
	v_max_f32_e32 v19, v19, v67
	ds_bpermute_b32 v67, v72, v19
	s_waitcnt lgkmcnt(0)
	v_max_f32_e32 v67, v67, v67
	s_delay_alu instid0(VALU_DEP_1) | instskip(SKIP_3) | instid1(VALU_DEP_1)
	v_max_f32_e32 v19, v19, v67
	ds_bpermute_b32 v67, v73, v19
	s_waitcnt lgkmcnt(0)
	v_max_f32_e32 v67, v67, v67
	v_max_f32_e32 v19, v19, v67
	s_delay_alu instid0(VALU_DEP_1) | instskip(SKIP_1) | instid1(VALU_DEP_2)
	v_sub_f32_e32 v49, v49, v19
	v_sub_f32_e32 v50, v50, v19
	v_dual_sub_f32 v67, v68, v19 :: v_dual_mul_f32 v68, 0x3fb8aa3b, v49
	s_delay_alu instid0(VALU_DEP_1) | instskip(SKIP_2) | instid1(VALU_DEP_4)
	v_dual_mul_f32 v69, 0x3fb8aa3b, v50 :: v_dual_mul_f32 v70, 0x3fb8aa3b, v67
	v_cmp_ngt_f32_e64 s3, 0xc2ce8ed0, v49
	v_cmp_nlt_f32_e64 s6, 0x42b17218, v49
	v_fma_f32 v71, 0x3fb8aa3b, v49, -v68
	v_rndne_f32_e32 v72, v68
	v_fma_f32 v73, 0x3fb8aa3b, v50, -v69
	v_rndne_f32_e32 v74, v69
	v_cmp_ngt_f32_e32 vcc_lo, 0xc2ce8ed0, v50
	v_fmac_f32_e32 v71, 0x32a5705f, v49
	v_sub_f32_e32 v49, v68, v72
	v_cmp_nlt_f32_e64 s4, 0x42b17218, v50
	v_fmac_f32_e32 v73, 0x32a5705f, v50
	v_sub_f32_e32 v50, v69, v74
	v_fma_f32 v75, 0x3fb8aa3b, v67, -v70
	v_rndne_f32_e32 v76, v70
	v_add_f32_e32 v49, v49, v71
	v_cmp_ngt_f32_e64 s2, 0xc2ce8ed0, v67
	v_add_f32_e32 v50, v50, v73
	v_cmp_nlt_f32_e64 s5, 0x42b17218, v67
	v_fmac_f32_e32 v75, 0x32a5705f, v67
	v_sub_f32_e32 v67, v70, v76
	v_exp_f32_e32 v49, v49
	v_exp_f32_e32 v50, v50
	v_cvt_i32_f32_e32 v68, v72
	v_cvt_i32_f32_e32 v69, v74
	v_add_f32_e32 v67, v67, v75
	v_cvt_i32_f32_e32 v70, v76
	s_delay_alu instid0(VALU_DEP_2) | instskip(NEXT) | instid1(TRANS32_DEP_3)
	v_exp_f32_e32 v67, v67
	v_ldexp_f32 v49, v49, v68
	s_delay_alu instid0(TRANS32_DEP_2) | instskip(NEXT) | instid1(VALU_DEP_2)
	v_ldexp_f32 v50, v50, v69
	v_cndmask_b32_e64 v49, 0, v49, s3
	s_delay_alu instid0(VALU_DEP_2) | instskip(SKIP_4) | instid1(VALU_DEP_3)
	v_cndmask_b32_e32 v50, 0, v50, vcc_lo
	s_waitcnt_depctr 0xfff
	v_ldexp_f32 v67, v67, v70
	v_cndmask_b32_e64 v107, 0x7f800000, v49, s6
	v_cndmask_b32_e64 v108, 0x7f800000, v50, s4
	;; [unrolled: 1-line block ×3, first 2 shown]
	s_delay_alu instid0(VALU_DEP_3) | instskip(NEXT) | instid1(VALU_DEP_3)
	v_cvt_f16_f32_e32 v49, v107
	v_cvt_f16_f32_e32 v50, v108
	ds_store_b16 v36, v49
	ds_store_b16 v36, v50 offset:64
	s_waitcnt vmcnt(3)
	ds_store_b128 v35, v[51:54]
	s_waitcnt vmcnt(2)
	ds_store_b128 v37, v[55:58]
	;; [unrolled: 2-line block ×4, first 2 shown]
	v_cndmask_b32_e64 v109, 0x7f800000, v67, s5
	s_waitcnt lgkmcnt(0)
	s_barrier
	buffer_gl0_inv
	ds_load_2addr_b64 v[49:52], v40 offset1:32
	ds_load_b128 v[53:56], v34
	ds_load_b128 v[57:60], v34 offset:16
	ds_load_b128 v[61:64], v34 offset:32
	;; [unrolled: 1-line block ×3, first 2 shown]
	ds_load_2addr_b64 v[69:72], v40 offset0:64 offset1:96
	ds_load_2addr_b64 v[73:76], v40 offset0:128 offset1:160
	;; [unrolled: 1-line block ×3, first 2 shown]
	ds_load_2addr_b64 v[81:84], v43 offset1:32
	ds_load_2addr_b64 v[85:88], v43 offset0:64 offset1:96
	ds_load_2addr_b64 v[89:92], v43 offset0:128 offset1:160
	ds_load_2addr_b64 v[93:96], v43 offset0:192 offset1:224
	v_cvt_f16_f32_e32 v99, v109
	v_add_f32_e32 v107, v107, v108
	s_waitcnt lgkmcnt(10)
	v_pk_mul_f16 v49, v49, v53 op_sel_hi:[1,0]
	v_pk_mul_f16 v50, v50, v53 op_sel_hi:[1,0]
	s_delay_alu instid0(VALU_DEP_2) | instskip(NEXT) | instid1(VALU_DEP_2)
	v_pk_fma_f16 v46, v46, v99, v49 op_sel_hi:[1,0,1]
	v_pk_fma_f16 v47, v47, v99, v50 op_sel_hi:[1,0,1]
	s_delay_alu instid0(VALU_DEP_2) | instskip(NEXT) | instid1(VALU_DEP_2)
	v_pk_fma_f16 v46, v51, v53, v46 op_sel:[0,1,0]
	v_pk_fma_f16 v47, v52, v53, v47 op_sel:[0,1,0]
	ds_load_2addr_b64 v[49:52], v44 offset1:32
	s_waitcnt lgkmcnt(7)
	v_pk_fma_f16 v46, v69, v54, v46 op_sel_hi:[1,0,1]
	v_pk_fma_f16 v47, v70, v54, v47 op_sel_hi:[1,0,1]
	s_delay_alu instid0(VALU_DEP_2) | instskip(NEXT) | instid1(VALU_DEP_2)
	v_pk_fma_f16 v46, v71, v54, v46 op_sel:[0,1,0]
	v_pk_fma_f16 v47, v72, v54, v47 op_sel:[0,1,0]
	ds_load_2addr_b64 v[69:72], v44 offset0:64 offset1:96
	s_waitcnt lgkmcnt(7)
	v_pk_fma_f16 v46, v73, v55, v46 op_sel_hi:[1,0,1]
	v_pk_fma_f16 v47, v74, v55, v47 op_sel_hi:[1,0,1]
	s_delay_alu instid0(VALU_DEP_2) | instskip(NEXT) | instid1(VALU_DEP_2)
	v_pk_fma_f16 v46, v75, v55, v46 op_sel:[0,1,0]
	v_pk_fma_f16 v47, v76, v55, v47 op_sel:[0,1,0]
	ds_load_2addr_b64 v[73:76], v44 offset0:128 offset1:160
	;; [unrolled: 7-line block ×3, first 2 shown]
	ds_load_2addr_b64 v[77:80], v45 offset1:32
	s_waitcnt lgkmcnt(8)
	v_pk_fma_f16 v46, v81, v57, v46 op_sel_hi:[1,0,1]
	v_pk_fma_f16 v47, v82, v57, v47 op_sel_hi:[1,0,1]
	s_delay_alu instid0(VALU_DEP_2) | instskip(NEXT) | instid1(VALU_DEP_2)
	v_pk_fma_f16 v46, v83, v57, v46 op_sel:[0,1,0]
	v_pk_fma_f16 v47, v84, v57, v47 op_sel:[0,1,0]
	ds_load_2addr_b64 v[81:84], v45 offset0:64 offset1:96
	s_waitcnt lgkmcnt(8)
	v_pk_fma_f16 v46, v85, v58, v46 op_sel_hi:[1,0,1]
	v_pk_fma_f16 v47, v86, v58, v47 op_sel_hi:[1,0,1]
	s_delay_alu instid0(VALU_DEP_2) | instskip(NEXT) | instid1(VALU_DEP_2)
	v_pk_fma_f16 v46, v87, v58, v46 op_sel:[0,1,0]
	v_pk_fma_f16 v47, v88, v58, v47 op_sel:[0,1,0]
	ds_load_2addr_b64 v[85:88], v45 offset0:128 offset1:160
	;; [unrolled: 7-line block ×3, first 2 shown]
	s_waitcnt lgkmcnt(0)
	s_barrier
	v_pk_fma_f16 v46, v93, v60, v46 op_sel_hi:[1,0,1]
	v_pk_fma_f16 v47, v94, v60, v47 op_sel_hi:[1,0,1]
	buffer_gl0_inv
	global_load_b128 v[97:100], v[97:98], off
	v_pk_fma_f16 v46, v95, v60, v46 op_sel:[0,1,0]
	v_pk_fma_f16 v47, v96, v60, v47 op_sel:[0,1,0]
	s_clause 0x2
	global_load_b128 v[57:60], v[101:102], off
	global_load_b128 v[93:96], v[103:104], off
	;; [unrolled: 1-line block ×3, first 2 shown]
	v_mov_b32_e32 v106, v48
	s_waitcnt vmcnt(3)
	ds_store_b128 v35, v[97:100]
	s_waitcnt vmcnt(2)
	ds_store_b128 v37, v[57:60]
	;; [unrolled: 2-line block ×4, first 2 shown]
	v_pk_fma_f16 v46, v49, v61, v46 op_sel_hi:[1,0,1]
	v_pk_fma_f16 v47, v50, v61, v47 op_sel_hi:[1,0,1]
	s_waitcnt lgkmcnt(0)
	s_barrier
	buffer_gl0_inv
	v_pk_fma_f16 v46, v51, v61, v46 op_sel:[0,1,0]
	v_pk_fma_f16 v47, v52, v61, v47 op_sel:[0,1,0]
	s_delay_alu instid0(VALU_DEP_2) | instskip(NEXT) | instid1(VALU_DEP_2)
	v_pk_fma_f16 v46, v69, v62, v46 op_sel_hi:[1,0,1]
	v_pk_fma_f16 v47, v70, v62, v47 op_sel_hi:[1,0,1]
	s_delay_alu instid0(VALU_DEP_2) | instskip(NEXT) | instid1(VALU_DEP_2)
	v_pk_fma_f16 v46, v71, v62, v46 op_sel:[0,1,0]
	v_pk_fma_f16 v47, v72, v62, v47 op_sel:[0,1,0]
	s_delay_alu instid0(VALU_DEP_2) | instskip(NEXT) | instid1(VALU_DEP_2)
	v_pk_fma_f16 v46, v73, v63, v46 op_sel_hi:[1,0,1]
	v_pk_fma_f16 v47, v74, v63, v47 op_sel_hi:[1,0,1]
	s_delay_alu instid0(VALU_DEP_2) | instskip(NEXT) | instid1(VALU_DEP_2)
	;; [unrolled: 6-line block ×7, first 2 shown]
	v_pk_fma_f16 v108, v91, v68, v46 op_sel:[0,1,0]
	v_pk_fma_f16 v110, v92, v68, v47 op_sel:[0,1,0]
	ds_load_2addr_b64 v[46:49], v40 offset1:32
	ds_load_b128 v[50:53], v34 offset:64
	ds_load_b128 v[54:57], v34 offset:80
	ds_load_b128 v[58:61], v34 offset:96
	ds_load_b128 v[62:65], v34 offset:112
	ds_load_2addr_b64 v[66:69], v40 offset0:64 offset1:96
	ds_load_2addr_b64 v[70:73], v40 offset0:128 offset1:160
	;; [unrolled: 1-line block ×3, first 2 shown]
	ds_load_2addr_b64 v[78:81], v43 offset1:32
	ds_load_2addr_b64 v[82:85], v43 offset0:64 offset1:96
	ds_load_2addr_b64 v[86:89], v43 offset0:128 offset1:160
	;; [unrolled: 1-line block ×3, first 2 shown]
	ds_load_2addr_b64 v[94:97], v44 offset1:32
	ds_load_2addr_b64 v[98:101], v44 offset0:64 offset1:96
	ds_load_2addr_b64 v[102:105], v44 offset0:128 offset1:160
	s_waitcnt lgkmcnt(13)
	v_pk_fma_f16 v46, v46, v50, v108 op_sel_hi:[1,0,1]
	v_pk_fma_f16 v47, v47, v50, v110 op_sel_hi:[1,0,1]
	s_delay_alu instid0(VALU_DEP_2) | instskip(NEXT) | instid1(VALU_DEP_2)
	v_pk_fma_f16 v108, v48, v50, v46 op_sel:[0,1,0]
	v_pk_fma_f16 v50, v49, v50, v47 op_sel:[0,1,0]
	ds_load_2addr_b64 v[46:49], v44 offset0:192 offset1:224
	s_waitcnt lgkmcnt(10)
	v_pk_fma_f16 v66, v66, v51, v108 op_sel_hi:[1,0,1]
	v_pk_fma_f16 v50, v67, v51, v50 op_sel_hi:[1,0,1]
	s_delay_alu instid0(VALU_DEP_2) | instskip(NEXT) | instid1(VALU_DEP_2)
	v_pk_fma_f16 v108, v68, v51, v66 op_sel:[0,1,0]
	v_pk_fma_f16 v50, v69, v51, v50 op_sel:[0,1,0]
	ds_load_2addr_b64 v[66:69], v45 offset1:32
	s_waitcnt lgkmcnt(10)
	v_pk_fma_f16 v51, v70, v52, v108 op_sel_hi:[1,0,1]
	v_pk_fma_f16 v50, v71, v52, v50 op_sel_hi:[1,0,1]
	s_delay_alu instid0(VALU_DEP_2) | instskip(NEXT) | instid1(VALU_DEP_2)
	v_pk_fma_f16 v51, v72, v52, v51 op_sel:[0,1,0]
	v_pk_fma_f16 v50, v73, v52, v50 op_sel:[0,1,0]
	ds_load_2addr_b64 v[70:73], v45 offset0:64 offset1:96
	s_waitcnt lgkmcnt(10)
	v_pk_fma_f16 v51, v74, v53, v51 op_sel_hi:[1,0,1]
	v_pk_fma_f16 v50, v75, v53, v50 op_sel_hi:[1,0,1]
	s_delay_alu instid0(VALU_DEP_2) | instskip(NEXT) | instid1(VALU_DEP_2)
	v_pk_fma_f16 v108, v76, v53, v51 op_sel:[0,1,0]
	v_pk_fma_f16 v110, v77, v53, v50 op_sel:[0,1,0]
	ds_load_2addr_b64 v[50:53], v45 offset0:128 offset1:160
	ds_load_2addr_b64 v[74:77], v45 offset0:192 offset1:224
	s_waitcnt lgkmcnt(0)
	s_barrier
	v_pk_fma_f16 v78, v78, v54, v108 op_sel_hi:[1,0,1]
	v_pk_fma_f16 v79, v79, v54, v110 op_sel_hi:[1,0,1]
	buffer_gl0_inv
	s_load_b32 s2, s[8:9], 0x4
	v_pk_fma_f16 v78, v80, v54, v78 op_sel:[0,1,0]
	v_pk_fma_f16 v54, v81, v54, v79 op_sel:[0,1,0]
	s_delay_alu instid0(VALU_DEP_2) | instskip(NEXT) | instid1(VALU_DEP_2)
	v_pk_fma_f16 v78, v82, v55, v78 op_sel_hi:[1,0,1]
	v_pk_fma_f16 v54, v83, v55, v54 op_sel_hi:[1,0,1]
	s_delay_alu instid0(VALU_DEP_2) | instskip(NEXT) | instid1(VALU_DEP_2)
	v_pk_fma_f16 v78, v84, v55, v78 op_sel:[0,1,0]
	v_pk_fma_f16 v54, v85, v55, v54 op_sel:[0,1,0]
	s_delay_alu instid0(VALU_DEP_2) | instskip(NEXT) | instid1(VALU_DEP_2)
	v_pk_fma_f16 v55, v86, v56, v78 op_sel_hi:[1,0,1]
	v_pk_fma_f16 v54, v87, v56, v54 op_sel_hi:[1,0,1]
	s_waitcnt lgkmcnt(0)
	s_lshl_b32 s2, s2, 6
	s_delay_alu instid0(VALU_DEP_2) | instskip(NEXT) | instid1(VALU_DEP_2)
	v_pk_fma_f16 v55, v88, v56, v55 op_sel:[0,1,0]
	v_pk_fma_f16 v54, v89, v56, v54 op_sel:[0,1,0]
	s_add_i32 s13, s2, s13
	s_delay_alu instid0(SALU_CYCLE_1) | instskip(NEXT) | instid1(VALU_DEP_2)
	s_cmp_lt_i32 s13, s34
	v_pk_fma_f16 v55, v90, v57, v55 op_sel_hi:[1,0,1]
	s_delay_alu instid0(VALU_DEP_2) | instskip(NEXT) | instid1(VALU_DEP_2)
	v_pk_fma_f16 v54, v91, v57, v54 op_sel_hi:[1,0,1]
	v_pk_fma_f16 v55, v92, v57, v55 op_sel:[0,1,0]
	s_delay_alu instid0(VALU_DEP_2) | instskip(NEXT) | instid1(VALU_DEP_2)
	v_pk_fma_f16 v54, v93, v57, v54 op_sel:[0,1,0]
	v_pk_fma_f16 v55, v94, v58, v55 op_sel_hi:[1,0,1]
	s_delay_alu instid0(VALU_DEP_2) | instskip(NEXT) | instid1(VALU_DEP_2)
	v_pk_fma_f16 v54, v95, v58, v54 op_sel_hi:[1,0,1]
	v_pk_fma_f16 v55, v96, v58, v55 op_sel:[0,1,0]
	s_delay_alu instid0(VALU_DEP_2) | instskip(NEXT) | instid1(VALU_DEP_2)
	v_pk_fma_f16 v54, v97, v58, v54 op_sel:[0,1,0]
	;; [unrolled: 6-line block ×4, first 2 shown]
	v_pk_fma_f16 v46, v46, v61, v55 op_sel_hi:[1,0,1]
	s_delay_alu instid0(VALU_DEP_2) | instskip(NEXT) | instid1(VALU_DEP_2)
	v_pk_fma_f16 v47, v47, v61, v54 op_sel_hi:[1,0,1]
	v_pk_fma_f16 v46, v48, v61, v46 op_sel:[0,1,0]
	s_delay_alu instid0(VALU_DEP_2) | instskip(SKIP_1) | instid1(VALU_DEP_3)
	v_pk_fma_f16 v47, v49, v61, v47 op_sel:[0,1,0]
	v_mov_b32_e32 v48, v107
	v_pk_fma_f16 v46, v66, v62, v46 op_sel_hi:[1,0,1]
	s_delay_alu instid0(VALU_DEP_3) | instskip(NEXT) | instid1(VALU_DEP_3)
	v_pk_fma_f16 v47, v67, v62, v47 op_sel_hi:[1,0,1]
	v_fmac_f32_e32 v48, v106, v109
	s_delay_alu instid0(VALU_DEP_3) | instskip(NEXT) | instid1(VALU_DEP_3)
	v_pk_fma_f16 v46, v68, v62, v46 op_sel:[0,1,0]
	v_pk_fma_f16 v47, v69, v62, v47 op_sel:[0,1,0]
	s_delay_alu instid0(VALU_DEP_2) | instskip(NEXT) | instid1(VALU_DEP_2)
	v_pk_fma_f16 v46, v70, v63, v46 op_sel_hi:[1,0,1]
	v_pk_fma_f16 v47, v71, v63, v47 op_sel_hi:[1,0,1]
	s_delay_alu instid0(VALU_DEP_2) | instskip(NEXT) | instid1(VALU_DEP_2)
	v_pk_fma_f16 v46, v72, v63, v46 op_sel:[0,1,0]
	v_pk_fma_f16 v47, v73, v63, v47 op_sel:[0,1,0]
	s_delay_alu instid0(VALU_DEP_2) | instskip(NEXT) | instid1(VALU_DEP_2)
	v_pk_fma_f16 v46, v50, v64, v46 op_sel_hi:[1,0,1]
	v_pk_fma_f16 v47, v51, v64, v47 op_sel_hi:[1,0,1]
	s_delay_alu instid0(VALU_DEP_2) | instskip(NEXT) | instid1(VALU_DEP_2)
	;; [unrolled: 6-line block ×3, first 2 shown]
	v_pk_fma_f16 v46, v76, v65, v46 op_sel:[0,1,0]
	v_pk_fma_f16 v47, v77, v65, v47 op_sel:[0,1,0]
	s_cbranch_scc1 .LBB30_9
; %bb.10:
	v_mov_b32_e32 v3, 32
	v_mov_b32_e32 v5, v22
.LBB30_11:
	s_delay_alu instid0(VALU_DEP_2)
	v_cmp_lt_i32_e32 vcc_lo, v27, v3
	s_cmp_eq_u64 s[24:25], 0
	s_cselect_b32 s2, -1, 0
	s_cmp_lg_u32 s14, 0
	v_cndmask_b32_e32 v2, v5, v27, vcc_lo
	v_cmp_lt_i32_e32 vcc_lo, v26, v3
	s_cselect_b32 s3, -1, 0
	s_delay_alu instid0(SALU_CYCLE_1) | instskip(NEXT) | instid1(VALU_DEP_2)
	s_or_b32 s2, s3, s2
	v_lshlrev_b32_e32 v2, 2, v2
	v_cndmask_b32_e32 v4, v5, v26, vcc_lo
	v_cmp_lt_i32_e32 vcc_lo, v25, v3
	ds_bpermute_b32 v2, v2, v48
	v_lshlrev_b32_e32 v4, 2, v4
	v_cndmask_b32_e32 v6, v5, v25, vcc_lo
	v_cmp_lt_i32_e32 vcc_lo, v24, v3
	s_delay_alu instid0(VALU_DEP_2)
	v_lshlrev_b32_e32 v6, 2, v6
	s_waitcnt lgkmcnt(0)
	v_add_f32_e32 v2, v48, v2
	ds_bpermute_b32 v4, v4, v2
	s_waitcnt lgkmcnt(0)
	v_add_f32_e32 v2, v2, v4
	ds_bpermute_b32 v4, v6, v2
	v_cndmask_b32_e32 v6, v5, v24, vcc_lo
	v_cmp_lt_i32_e32 vcc_lo, v23, v3
	s_delay_alu instid0(VALU_DEP_2) | instskip(SKIP_2) | instid1(VALU_DEP_1)
	v_dual_cndmask_b32 v3, v5, v23 :: v_dual_lshlrev_b32 v6, 2, v6
	s_and_b32 vcc_lo, exec_lo, s2
	s_waitcnt lgkmcnt(0)
	v_dual_add_f32 v2, v2, v4 :: v_dual_lshlrev_b32 v3, 2, v3
	ds_bpermute_b32 v4, v6, v2
	s_waitcnt lgkmcnt(0)
	v_add_f32_e32 v4, v2, v4
	v_add_nc_u32_e32 v2, s15, v20
	ds_bpermute_b32 v3, v3, v4
	s_waitcnt lgkmcnt(0)
	v_add_f32_e32 v20, v4, v3
	s_cbranch_vccnz .LBB30_13
; %bb.12:
	v_ashrrev_i32_e32 v3, 31, v2
	s_delay_alu instid0(VALU_DEP_1) | instskip(NEXT) | instid1(VALU_DEP_1)
	v_lshlrev_b64 v[3:4], 2, v[2:3]
	v_add_co_u32 v3, vcc_lo, s24, v3
	s_delay_alu instid0(VALU_DEP_2) | instskip(SKIP_4) | instid1(VALU_DEP_1)
	v_add_co_ci_u32_e32 v4, vcc_lo, s25, v4, vcc_lo
	global_load_b32 v3, v[3:4], off
	v_max_f32_e32 v4, v19, v19
	s_waitcnt vmcnt(0)
	v_max_f32_e32 v5, v3, v3
	v_max_f32_e32 v4, v4, v5
	s_delay_alu instid0(VALU_DEP_1) | instskip(NEXT) | instid1(VALU_DEP_1)
	v_sub_f32_e32 v3, v3, v4
	v_mul_f32_e32 v7, 0x3fb8aa3b, v3
	s_delay_alu instid0(VALU_DEP_1) | instskip(SKIP_2) | instid1(VALU_DEP_3)
	v_fma_f32 v10, 0x3fb8aa3b, v3, -v7
	v_sub_f32_e32 v5, v19, v4
	v_rndne_f32_e32 v11, v7
	v_dual_mov_b32 v19, v4 :: v_dual_fmac_f32 v10, 0x32a5705f, v3
	s_delay_alu instid0(VALU_DEP_2) | instskip(SKIP_1) | instid1(VALU_DEP_2)
	v_dual_mul_f32 v6, 0x3fb8aa3b, v5 :: v_dual_sub_f32 v7, v7, v11
	v_cmp_ngt_f32_e32 vcc_lo, 0xc2ce8ed0, v5
	v_fma_f32 v8, 0x3fb8aa3b, v5, -v6
	v_rndne_f32_e32 v9, v6
	s_delay_alu instid0(VALU_DEP_2) | instskip(NEXT) | instid1(VALU_DEP_2)
	v_dual_add_f32 v7, v7, v10 :: v_dual_fmac_f32 v8, 0x32a5705f, v5
	v_sub_f32_e32 v6, v6, v9
	s_delay_alu instid0(VALU_DEP_2) | instskip(NEXT) | instid1(VALU_DEP_1)
	v_exp_f32_e32 v7, v7
	v_add_f32_e32 v6, v6, v8
	v_cvt_i32_f32_e32 v8, v9
	v_cvt_i32_f32_e32 v9, v11
	s_delay_alu instid0(VALU_DEP_3) | instskip(SKIP_3) | instid1(VALU_DEP_1)
	v_exp_f32_e32 v6, v6
	s_waitcnt_depctr 0xfff
	v_ldexp_f32 v7, v7, v9
	v_ldexp_f32 v6, v6, v8
	v_cndmask_b32_e32 v6, 0, v6, vcc_lo
	v_cmp_ngt_f32_e32 vcc_lo, 0xc2ce8ed0, v3
	s_delay_alu instid0(VALU_DEP_4) | instskip(SKIP_1) | instid1(VALU_DEP_4)
	v_cndmask_b32_e32 v7, 0, v7, vcc_lo
	v_cmp_nlt_f32_e32 vcc_lo, 0x42b17218, v5
	v_cndmask_b32_e32 v5, 0x7f800000, v6, vcc_lo
	v_cmp_nlt_f32_e32 vcc_lo, 0x42b17218, v3
	s_delay_alu instid0(VALU_DEP_2) | instskip(SKIP_1) | instid1(VALU_DEP_2)
	v_cvt_f16_f32_e32 v6, v5
	v_cndmask_b32_e32 v3, 0x7f800000, v7, vcc_lo
	v_pk_mul_f16 v46, v6, v46 op_sel_hi:[0,1]
	s_delay_alu instid0(VALU_DEP_2) | instskip(SKIP_1) | instid1(VALU_DEP_2)
	v_fmac_f32_e32 v3, v20, v5
	v_pk_mul_f16 v47, v6, v47 op_sel_hi:[0,1]
	v_mov_b32_e32 v20, v3
.LBB30_13:
	s_delay_alu instid0(VALU_DEP_1) | instskip(SKIP_2) | instid1(VALU_DEP_2)
	v_div_scale_f32 v6, null, v20, v20, 1.0
	v_div_scale_f32 v8, vcc_lo, 1.0, v20, 1.0
	s_load_b32 s0, s[0:1], 0xd4
	v_rcp_f32_e32 v7, v6
	s_waitcnt_depctr 0xfff
	v_fma_f32 v3, -v6, v7, 1.0
	s_delay_alu instid0(VALU_DEP_1) | instskip(SKIP_3) | instid1(VALU_DEP_2)
	v_fmac_f32_e32 v7, v3, v7
	v_mad_u64_u32 v[3:4], null, s12, s10, v[1:2]
	s_waitcnt lgkmcnt(0)
	s_cmp_lg_u32 s0, 1
	v_mul_f32_e32 v9, v8, v7
	s_cselect_b32 s1, -1, 0
	s_delay_alu instid0(VALU_DEP_2) | instskip(NEXT) | instid1(VALU_DEP_2)
	v_mad_u64_u32 v[4:5], null, v3, s11, v[2:3]
	v_fma_f32 v1, -v6, v9, v8
	v_lshrrev_b32_e32 v5, 16, v46
	s_delay_alu instid0(VALU_DEP_2) | instskip(NEXT) | instid1(VALU_DEP_4)
	v_fmac_f32_e32 v9, v1, v7
	v_mad_u64_u32 v[1:2], null, s0, v4, s[14:15]
	v_cvt_f32_f16_e32 v4, v46
	s_delay_alu instid0(VALU_DEP_4) | instskip(NEXT) | instid1(VALU_DEP_4)
	v_cvt_f32_f16_e32 v5, v5
	v_fma_f32 v3, -v6, v9, v8
	v_cvt_f32_f16_e32 v8, v47
	v_lshrrev_b32_e32 v6, 16, v47
	s_delay_alu instid0(VALU_DEP_3) | instskip(SKIP_1) | instid1(VALU_DEP_3)
	v_div_fmas_f32 v2, v3, v7, v9
	v_cmp_eq_u32_e32 vcc_lo, 0, v0
	v_cvt_f32_f16_e32 v0, v6
	s_delay_alu instid0(VALU_DEP_3) | instskip(SKIP_1) | instid1(VALU_DEP_2)
	v_div_fixup_f32 v7, v2, v20, 1.0
	v_lshl_add_u32 v2, v1, 7, v21
	v_cndmask_b32_e64 v9, v7, 1.0, s1
	v_mov_b32_e32 v3, 0
	s_delay_alu instid0(VALU_DEP_1) | instskip(NEXT) | instid1(VALU_DEP_3)
	v_lshlrev_b64 v[6:7], 2, v[2:3]
	v_mul_f32_e32 v2, v9, v4
	v_mul_f32_e32 v4, v9, v8
	;; [unrolled: 1-line block ×4, first 2 shown]
	v_add_co_u32 v6, s0, s28, v6
	s_delay_alu instid0(VALU_DEP_1)
	v_add_co_ci_u32_e64 v7, s0, s29, v7, s0
	s_and_b32 s0, vcc_lo, s1
	global_store_b128 v[6:7], v[2:5], off
	s_and_saveexec_b32 s1, s0
	s_cbranch_execz .LBB30_15
; %bb.14:
	v_ashrrev_i32_e32 v2, 31, v1
	s_delay_alu instid0(VALU_DEP_1) | instskip(NEXT) | instid1(VALU_DEP_1)
	v_lshlrev_b64 v[0:1], 3, v[1:2]
	v_add_co_u32 v0, vcc_lo, s30, v0
	s_delay_alu instid0(VALU_DEP_2)
	v_add_co_ci_u32_e32 v1, vcc_lo, s31, v1, vcc_lo
	global_store_b64 v[0:1], v[19:20], off
.LBB30_15:
	s_nop 0
	s_sendmsg sendmsg(MSG_DEALLOC_VGPRS)
	s_endpgm
	.section	.rodata,"a",@progbits
	.p2align	6, 0x0
	.amdhsa_kernel _ZL15flash_attn_tileILi128ELi128ELi1ELi4ELb0EEvPKcS1_S1_S1_S1_PKiPfP15HIP_vector_typeIfLj2EEffffjfiS5_IjLj3EEiiiiiiiiiiiliiliiiiil
		.amdhsa_group_segment_fixed_size 10752
		.amdhsa_private_segment_fixed_size 0
		.amdhsa_kernarg_size 464
		.amdhsa_user_sgpr_count 13
		.amdhsa_user_sgpr_dispatch_ptr 0
		.amdhsa_user_sgpr_queue_ptr 0
		.amdhsa_user_sgpr_kernarg_segment_ptr 1
		.amdhsa_user_sgpr_dispatch_id 0
		.amdhsa_user_sgpr_private_segment_size 0
		.amdhsa_wavefront_size32 1
		.amdhsa_uses_dynamic_stack 0
		.amdhsa_enable_private_segment 0
		.amdhsa_system_sgpr_workgroup_id_x 1
		.amdhsa_system_sgpr_workgroup_id_y 1
		.amdhsa_system_sgpr_workgroup_id_z 1
		.amdhsa_system_sgpr_workgroup_info 0
		.amdhsa_system_vgpr_workitem_id 1
		.amdhsa_next_free_vgpr 111
		.amdhsa_next_free_sgpr 40
		.amdhsa_reserve_vcc 1
		.amdhsa_float_round_mode_32 0
		.amdhsa_float_round_mode_16_64 0
		.amdhsa_float_denorm_mode_32 3
		.amdhsa_float_denorm_mode_16_64 3
		.amdhsa_dx10_clamp 1
		.amdhsa_ieee_mode 1
		.amdhsa_fp16_overflow 0
		.amdhsa_workgroup_processor_mode 1
		.amdhsa_memory_ordered 1
		.amdhsa_forward_progress 0
		.amdhsa_shared_vgpr_count 0
		.amdhsa_exception_fp_ieee_invalid_op 0
		.amdhsa_exception_fp_denorm_src 0
		.amdhsa_exception_fp_ieee_div_zero 0
		.amdhsa_exception_fp_ieee_overflow 0
		.amdhsa_exception_fp_ieee_underflow 0
		.amdhsa_exception_fp_ieee_inexact 0
		.amdhsa_exception_int_div_zero 0
	.end_amdhsa_kernel
	.section	.text._ZL15flash_attn_tileILi128ELi128ELi1ELi4ELb0EEvPKcS1_S1_S1_S1_PKiPfP15HIP_vector_typeIfLj2EEffffjfiS5_IjLj3EEiiiiiiiiiiiliiliiiiil,"axG",@progbits,_ZL15flash_attn_tileILi128ELi128ELi1ELi4ELb0EEvPKcS1_S1_S1_S1_PKiPfP15HIP_vector_typeIfLj2EEffffjfiS5_IjLj3EEiiiiiiiiiiiliiliiiiil,comdat
.Lfunc_end30:
	.size	_ZL15flash_attn_tileILi128ELi128ELi1ELi4ELb0EEvPKcS1_S1_S1_S1_PKiPfP15HIP_vector_typeIfLj2EEffffjfiS5_IjLj3EEiiiiiiiiiiiliiliiiiil, .Lfunc_end30-_ZL15flash_attn_tileILi128ELi128ELi1ELi4ELb0EEvPKcS1_S1_S1_S1_PKiPfP15HIP_vector_typeIfLj2EEffffjfiS5_IjLj3EEiiiiiiiiiiiliiliiiiil
                                        ; -- End function
	.section	.AMDGPU.csdata,"",@progbits
; Kernel info:
; codeLenInByte = 8836
; NumSgprs: 42
; NumVgprs: 111
; ScratchSize: 0
; MemoryBound: 0
; FloatMode: 240
; IeeeMode: 1
; LDSByteSize: 10752 bytes/workgroup (compile time only)
; SGPRBlocks: 5
; VGPRBlocks: 13
; NumSGPRsForWavesPerEU: 42
; NumVGPRsForWavesPerEU: 111
; Occupancy: 12
; WaveLimiterHint : 1
; COMPUTE_PGM_RSRC2:SCRATCH_EN: 0
; COMPUTE_PGM_RSRC2:USER_SGPR: 13
; COMPUTE_PGM_RSRC2:TRAP_HANDLER: 0
; COMPUTE_PGM_RSRC2:TGID_X_EN: 1
; COMPUTE_PGM_RSRC2:TGID_Y_EN: 1
; COMPUTE_PGM_RSRC2:TGID_Z_EN: 1
; COMPUTE_PGM_RSRC2:TIDIG_COMP_CNT: 1
	.section	.text._ZL33flash_attn_stream_k_fixup_uniformILi128ELi1ELi4EEvPfPK15HIP_vector_typeIfLj2EEiiiiiiS1_IjLj3EES5_S5_,"axG",@progbits,_ZL33flash_attn_stream_k_fixup_uniformILi128ELi1ELi4EEvPfPK15HIP_vector_typeIfLj2EEiiiiiiS1_IjLj3EES5_S5_,comdat
	.globl	_ZL33flash_attn_stream_k_fixup_uniformILi128ELi1ELi4EEvPfPK15HIP_vector_typeIfLj2EEiiiiiiS1_IjLj3EES5_S5_ ; -- Begin function _ZL33flash_attn_stream_k_fixup_uniformILi128ELi1ELi4EEvPfPK15HIP_vector_typeIfLj2EEiiiiiiS1_IjLj3EES5_S5_
	.p2align	8
	.type	_ZL33flash_attn_stream_k_fixup_uniformILi128ELi1ELi4EEvPfPK15HIP_vector_typeIfLj2EEiiiiiiS1_IjLj3EES5_S5_,@function
_ZL33flash_attn_stream_k_fixup_uniformILi128ELi1ELi4EEvPfPK15HIP_vector_typeIfLj2EEiiiiiiS1_IjLj3EES5_S5_: ; @_ZL33flash_attn_stream_k_fixup_uniformILi128ELi1ELi4EEvPfPK15HIP_vector_typeIfLj2EEiiiiiiS1_IjLj3EES5_S5_
; %bb.0:
	s_clause 0x1
	s_load_b256 s[4:11], s[0:1], 0x1c
	s_load_b128 s[16:19], s[0:1], 0x3c
	s_waitcnt lgkmcnt(0)
	s_mul_hi_u32 s2, s7, s13
	s_delay_alu instid0(SALU_CYCLE_1) | instskip(NEXT) | instid1(SALU_CYCLE_1)
	s_add_i32 s2, s13, s2
	s_lshr_b32 s7, s2, s8
	s_delay_alu instid0(SALU_CYCLE_1) | instskip(SKIP_2) | instid1(SALU_CYCLE_1)
	s_mul_i32 s2, s7, s9
	s_load_b64 s[8:9], s[0:1], 0x10
	s_sub_i32 s2, s13, s2
	s_mul_hi_u32 s3, s2, s10
	s_delay_alu instid0(SALU_CYCLE_1) | instskip(NEXT) | instid1(SALU_CYCLE_1)
	s_add_i32 s3, s2, s3
	s_lshr_b32 s10, s3, s11
	s_delay_alu instid0(SALU_CYCLE_1) | instskip(NEXT) | instid1(SALU_CYCLE_1)
	s_mul_i32 s3, s10, s16
	s_sub_i32 s2, s2, s3
	s_delay_alu instid0(SALU_CYCLE_1) | instskip(NEXT) | instid1(SALU_CYCLE_1)
	s_mul_hi_u32 s3, s2, s17
	s_add_i32 s3, s2, s3
	s_delay_alu instid0(SALU_CYCLE_1) | instskip(NEXT) | instid1(SALU_CYCLE_1)
	s_lshr_b32 s3, s3, s18
	s_mul_i32 s11, s3, s19
	s_lshl_b32 s12, s3, 2
	s_sub_i32 s11, s2, s11
	s_delay_alu instid0(SALU_CYCLE_1) | instskip(SKIP_4) | instid1(SALU_CYCLE_1)
	s_add_i32 s11, s11, s14
	s_waitcnt lgkmcnt(0)
	s_cmp_lt_i32 s11, s8
	s_cselect_b32 s2, -1, 0
	s_add_i32 s12, s12, s15
	s_cmp_lt_i32 s12, s5
	s_cselect_b32 s3, -1, 0
	s_delay_alu instid0(SALU_CYCLE_1) | instskip(NEXT) | instid1(SALU_CYCLE_1)
	s_and_b32 s2, s2, s3
	s_and_not1_b32 vcc_lo, exec_lo, s2
	s_cbranch_vccnz .LBB31_6
; %bb.1:
	s_mul_i32 s7, s7, s8
	s_mul_i32 s10, s10, s5
	s_add_i32 s5, s11, s7
	s_load_b128 s[0:3], s[0:1], 0x0
	s_add_i32 s7, s12, s10
	s_mul_i32 s5, s5, s9
	s_delay_alu instid0(SALU_CYCLE_1) | instskip(SKIP_3) | instid1(VALU_DEP_1)
	s_add_i32 s7, s7, s5
	s_mul_i32 s5, s13, s6
	v_lshl_or_b32 v1, s7, 7, v0
	s_add_i32 s9, s5, s6
	v_ashrrev_i32_e32 v2, 31, v1
	s_delay_alu instid0(VALU_DEP_1) | instskip(SKIP_1) | instid1(VALU_DEP_1)
	v_lshlrev_b64 v[1:2], 2, v[1:2]
	s_waitcnt lgkmcnt(0)
	v_add_co_u32 v1, vcc_lo, s0, v1
	s_delay_alu instid0(VALU_DEP_2) | instskip(SKIP_1) | instid1(SALU_CYCLE_1)
	v_add_co_ci_u32_e32 v2, vcc_lo, s1, v2, vcc_lo
	s_add_i32 s0, s14, s9
	s_lshl_b32 s0, s0, 2
	global_load_b32 v5, v[1:2], off
	s_add_i32 s0, s0, s15
	s_delay_alu instid0(SALU_CYCLE_1) | instskip(NEXT) | instid1(SALU_CYCLE_1)
	s_add_i32 s0, s0, -4
	s_ashr_i32 s1, s0, 31
	s_delay_alu instid0(SALU_CYCLE_1) | instskip(NEXT) | instid1(SALU_CYCLE_1)
	s_lshl_b64 s[0:1], s[0:1], 3
	s_add_u32 s0, s2, s0
	s_addc_u32 s1, s3, s1
	s_add_i32 s7, s9, -2
	s_load_b32 s10, s[0:1], 0x4
	s_cmp_lt_i32 s7, s5
	s_cbranch_scc1 .LBB31_4
; %bb.2:
	s_lshl_b32 s16, s4, 4
	s_load_b32 s11, s[0:1], 0x0
	s_ashr_i32 s17, s16, 31
	s_delay_alu instid0(SALU_CYCLE_1) | instskip(NEXT) | instid1(SALU_CYCLE_1)
	s_lshl_b64 s[0:1], s[16:17], 2
	s_add_u32 s7, s2, s0
	s_addc_u32 s8, s3, s1
	s_add_i32 s13, s13, 1
	s_lshl_b32 s0, s15, 7
	s_lshl_b32 s1, s14, 9
	s_mul_i32 s6, s6, s13
	s_add_i32 s0, s0, s1
	s_lshl_b32 s1, s6, 9
	s_delay_alu instid0(SALU_CYCLE_1)
	s_add_i32 s0, s0, s1
	s_add_i32 s1, s14, s4
	v_or_b32_e32 v0, s0, v0
	s_add_i32 s1, s1, s9
	s_waitcnt lgkmcnt(0)
	v_mov_b32_e32 v6, s10
	s_lshl_b32 s0, s1, 2
	s_add_i32 s4, s9, -1
	v_dual_mov_b32 v0, s11 :: v_dual_add_nc_u32 v3, 0xfffffc00, v0
	s_add_i32 s0, s15, s0
	s_delay_alu instid0(SALU_CYCLE_1)
	s_add_i32 s0, s0, -8
.LBB31_3:                               ; =>This Inner Loop Header: Depth=1
	s_delay_alu instid0(VALU_DEP_1) | instskip(SKIP_1) | instid1(SALU_CYCLE_1)
	v_ashrrev_i32_e32 v4, 31, v3
	s_ashr_i32 s1, s0, 31
	s_lshl_b64 s[10:11], s[0:1], 3
	s_delay_alu instid0(SALU_CYCLE_1) | instskip(NEXT) | instid1(VALU_DEP_1)
	s_add_u32 s10, s2, s10
	v_lshlrev_b64 v[7:8], 2, v[3:4]
	s_addc_u32 s11, s3, s11
	s_add_i32 s4, s4, -1
	s_add_i32 s0, s0, -4
	s_cmp_le_i32 s4, s5
	s_load_b64 s[10:11], s[10:11], 0x0
	v_add_co_u32 v7, vcc_lo, s7, v7
	v_add_co_ci_u32_e32 v8, vcc_lo, s8, v8, vcc_lo
	global_load_b32 v4, v[7:8], off
	v_max_f32_e32 v7, v0, v0
	s_waitcnt lgkmcnt(0)
	v_max_f32_e64 v8, s10, s10
	s_delay_alu instid0(VALU_DEP_1) | instskip(NEXT) | instid1(VALU_DEP_1)
	v_max_f32_e32 v7, v7, v8
	v_sub_f32_e32 v8, s10, v7
	s_delay_alu instid0(VALU_DEP_1) | instskip(NEXT) | instid1(VALU_DEP_1)
	v_dual_sub_f32 v0, v0, v7 :: v_dual_mul_f32 v9, 0x3fb8aa3b, v8
	v_fma_f32 v10, 0x3fb8aa3b, v8, -v9
	v_rndne_f32_e32 v11, v9
	s_delay_alu instid0(VALU_DEP_3) | instskip(NEXT) | instid1(VALU_DEP_2)
	v_mul_f32_e32 v12, 0x3fb8aa3b, v0
	v_dual_fmac_f32 v10, 0x32a5705f, v8 :: v_dual_sub_f32 v9, v9, v11
	v_cvt_i32_f32_e32 v11, v11
	s_delay_alu instid0(VALU_DEP_3) | instskip(SKIP_1) | instid1(VALU_DEP_4)
	v_fma_f32 v13, 0x3fb8aa3b, v0, -v12
	v_rndne_f32_e32 v14, v12
	v_add_f32_e32 v9, v9, v10
	v_cmp_ngt_f32_e32 vcc_lo, 0xc2ce8ed0, v8
	s_delay_alu instid0(VALU_DEP_3) | instskip(NEXT) | instid1(VALU_DEP_3)
	v_sub_f32_e32 v10, v12, v14
	v_exp_f32_e32 v9, v9
	s_waitcnt_depctr 0xfff
	v_ldexp_f32 v9, v9, v11
	v_cvt_i32_f32_e32 v11, v14
	s_delay_alu instid0(VALU_DEP_2) | instskip(SKIP_1) | instid1(VALU_DEP_2)
	v_cndmask_b32_e32 v9, 0, v9, vcc_lo
	v_cmp_nlt_f32_e32 vcc_lo, 0x42b17218, v8
	v_cndmask_b32_e32 v9, 0x7f800000, v9, vcc_lo
	v_cmp_ngt_f32_e32 vcc_lo, 0xc2ce8ed0, v0
	v_fmac_f32_e32 v13, 0x32a5705f, v0
	s_delay_alu instid0(VALU_DEP_1) | instskip(NEXT) | instid1(VALU_DEP_1)
	v_add_f32_e32 v10, v10, v13
	v_exp_f32_e32 v10, v10
	s_waitcnt_depctr 0xfff
	v_ldexp_f32 v10, v10, v11
	s_delay_alu instid0(VALU_DEP_1)
	v_dual_mov_b32 v11, v6 :: v_dual_cndmask_b32 v10, 0, v10
	v_cmp_le_f32_e32 vcc_lo, 0xc1a00000, v8
	s_waitcnt vmcnt(1)
	v_dual_cndmask_b32 v8, 0, v9 :: v_dual_mov_b32 v9, v5
	v_cmp_nlt_f32_e32 vcc_lo, 0x42b17218, v0
	v_cndmask_b32_e32 v5, 0x7f800000, v10, vcc_lo
	s_delay_alu instid0(VALU_DEP_3) | instskip(SKIP_2) | instid1(VALU_DEP_3)
	v_mul_f32_e32 v10, s11, v8
	v_cmp_le_f32_e32 vcc_lo, 0xc1a00000, v0
	v_mov_b32_e32 v0, v7
	v_mov_b32_e32 v6, v10
	s_waitcnt vmcnt(0)
	v_dual_cndmask_b32 v12, 0, v5 :: v_dual_mul_f32 v5, v4, v8
	s_delay_alu instid0(VALU_DEP_1) | instskip(NEXT) | instid1(VALU_DEP_2)
	v_dual_fmac_f32 v6, v11, v12 :: v_dual_add_nc_u32 v3, 0xfffffe00, v3
	v_fmac_f32_e32 v5, v9, v12
	s_cbranch_scc0 .LBB31_3
	s_branch .LBB31_5
.LBB31_4:
	s_waitcnt lgkmcnt(0)
	v_mov_b32_e32 v6, s10
.LBB31_5:
	s_waitcnt vmcnt(0)
	s_delay_alu instid0(VALU_DEP_1) | instskip(NEXT) | instid1(VALU_DEP_1)
	v_div_scale_f32 v0, null, v6, v6, v5
	v_rcp_f32_e32 v3, v0
	s_waitcnt_depctr 0xfff
	v_fma_f32 v4, -v0, v3, 1.0
	s_delay_alu instid0(VALU_DEP_1) | instskip(SKIP_1) | instid1(VALU_DEP_1)
	v_fmac_f32_e32 v3, v4, v3
	v_div_scale_f32 v4, vcc_lo, v5, v6, v5
	v_mul_f32_e32 v7, v4, v3
	s_delay_alu instid0(VALU_DEP_1) | instskip(NEXT) | instid1(VALU_DEP_1)
	v_fma_f32 v8, -v0, v7, v4
	v_fmac_f32_e32 v7, v8, v3
	s_delay_alu instid0(VALU_DEP_1) | instskip(NEXT) | instid1(VALU_DEP_1)
	v_fma_f32 v0, -v0, v7, v4
	v_div_fmas_f32 v0, v0, v3, v7
	s_delay_alu instid0(VALU_DEP_1)
	v_div_fixup_f32 v0, v0, v6, v5
	global_store_b32 v[1:2], v0, off
.LBB31_6:
	s_nop 0
	s_sendmsg sendmsg(MSG_DEALLOC_VGPRS)
	s_endpgm
	.section	.rodata,"a",@progbits
	.p2align	6, 0x0
	.amdhsa_kernel _ZL33flash_attn_stream_k_fixup_uniformILi128ELi1ELi4EEvPfPK15HIP_vector_typeIfLj2EEiiiiiiS1_IjLj3EES5_S5_
		.amdhsa_group_segment_fixed_size 0
		.amdhsa_private_segment_fixed_size 0
		.amdhsa_kernarg_size 76
		.amdhsa_user_sgpr_count 13
		.amdhsa_user_sgpr_dispatch_ptr 0
		.amdhsa_user_sgpr_queue_ptr 0
		.amdhsa_user_sgpr_kernarg_segment_ptr 1
		.amdhsa_user_sgpr_dispatch_id 0
		.amdhsa_user_sgpr_private_segment_size 0
		.amdhsa_wavefront_size32 1
		.amdhsa_uses_dynamic_stack 0
		.amdhsa_enable_private_segment 0
		.amdhsa_system_sgpr_workgroup_id_x 1
		.amdhsa_system_sgpr_workgroup_id_y 1
		.amdhsa_system_sgpr_workgroup_id_z 1
		.amdhsa_system_sgpr_workgroup_info 0
		.amdhsa_system_vgpr_workitem_id 0
		.amdhsa_next_free_vgpr 15
		.amdhsa_next_free_sgpr 20
		.amdhsa_reserve_vcc 1
		.amdhsa_float_round_mode_32 0
		.amdhsa_float_round_mode_16_64 0
		.amdhsa_float_denorm_mode_32 3
		.amdhsa_float_denorm_mode_16_64 3
		.amdhsa_dx10_clamp 1
		.amdhsa_ieee_mode 1
		.amdhsa_fp16_overflow 0
		.amdhsa_workgroup_processor_mode 1
		.amdhsa_memory_ordered 1
		.amdhsa_forward_progress 0
		.amdhsa_shared_vgpr_count 0
		.amdhsa_exception_fp_ieee_invalid_op 0
		.amdhsa_exception_fp_denorm_src 0
		.amdhsa_exception_fp_ieee_div_zero 0
		.amdhsa_exception_fp_ieee_overflow 0
		.amdhsa_exception_fp_ieee_underflow 0
		.amdhsa_exception_fp_ieee_inexact 0
		.amdhsa_exception_int_div_zero 0
	.end_amdhsa_kernel
	.section	.text._ZL33flash_attn_stream_k_fixup_uniformILi128ELi1ELi4EEvPfPK15HIP_vector_typeIfLj2EEiiiiiiS1_IjLj3EES5_S5_,"axG",@progbits,_ZL33flash_attn_stream_k_fixup_uniformILi128ELi1ELi4EEvPfPK15HIP_vector_typeIfLj2EEiiiiiiS1_IjLj3EES5_S5_,comdat
.Lfunc_end31:
	.size	_ZL33flash_attn_stream_k_fixup_uniformILi128ELi1ELi4EEvPfPK15HIP_vector_typeIfLj2EEiiiiiiS1_IjLj3EES5_S5_, .Lfunc_end31-_ZL33flash_attn_stream_k_fixup_uniformILi128ELi1ELi4EEvPfPK15HIP_vector_typeIfLj2EEiiiiiiS1_IjLj3EES5_S5_
                                        ; -- End function
	.section	.AMDGPU.csdata,"",@progbits
; Kernel info:
; codeLenInByte = 968
; NumSgprs: 22
; NumVgprs: 15
; ScratchSize: 0
; MemoryBound: 0
; FloatMode: 240
; IeeeMode: 1
; LDSByteSize: 0 bytes/workgroup (compile time only)
; SGPRBlocks: 2
; VGPRBlocks: 1
; NumSGPRsForWavesPerEU: 22
; NumVGPRsForWavesPerEU: 15
; Occupancy: 16
; WaveLimiterHint : 0
; COMPUTE_PGM_RSRC2:SCRATCH_EN: 0
; COMPUTE_PGM_RSRC2:USER_SGPR: 13
; COMPUTE_PGM_RSRC2:TRAP_HANDLER: 0
; COMPUTE_PGM_RSRC2:TGID_X_EN: 1
; COMPUTE_PGM_RSRC2:TGID_Y_EN: 1
; COMPUTE_PGM_RSRC2:TGID_Z_EN: 1
; COMPUTE_PGM_RSRC2:TIDIG_COMP_CNT: 0
	.section	.text._ZL33flash_attn_stream_k_fixup_generalILi128ELi1ELi4EEvPfPK15HIP_vector_typeIfLj2EEiiiiS1_IjLj3EES5_S5_S5_,"axG",@progbits,_ZL33flash_attn_stream_k_fixup_generalILi128ELi1ELi4EEvPfPK15HIP_vector_typeIfLj2EEiiiiS1_IjLj3EES5_S5_S5_,comdat
	.globl	_ZL33flash_attn_stream_k_fixup_generalILi128ELi1ELi4EEvPfPK15HIP_vector_typeIfLj2EEiiiiS1_IjLj3EES5_S5_S5_ ; -- Begin function _ZL33flash_attn_stream_k_fixup_generalILi128ELi1ELi4EEvPfPK15HIP_vector_typeIfLj2EEiiiiS1_IjLj3EES5_S5_S5_
	.p2align	8
	.type	_ZL33flash_attn_stream_k_fixup_generalILi128ELi1ELi4EEvPfPK15HIP_vector_typeIfLj2EEiiiiS1_IjLj3EES5_S5_S5_,@function
_ZL33flash_attn_stream_k_fixup_generalILi128ELi1ELi4EEvPfPK15HIP_vector_typeIfLj2EEiiiiS1_IjLj3EES5_S5_S5_: ; @_ZL33flash_attn_stream_k_fixup_generalILi128ELi1ELi4EEvPfPK15HIP_vector_typeIfLj2EEiiiiS1_IjLj3EES5_S5_S5_
; %bb.0:
	s_clause 0x1
	s_load_b128 s[4:7], s[0:1], 0x10
	s_load_b32 s20, s[0:1], 0x50
	s_mov_b32 s2, 0
	s_waitcnt lgkmcnt(0)
	s_mul_hi_i32 s3, s7, s13
	s_mul_i32 s12, s7, s13
	s_cmp_lg_u64 s[2:3], 0
	s_cbranch_scc0 .LBB32_21
; %bb.1:
	v_cvt_f32_ubyte0_e32 v1, 0
	v_cvt_f32_u32_e32 v2, s20
	s_sub_u32 s10, 0, s20
	s_subb_u32 s11, 0, 0
	s_delay_alu instid0(VALU_DEP_1) | instskip(NEXT) | instid1(VALU_DEP_1)
	v_fmamk_f32 v1, v1, 0x4f800000, v2
	v_rcp_f32_e32 v1, v1
	s_waitcnt_depctr 0xfff
	v_mul_f32_e32 v1, 0x5f7ffffc, v1
	s_delay_alu instid0(VALU_DEP_1) | instskip(NEXT) | instid1(VALU_DEP_1)
	v_mul_f32_e32 v2, 0x2f800000, v1
	v_trunc_f32_e32 v2, v2
	s_delay_alu instid0(VALU_DEP_1) | instskip(SKIP_1) | instid1(VALU_DEP_2)
	v_fmamk_f32 v1, v2, 0xcf800000, v1
	v_cvt_u32_f32_e32 v2, v2
	v_cvt_u32_f32_e32 v1, v1
	s_delay_alu instid0(VALU_DEP_2) | instskip(NEXT) | instid1(VALU_DEP_2)
	v_readfirstlane_b32 s8, v2
	v_readfirstlane_b32 s9, v1
	s_delay_alu instid0(VALU_DEP_2) | instskip(NEXT) | instid1(VALU_DEP_1)
	s_mul_i32 s16, s10, s8
	s_mul_hi_u32 s18, s10, s9
	s_mul_i32 s17, s11, s9
	s_add_i32 s16, s18, s16
	s_mul_i32 s19, s10, s9
	s_add_i32 s16, s16, s17
	s_mul_hi_u32 s18, s9, s19
	s_mul_hi_u32 s21, s8, s19
	s_mul_i32 s17, s8, s19
	s_mul_hi_u32 s19, s9, s16
	s_mul_i32 s9, s9, s16
	s_mul_hi_u32 s22, s8, s16
	s_add_u32 s9, s18, s9
	s_addc_u32 s18, 0, s19
	s_add_u32 s9, s9, s17
	s_mul_i32 s16, s8, s16
	s_addc_u32 s9, s18, s21
	s_addc_u32 s17, s22, 0
	s_add_u32 s9, s9, s16
	s_addc_u32 s16, 0, s17
	v_add_co_u32 v1, s9, v1, s9
	s_delay_alu instid0(VALU_DEP_1) | instskip(SKIP_1) | instid1(VALU_DEP_1)
	s_cmp_lg_u32 s9, 0
	s_addc_u32 s8, s8, s16
	v_readfirstlane_b32 s9, v1
	s_mul_i32 s16, s10, s8
	s_delay_alu instid0(VALU_DEP_1)
	s_mul_hi_u32 s17, s10, s9
	s_mul_i32 s11, s11, s9
	s_add_i32 s16, s17, s16
	s_mul_i32 s10, s10, s9
	s_add_i32 s16, s16, s11
	s_mul_hi_u32 s17, s8, s10
	s_mul_i32 s18, s8, s10
	s_mul_hi_u32 s10, s9, s10
	s_mul_hi_u32 s19, s9, s16
	s_mul_i32 s9, s9, s16
	s_mul_hi_u32 s11, s8, s16
	s_add_u32 s9, s10, s9
	s_addc_u32 s10, 0, s19
	s_add_u32 s9, s9, s18
	s_mul_i32 s16, s8, s16
	s_addc_u32 s9, s10, s17
	s_addc_u32 s10, s11, 0
	s_add_u32 s9, s9, s16
	s_addc_u32 s10, 0, s10
	v_add_co_u32 v1, s9, v1, s9
	s_delay_alu instid0(VALU_DEP_1) | instskip(SKIP_2) | instid1(SALU_CYCLE_1)
	s_cmp_lg_u32 s9, 0
	s_addc_u32 s16, s8, s10
	s_ashr_i32 s8, s3, 31
	s_add_u32 s10, s12, s8
	s_addc_u32 s11, s3, s8
	v_readfirstlane_b32 s3, v1
	s_mov_b32 s9, s8
	s_delay_alu instid0(SALU_CYCLE_1) | instskip(NEXT) | instid1(SALU_CYCLE_1)
	s_xor_b64 s[10:11], s[10:11], s[8:9]
	s_mul_i32 s18, s10, s16
	s_delay_alu instid0(VALU_DEP_1)
	s_mul_hi_u32 s19, s10, s3
	s_mul_hi_u32 s17, s10, s16
	;; [unrolled: 1-line block ×3, first 2 shown]
	s_mul_i32 s3, s11, s3
	s_add_u32 s18, s19, s18
	s_addc_u32 s17, 0, s17
	s_mul_hi_u32 s21, s11, s16
	s_add_u32 s3, s18, s3
	s_mul_i32 s16, s11, s16
	s_addc_u32 s3, s17, s22
	s_addc_u32 s17, s21, 0
	s_add_u32 s3, s3, s16
	s_addc_u32 s16, 0, s17
	s_mul_i32 s18, s20, s3
	s_add_u32 s17, s3, 1
	v_sub_co_u32 v1, s10, s10, s18
	s_mul_hi_u32 s18, s20, s3
	s_addc_u32 s19, s16, 0
	s_mul_i32 s21, s20, s16
	s_delay_alu instid0(VALU_DEP_1)
	v_sub_co_u32 v2, s22, v1, s20
	s_add_u32 s23, s3, 2
	s_addc_u32 s24, s16, 0
	s_add_i32 s18, s18, s21
	s_cmp_lg_u32 s10, 0
	v_readfirstlane_b32 s10, v2
	s_subb_u32 s11, s11, s18
	s_cmp_lg_u32 s22, 0
	s_subb_u32 s18, s11, 0
	s_delay_alu instid0(VALU_DEP_1) | instskip(SKIP_4) | instid1(SALU_CYCLE_1)
	s_cmp_ge_u32 s10, s20
	s_cselect_b32 s10, -1, 0
	s_cmp_eq_u32 s18, 0
	v_readfirstlane_b32 s18, v1
	s_cselect_b32 s10, s10, -1
	s_cmp_lg_u32 s10, 0
	s_cselect_b32 s10, s23, s17
	s_cselect_b32 s17, s24, s19
	s_cmp_ge_u32 s18, s20
	s_cselect_b32 s18, -1, 0
	s_cmp_eq_u32 s11, 0
	s_cselect_b32 s11, s18, -1
	s_delay_alu instid0(SALU_CYCLE_1) | instskip(SKIP_2) | instid1(SALU_CYCLE_1)
	s_cmp_lg_u32 s11, 0
	s_cselect_b32 s11, s17, s16
	s_cselect_b32 s10, s10, s3
	s_xor_b64 s[10:11], s[10:11], s[8:9]
	s_delay_alu instid0(SALU_CYCLE_1)
	s_sub_u32 s16, s10, s8
	s_load_b128 s[8:11], s[0:1], 0x44
	s_and_not1_b32 vcc_lo, exec_lo, s2
	s_cbranch_vccnz .LBB32_3
.LBB32_2:
	v_cvt_f32_u32_e32 v1, s20
	s_sub_i32 s3, 0, s20
	s_delay_alu instid0(VALU_DEP_1) | instskip(SKIP_2) | instid1(VALU_DEP_1)
	v_rcp_iflag_f32_e32 v1, v1
	s_waitcnt_depctr 0xfff
	v_mul_f32_e32 v1, 0x4f7ffffe, v1
	v_cvt_u32_f32_e32 v1, v1
	s_delay_alu instid0(VALU_DEP_1) | instskip(NEXT) | instid1(VALU_DEP_1)
	v_readfirstlane_b32 s2, v1
	s_mul_i32 s3, s3, s2
	s_delay_alu instid0(SALU_CYCLE_1) | instskip(NEXT) | instid1(SALU_CYCLE_1)
	s_mul_hi_u32 s3, s2, s3
	s_add_i32 s2, s2, s3
	s_delay_alu instid0(SALU_CYCLE_1) | instskip(NEXT) | instid1(SALU_CYCLE_1)
	s_mul_hi_u32 s2, s12, s2
	s_mul_i32 s3, s2, s20
	s_waitcnt lgkmcnt(0)
	s_add_i32 s11, s2, 1
	s_sub_i32 s3, s12, s3
	s_delay_alu instid0(SALU_CYCLE_1)
	s_sub_i32 s12, s3, s20
	s_cmp_ge_u32 s3, s20
	s_cselect_b32 s2, s11, s2
	s_cselect_b32 s3, s12, s3
	s_add_i32 s11, s2, 1
	s_cmp_ge_u32 s3, s20
	s_cselect_b32 s16, s11, s2
.LBB32_3:
	s_waitcnt lgkmcnt(0)
	s_add_i32 s11, s13, 1
	s_mov_b32 s2, 0
	s_mul_hi_i32 s3, s7, s11
	s_mul_i32 s11, s7, s11
	s_cmp_lg_u64 s[2:3], 0
	s_cbranch_scc0 .LBB32_22
; %bb.4:
	v_cvt_f32_ubyte0_e32 v1, 0
	v_cvt_f32_u32_e32 v2, s20
	s_sub_u32 s18, 0, s20
	s_subb_u32 s19, 0, 0
	s_delay_alu instid0(VALU_DEP_1) | instskip(NEXT) | instid1(VALU_DEP_1)
	v_fmamk_f32 v1, v1, 0x4f800000, v2
	v_rcp_f32_e32 v1, v1
	s_waitcnt_depctr 0xfff
	v_mul_f32_e32 v1, 0x5f7ffffc, v1
	s_delay_alu instid0(VALU_DEP_1) | instskip(NEXT) | instid1(VALU_DEP_1)
	v_mul_f32_e32 v2, 0x2f800000, v1
	v_trunc_f32_e32 v2, v2
	s_delay_alu instid0(VALU_DEP_1) | instskip(SKIP_1) | instid1(VALU_DEP_2)
	v_fmamk_f32 v1, v2, 0xcf800000, v1
	v_cvt_u32_f32_e32 v2, v2
	v_cvt_u32_f32_e32 v1, v1
	s_delay_alu instid0(VALU_DEP_2) | instskip(NEXT) | instid1(VALU_DEP_2)
	v_readfirstlane_b32 s12, v2
	v_readfirstlane_b32 s17, v1
	s_delay_alu instid0(VALU_DEP_2) | instskip(NEXT) | instid1(VALU_DEP_1)
	s_mul_i32 s21, s18, s12
	s_mul_hi_u32 s23, s18, s17
	s_mul_i32 s22, s19, s17
	s_add_i32 s21, s23, s21
	s_mul_i32 s24, s18, s17
	s_add_i32 s21, s21, s22
	s_mul_hi_u32 s23, s17, s24
	s_mul_hi_u32 s25, s12, s24
	s_mul_i32 s22, s12, s24
	s_mul_hi_u32 s24, s17, s21
	s_mul_i32 s17, s17, s21
	s_mul_hi_u32 s26, s12, s21
	s_add_u32 s17, s23, s17
	s_addc_u32 s23, 0, s24
	s_add_u32 s17, s17, s22
	s_mul_i32 s21, s12, s21
	s_addc_u32 s17, s23, s25
	s_addc_u32 s22, s26, 0
	s_add_u32 s17, s17, s21
	s_addc_u32 s21, 0, s22
	v_add_co_u32 v1, s17, v1, s17
	s_delay_alu instid0(VALU_DEP_1) | instskip(SKIP_1) | instid1(VALU_DEP_1)
	s_cmp_lg_u32 s17, 0
	s_addc_u32 s12, s12, s21
	v_readfirstlane_b32 s17, v1
	s_mul_i32 s21, s18, s12
	s_delay_alu instid0(VALU_DEP_1)
	s_mul_hi_u32 s22, s18, s17
	s_mul_i32 s19, s19, s17
	s_add_i32 s21, s22, s21
	s_mul_i32 s18, s18, s17
	s_add_i32 s21, s21, s19
	s_mul_hi_u32 s22, s12, s18
	s_mul_i32 s23, s12, s18
	s_mul_hi_u32 s18, s17, s18
	s_mul_hi_u32 s24, s17, s21
	s_mul_i32 s17, s17, s21
	s_mul_hi_u32 s19, s12, s21
	s_add_u32 s17, s18, s17
	s_addc_u32 s18, 0, s24
	s_add_u32 s17, s17, s23
	s_mul_i32 s21, s12, s21
	s_addc_u32 s17, s18, s22
	s_addc_u32 s18, s19, 0
	s_add_u32 s17, s17, s21
	s_addc_u32 s18, 0, s18
	v_add_co_u32 v1, s17, v1, s17
	s_delay_alu instid0(VALU_DEP_1) | instskip(SKIP_2) | instid1(SALU_CYCLE_1)
	s_cmp_lg_u32 s17, 0
	s_addc_u32 s12, s12, s18
	s_ashr_i32 s18, s3, 31
	s_add_u32 s22, s11, s18
	s_addc_u32 s23, s3, s18
	v_readfirstlane_b32 s3, v1
	s_mov_b32 s19, s18
	s_delay_alu instid0(SALU_CYCLE_1) | instskip(NEXT) | instid1(SALU_CYCLE_1)
	s_xor_b64 s[22:23], s[22:23], s[18:19]
	s_mul_i32 s21, s22, s12
	s_delay_alu instid0(VALU_DEP_1)
	s_mul_hi_u32 s24, s22, s3
	s_mul_hi_u32 s17, s22, s12
	;; [unrolled: 1-line block ×3, first 2 shown]
	s_mul_i32 s3, s23, s3
	s_add_u32 s21, s24, s21
	s_addc_u32 s17, 0, s17
	s_mul_hi_u32 s25, s23, s12
	s_add_u32 s3, s21, s3
	s_mul_i32 s12, s23, s12
	s_addc_u32 s3, s17, s26
	s_addc_u32 s17, s25, 0
	s_add_u32 s3, s3, s12
	s_addc_u32 s12, 0, s17
	s_mul_i32 s21, s20, s3
	s_add_u32 s17, s3, 1
	v_sub_co_u32 v1, s21, s22, s21
	s_mul_hi_u32 s22, s20, s3
	s_addc_u32 s24, s12, 0
	s_mul_i32 s25, s20, s12
	s_delay_alu instid0(VALU_DEP_1)
	v_sub_co_u32 v2, s26, v1, s20
	s_add_u32 s27, s3, 2
	s_addc_u32 s28, s12, 0
	s_add_i32 s22, s22, s25
	s_cmp_lg_u32 s21, 0
	v_readfirstlane_b32 s21, v2
	s_subb_u32 s22, s23, s22
	s_cmp_lg_u32 s26, 0
	s_subb_u32 s23, s22, 0
	s_delay_alu instid0(VALU_DEP_1) | instskip(SKIP_4) | instid1(SALU_CYCLE_1)
	s_cmp_ge_u32 s21, s20
	s_cselect_b32 s21, -1, 0
	s_cmp_eq_u32 s23, 0
	v_readfirstlane_b32 s23, v1
	s_cselect_b32 s21, s21, -1
	s_cmp_lg_u32 s21, 0
	s_cselect_b32 s17, s27, s17
	s_cselect_b32 s21, s28, s24
	s_cmp_ge_u32 s23, s20
	s_cselect_b32 s23, -1, 0
	s_cmp_eq_u32 s22, 0
	s_cselect_b32 s22, s23, -1
	s_delay_alu instid0(SALU_CYCLE_1) | instskip(SKIP_2) | instid1(SALU_CYCLE_1)
	s_cmp_lg_u32 s22, 0
	s_cselect_b32 s23, s21, s12
	s_cselect_b32 s22, s17, s3
	s_xor_b64 s[22:23], s[22:23], s[18:19]
	s_delay_alu instid0(SALU_CYCLE_1)
	s_sub_u32 s18, s22, s18
	s_and_not1_b32 vcc_lo, exec_lo, s2
	s_cbranch_vccnz .LBB32_6
.LBB32_5:
	v_cvt_f32_u32_e32 v1, s20
	s_sub_i32 s3, 0, s20
	s_delay_alu instid0(VALU_DEP_1) | instskip(SKIP_2) | instid1(VALU_DEP_1)
	v_rcp_iflag_f32_e32 v1, v1
	s_waitcnt_depctr 0xfff
	v_mul_f32_e32 v1, 0x4f7ffffe, v1
	v_cvt_u32_f32_e32 v1, v1
	s_delay_alu instid0(VALU_DEP_1) | instskip(NEXT) | instid1(VALU_DEP_1)
	v_readfirstlane_b32 s2, v1
	s_mul_i32 s3, s3, s2
	s_delay_alu instid0(SALU_CYCLE_1) | instskip(NEXT) | instid1(SALU_CYCLE_1)
	s_mul_hi_u32 s3, s2, s3
	s_add_i32 s2, s2, s3
	s_delay_alu instid0(SALU_CYCLE_1) | instskip(NEXT) | instid1(SALU_CYCLE_1)
	s_mul_hi_u32 s2, s11, s2
	s_mul_i32 s3, s2, s20
	s_delay_alu instid0(SALU_CYCLE_1)
	s_sub_i32 s3, s11, s3
	s_add_i32 s11, s2, 1
	s_sub_i32 s12, s3, s20
	s_cmp_ge_u32 s3, s20
	s_cselect_b32 s2, s11, s2
	s_cselect_b32 s3, s12, s3
	s_add_i32 s11, s2, 1
	s_cmp_ge_u32 s3, s20
	s_cselect_b32 s18, s11, s2
.LBB32_6:
	s_delay_alu instid0(SALU_CYCLE_1) | instskip(SKIP_3) | instid1(SALU_CYCLE_1)
	s_cmp_eq_u32 s16, s18
	s_mul_hi_u32 s2, s16, s8
	s_cselect_b32 s3, -1, 0
	s_add_i32 s2, s2, s16
	s_lshr_b32 s11, s2, s9
	s_delay_alu instid0(SALU_CYCLE_1) | instskip(NEXT) | instid1(SALU_CYCLE_1)
	s_mul_i32 s2, s11, s10
	s_cmp_eq_u32 s2, s16
	s_mul_hi_u32 s2, s18, s8
	s_cselect_b32 s12, -1, 0
	s_add_i32 s2, s2, s18
	s_delay_alu instid0(SALU_CYCLE_1) | instskip(NEXT) | instid1(SALU_CYCLE_1)
	s_lshr_b32 s2, s2, s9
	s_cmp_eq_u32 s11, s2
	s_mul_i32 s2, s2, s10
	s_cselect_b32 s17, -1, 0
	s_cmp_lg_u32 s2, s18
	s_cselect_b32 s2, -1, 0
	s_or_b32 s3, s3, s12
	s_and_b32 s2, s17, s2
	s_delay_alu instid0(SALU_CYCLE_1) | instskip(NEXT) | instid1(SALU_CYCLE_1)
	s_or_b32 s2, s3, s2
	s_and_b32 vcc_lo, exec_lo, s2
	s_cbranch_vccnz .LBB32_24
; %bb.7:
	s_load_b256 s[24:31], s[0:1], 0x20
	s_waitcnt lgkmcnt(0)
	s_mul_hi_u32 s2, s16, s24
	s_delay_alu instid0(SALU_CYCLE_1) | instskip(NEXT) | instid1(SALU_CYCLE_1)
	s_add_i32 s2, s2, s16
	s_lshr_b32 s17, s2, s25
	s_load_b32 s2, s[0:1], 0x40
	s_mul_i32 s3, s17, s26
	s_delay_alu instid0(SALU_CYCLE_1) | instskip(NEXT) | instid1(SALU_CYCLE_1)
	s_sub_i32 s3, s16, s3
	s_mul_hi_u32 s12, s3, s27
	s_delay_alu instid0(SALU_CYCLE_1) | instskip(NEXT) | instid1(SALU_CYCLE_1)
	s_add_i32 s12, s3, s12
	s_lshr_b32 s18, s12, s28
	s_delay_alu instid0(SALU_CYCLE_1) | instskip(NEXT) | instid1(SALU_CYCLE_1)
	s_mul_i32 s12, s18, s29
	s_sub_i32 s3, s3, s12
	s_delay_alu instid0(SALU_CYCLE_1) | instskip(NEXT) | instid1(SALU_CYCLE_1)
	s_mul_hi_u32 s12, s3, s30
	s_add_i32 s12, s3, s12
	s_delay_alu instid0(SALU_CYCLE_1)
	s_lshr_b32 s12, s12, s31
	s_waitcnt lgkmcnt(0)
	s_mul_i32 s2, s12, s2
	s_lshl_b32 s21, s12, 2
	s_sub_i32 s2, s3, s2
	s_mov_b32 s12, 0
	s_mul_hi_u32 s3, s2, s8
	s_delay_alu instid0(SALU_CYCLE_1) | instskip(NEXT) | instid1(SALU_CYCLE_1)
	s_add_i32 s2, s2, s3
	s_lshr_b32 s19, s2, s9
	s_delay_alu instid0(SALU_CYCLE_1) | instskip(NEXT) | instid1(SALU_CYCLE_1)
	s_add_i32 s19, s19, s14
	s_cmp_lt_i32 s19, s4
	s_cselect_b32 s2, -1, 0
	s_add_i32 s21, s21, s15
	s_delay_alu instid0(SALU_CYCLE_1) | instskip(SKIP_1) | instid1(SALU_CYCLE_1)
	s_cmp_lt_i32 s21, s6
	s_cselect_b32 s3, -1, 0
	s_and_b32 s2, s2, s3
	s_delay_alu instid0(SALU_CYCLE_1)
	s_and_not1_b32 vcc_lo, exec_lo, s2
	s_cbranch_vccnz .LBB32_24
; %bb.8:
	s_load_b128 s[0:3], s[0:1], 0x0
	s_lshl_b32 s22, s20, 4
	s_mov_b32 s23, s12
	s_mul_i32 s4, s17, s4
	s_lshl_b64 s[22:23], s[22:23], 2
	s_mul_i32 s18, s18, s6
	v_cvt_f32_ubyte0_e32 v4, 0
	v_cvt_f32_u32_e32 v5, s20
	s_waitcnt lgkmcnt(0)
	s_add_u32 s6, s2, s22
	s_addc_u32 s17, s3, s23
	s_add_i32 s4, s19, s4
	s_add_i32 s18, s21, s18
	s_mul_i32 s4, s4, s5
	s_delay_alu instid0(SALU_CYCLE_1) | instskip(NEXT) | instid1(SALU_CYCLE_1)
	s_add_i32 s18, s18, s4
	v_lshl_or_b32 v1, s18, 7, v0
	v_lshl_or_b32 v0, s15, 7, v0
	s_delay_alu instid0(VALU_DEP_2) | instskip(NEXT) | instid1(VALU_DEP_1)
	v_ashrrev_i32_e32 v2, 31, v1
	v_lshlrev_b64 v[1:2], 2, v[1:2]
	s_delay_alu instid0(VALU_DEP_1) | instskip(NEXT) | instid1(VALU_DEP_2)
	v_add_co_u32 v1, vcc_lo, s0, v1
	v_add_co_ci_u32_e32 v2, vcc_lo, s1, v2, vcc_lo
	s_add_i32 s0, s14, s13
	s_delay_alu instid0(SALU_CYCLE_1) | instskip(SKIP_2) | instid1(SALU_CYCLE_1)
	s_lshl_b32 s0, s0, 2
	global_load_b32 v3, v[1:2], off
	s_add_i32 s0, s0, s15
	s_ashr_i32 s1, s0, 31
	s_delay_alu instid0(SALU_CYCLE_1) | instskip(NEXT) | instid1(SALU_CYCLE_1)
	s_lshl_b64 s[0:1], s[0:1], 3
	s_add_u32 s0, s2, s0
	s_addc_u32 s1, s3, s1
	s_add_i32 s19, s13, -1
	s_load_b64 s[0:1], s[0:1], 0x0
	v_fmac_f32_e32 v5, 0x4f800000, v4
	s_sub_i32 s18, 0, s20
	s_waitcnt lgkmcnt(0)
	v_mov_b32_e32 v8, s0
	s_delay_alu instid0(VALU_DEP_2) | instskip(SKIP_2) | instid1(VALU_DEP_2)
	v_rcp_f32_e32 v4, v5
	v_cvt_f32_u32_e32 v5, s20
	v_mov_b32_e32 v7, s1
	v_rcp_iflag_f32_e32 v5, v5
	s_waitcnt_depctr 0xfff
	v_mul_f32_e32 v4, 0x5f7ffffc, v4
	s_delay_alu instid0(VALU_DEP_1) | instskip(SKIP_1) | instid1(VALU_DEP_2)
	v_mul_f32_e32 v6, 0x2f800000, v4
	v_mul_f32_e32 v9, 0x4f7ffffe, v5
	v_trunc_f32_e32 v6, v6
	s_delay_alu instid0(VALU_DEP_1) | instskip(SKIP_1) | instid1(VALU_DEP_4)
	v_fmac_f32_e32 v4, 0xcf800000, v6
	v_cvt_u32_f32_e32 v5, v6
	v_cvt_u32_f32_e32 v6, v9
	s_delay_alu instid0(VALU_DEP_3)
	v_cvt_u32_f32_e32 v4, v4
.LBB32_9:                               ; =>This Inner Loop Header: Depth=1
	s_mul_hi_i32 s13, s19, s7
	s_mul_i32 s4, s19, s7
	s_cmp_lg_u64 s[12:13], 0
	s_mov_b32 s5, -1
                                        ; implicit-def: $sgpr0_sgpr1
	s_cbranch_scc0 .LBB32_11
; %bb.10:                               ;   in Loop: Header=BB32_9 Depth=1
	v_readfirstlane_b32 s0, v4
	v_readfirstlane_b32 s1, v5
	s_sub_u32 s5, 0, s20
	s_subb_u32 s21, 0, 0
	s_delay_alu instid0(VALU_DEP_2) | instskip(NEXT) | instid1(VALU_DEP_1)
	s_mul_hi_u32 s22, s5, s0
	s_mul_i32 s23, s5, s1
	s_mul_i32 s24, s21, s0
	s_add_i32 s22, s22, s23
	s_mul_i32 s23, s5, s0
	s_add_i32 s22, s22, s24
	s_mul_hi_u32 s24, s0, s23
	s_mul_i32 s25, s0, s22
	s_mul_hi_u32 s0, s0, s22
	s_add_u32 s24, s24, s25
	s_mul_i32 s26, s1, s23
	s_addc_u32 s0, 0, s0
	s_mul_hi_u32 s23, s1, s23
	s_mul_hi_u32 s25, s1, s22
	s_add_u32 s24, s24, s26
	s_addc_u32 s0, s0, s23
	s_mul_i32 s22, s1, s22
	s_addc_u32 s23, s25, 0
	s_add_u32 s0, s0, s22
	s_addc_u32 s22, 0, s23
	v_add_co_u32 v9, s0, v4, s0
	s_delay_alu instid0(VALU_DEP_1) | instskip(SKIP_1) | instid1(VALU_DEP_1)
	s_cmp_lg_u32 s0, 0
	s_addc_u32 s1, s1, s22
	v_readfirstlane_b32 s0, v9
	s_mul_i32 s22, s5, s1
	s_delay_alu instid0(VALU_DEP_1)
	s_mul_hi_u32 s23, s5, s0
	s_mul_i32 s21, s21, s0
	s_add_i32 s22, s23, s22
	s_mul_i32 s5, s5, s0
	s_add_i32 s22, s22, s21
	s_mul_hi_u32 s21, s1, s5
	s_mul_i32 s24, s1, s5
	s_mul_i32 s25, s0, s22
	s_mul_hi_u32 s5, s0, s5
	s_mul_hi_u32 s0, s0, s22
	s_add_u32 s5, s5, s25
	s_addc_u32 s0, 0, s0
	s_mul_hi_u32 s23, s1, s22
	s_add_u32 s5, s5, s24
	s_addc_u32 s0, s0, s21
	s_mul_i32 s5, s1, s22
	s_addc_u32 s21, s23, 0
	s_add_u32 s0, s0, s5
	s_addc_u32 s5, 0, s21
	v_add_co_u32 v9, s0, v9, s0
	s_delay_alu instid0(VALU_DEP_1) | instskip(SKIP_2) | instid1(SALU_CYCLE_1)
	s_cmp_lg_u32 s0, 0
	s_addc_u32 s5, s1, s5
	s_ashr_i32 s0, s13, 31
	s_add_u32 s22, s4, s0
	s_addc_u32 s23, s13, s0
	v_readfirstlane_b32 s13, v9
	s_mov_b32 s1, s0
	s_delay_alu instid0(SALU_CYCLE_1) | instskip(NEXT) | instid1(SALU_CYCLE_1)
	s_xor_b64 s[22:23], s[22:23], s[0:1]
	s_mul_i32 s21, s22, s5
	s_delay_alu instid0(VALU_DEP_1)
	s_mul_hi_u32 s24, s22, s13
	s_mul_hi_u32 s25, s22, s5
	s_add_u32 s21, s24, s21
	s_mul_i32 s26, s23, s13
	s_addc_u32 s24, 0, s25
	s_mul_hi_u32 s13, s23, s13
	s_mul_hi_u32 s25, s23, s5
	s_add_u32 s21, s21, s26
	s_addc_u32 s13, s24, s13
	s_mul_i32 s5, s23, s5
	s_addc_u32 s21, s25, 0
	s_add_u32 s5, s13, s5
	s_addc_u32 s13, 0, s21
	s_mul_i32 s24, s20, s5
	s_add_u32 s21, s5, 1
	v_sub_co_u32 v9, s22, s22, s24
	s_addc_u32 s24, s13, 0
	s_mul_i32 s26, s20, s13
	s_mul_hi_u32 s28, s20, s5
	s_delay_alu instid0(VALU_DEP_1)
	v_sub_co_u32 v10, s27, v9, s20
	s_add_u32 s25, s5, 2
	s_addc_u32 s29, s13, 0
	s_add_i32 s28, s28, s26
	s_cmp_lg_u32 s22, 0
	v_readfirstlane_b32 s22, v10
	s_subb_u32 s23, s23, s28
	s_cmp_lg_u32 s27, 0
	s_subb_u32 s26, s23, 0
	s_delay_alu instid0(VALU_DEP_1) | instskip(SKIP_4) | instid1(SALU_CYCLE_1)
	s_cmp_ge_u32 s22, s20
	s_cselect_b32 s22, -1, 0
	s_cmp_eq_u32 s26, 0
	v_readfirstlane_b32 s26, v9
	s_cselect_b32 s22, s22, -1
	s_cmp_lg_u32 s22, 0
	s_cselect_b32 s21, s25, s21
	s_cselect_b32 s22, s29, s24
	s_cmp_ge_u32 s26, s20
	s_cselect_b32 s24, -1, 0
	s_cmp_eq_u32 s23, 0
	s_cselect_b32 s23, s24, -1
	s_delay_alu instid0(SALU_CYCLE_1) | instskip(SKIP_4) | instid1(SALU_CYCLE_1)
	s_cmp_lg_u32 s23, 0
	s_cselect_b32 s23, s22, s13
	s_cselect_b32 s22, s21, s5
	s_mov_b32 s5, 0
	s_xor_b64 s[22:23], s[22:23], s[0:1]
	s_sub_u32 s0, s22, s0
.LBB32_11:                              ;   in Loop: Header=BB32_9 Depth=1
	s_and_not1_b32 vcc_lo, exec_lo, s5
	s_cbranch_vccnz .LBB32_13
; %bb.12:                               ;   in Loop: Header=BB32_9 Depth=1
	v_readfirstlane_b32 s0, v6
	s_delay_alu instid0(VALU_DEP_1) | instskip(NEXT) | instid1(SALU_CYCLE_1)
	s_mul_i32 s1, s18, s0
	s_mul_hi_u32 s1, s0, s1
	s_delay_alu instid0(SALU_CYCLE_1) | instskip(NEXT) | instid1(SALU_CYCLE_1)
	s_add_i32 s0, s0, s1
	s_mul_hi_u32 s0, s4, s0
	s_delay_alu instid0(SALU_CYCLE_1) | instskip(NEXT) | instid1(SALU_CYCLE_1)
	s_mul_i32 s1, s0, s20
	s_sub_i32 s1, s4, s1
	s_add_i32 s4, s0, 1
	s_sub_i32 s5, s1, s20
	s_cmp_ge_u32 s1, s20
	s_cselect_b32 s0, s4, s0
	s_cselect_b32 s1, s5, s1
	s_add_i32 s4, s0, 1
	s_cmp_ge_u32 s1, s20
	s_cselect_b32 s0, s4, s0
.LBB32_13:                              ;   in Loop: Header=BB32_9 Depth=1
	s_delay_alu instid0(SALU_CYCLE_1)
	s_cmp_lg_u32 s16, s0
	s_cbranch_scc0 .LBB32_17
; %bb.14:                               ;   in Loop: Header=BB32_9 Depth=1
	s_add_i32 s22, s19, s14
	s_mov_b32 s5, s12
	s_add_i32 s1, s22, s20
	s_mov_b32 s21, s16
	s_lshl_b32 s1, s1, 2
	s_delay_alu instid0(SALU_CYCLE_1) | instskip(SKIP_2) | instid1(SALU_CYCLE_1)
	s_add_i32 s4, s1, s15
	s_mul_hi_u32 s1, s0, s8
	s_lshl_b64 s[4:5], s[4:5], 3
	s_add_u32 s4, s2, s4
	s_addc_u32 s5, s3, s5
	s_add_i32 s1, s1, s0
	s_delay_alu instid0(SALU_CYCLE_1) | instskip(NEXT) | instid1(SALU_CYCLE_1)
	s_lshr_b32 s1, s1, s9
	s_mul_i32 s13, s1, s10
	s_delay_alu instid0(SALU_CYCLE_1) | instskip(SKIP_3) | instid1(SALU_CYCLE_1)
	s_cmp_eq_u32 s13, s0
	s_cselect_b32 s13, -1, 0
	s_cmp_lt_u32 s1, s11
	s_cselect_b32 s1, -1, 0
	s_or_b32 s1, s1, s13
	s_mov_b32 s13, -1
	s_and_b32 vcc_lo, exec_lo, s1
	s_mov_b32 s1, s19
	s_cbranch_vccnz .LBB32_16
; %bb.15:                               ;   in Loop: Header=BB32_9 Depth=1
	s_add_i32 s1, s19, -1
	s_mov_b32 s13, 0
	s_mov_b32 s21, s0
.LBB32_16:                              ;   in Loop: Header=BB32_9 Depth=1
	v_lshl_add_u32 v9, s22, 9, v0
	s_load_b64 s[4:5], s[4:5], 0x0
	s_delay_alu instid0(VALU_DEP_1) | instskip(NEXT) | instid1(VALU_DEP_1)
	v_ashrrev_i32_e32 v10, 31, v9
	v_lshlrev_b64 v[9:10], 2, v[9:10]
	s_delay_alu instid0(VALU_DEP_1) | instskip(NEXT) | instid1(VALU_DEP_2)
	v_add_co_u32 v9, vcc_lo, s6, v9
	v_add_co_ci_u32_e32 v10, vcc_lo, s17, v10, vcc_lo
	s_waitcnt lgkmcnt(0)
	v_max_f32_e64 v11, s4, s4
	global_load_b32 v10, v[9:10], off
	v_max_f32_e32 v9, v8, v8
	s_delay_alu instid0(VALU_DEP_1) | instskip(NEXT) | instid1(VALU_DEP_1)
	v_max_f32_e32 v9, v9, v11
	v_sub_f32_e32 v12, v8, v9
	s_delay_alu instid0(VALU_DEP_1) | instskip(NEXT) | instid1(VALU_DEP_1)
	v_dual_mul_f32 v14, 0x3fb8aa3b, v12 :: v_dual_sub_f32 v11, s4, v9
	v_rndne_f32_e32 v18, v14
	s_delay_alu instid0(VALU_DEP_2) | instskip(SKIP_2) | instid1(VALU_DEP_4)
	v_mul_f32_e32 v13, 0x3fb8aa3b, v11
	v_fma_f32 v17, 0x3fb8aa3b, v12, -v14
	v_cmp_ngt_f32_e32 vcc_lo, 0xc2ce8ed0, v11
	v_sub_f32_e32 v14, v14, v18
	s_delay_alu instid0(VALU_DEP_4) | instskip(SKIP_2) | instid1(VALU_DEP_3)
	v_fma_f32 v15, 0x3fb8aa3b, v11, -v13
	v_rndne_f32_e32 v16, v13
	v_fmac_f32_e32 v17, 0x32a5705f, v12
	v_fmac_f32_e32 v15, 0x32a5705f, v11
	s_delay_alu instid0(VALU_DEP_2) | instskip(NEXT) | instid1(VALU_DEP_1)
	v_dual_sub_f32 v13, v13, v16 :: v_dual_add_f32 v14, v14, v17
	v_add_f32_e32 v13, v13, v15
	s_delay_alu instid0(VALU_DEP_2) | instskip(SKIP_2) | instid1(VALU_DEP_3)
	v_exp_f32_e32 v14, v14
	v_cvt_i32_f32_e32 v15, v16
	v_cvt_i32_f32_e32 v16, v18
	v_exp_f32_e32 v13, v13
	s_waitcnt_depctr 0xfff
	v_ldexp_f32 v14, v14, v16
	v_ldexp_f32 v13, v13, v15
	s_delay_alu instid0(VALU_DEP_1) | instskip(SKIP_1) | instid1(VALU_DEP_4)
	v_cndmask_b32_e32 v13, 0, v13, vcc_lo
	v_cmp_ngt_f32_e32 vcc_lo, 0xc2ce8ed0, v12
	v_cndmask_b32_e32 v14, 0, v14, vcc_lo
	v_cmp_nlt_f32_e32 vcc_lo, 0x42b17218, v11
	s_delay_alu instid0(VALU_DEP_4) | instskip(SKIP_1) | instid1(VALU_DEP_4)
	v_cndmask_b32_e32 v13, 0x7f800000, v13, vcc_lo
	v_cmp_nlt_f32_e32 vcc_lo, 0x42b17218, v12
	v_cndmask_b32_e32 v14, 0x7f800000, v14, vcc_lo
	v_cmp_le_f32_e32 vcc_lo, 0xc1a00000, v11
	s_delay_alu instid0(VALU_DEP_4) | instskip(SKIP_1) | instid1(VALU_DEP_4)
	v_cndmask_b32_e32 v11, 0, v13, vcc_lo
	v_cmp_le_f32_e32 vcc_lo, 0xc1a00000, v12
	v_cndmask_b32_e32 v12, 0, v14, vcc_lo
	s_waitcnt vmcnt(0)
	s_delay_alu instid0(VALU_DEP_3) | instskip(NEXT) | instid1(VALU_DEP_1)
	v_mul_f32_e32 v10, v10, v11
	v_dual_mul_f32 v11, s5, v11 :: v_dual_fmac_f32 v10, v3, v12
	s_delay_alu instid0(VALU_DEP_1)
	v_fmac_f32_e32 v11, v7, v12
	s_cbranch_execz .LBB32_18
	s_branch .LBB32_19
.LBB32_17:                              ;   in Loop: Header=BB32_9 Depth=1
                                        ; implicit-def: $sgpr13
                                        ; implicit-def: $vgpr10
                                        ; implicit-def: $vgpr9
                                        ; implicit-def: $vgpr11
                                        ; implicit-def: $sgpr1
                                        ; implicit-def: $sgpr21
.LBB32_18:                              ;   in Loop: Header=BB32_9 Depth=1
	v_mov_b32_e32 v11, v7
	s_waitcnt vmcnt(0)
	v_dual_mov_b32 v9, v8 :: v_dual_mov_b32 v10, v3
	s_add_i32 s1, s19, -1
	s_mov_b32 s13, 0
	s_mov_b32 s21, s16
.LBB32_19:                              ;   in Loop: Header=BB32_9 Depth=1
	s_and_not1_b32 vcc_lo, exec_lo, s13
	s_cbranch_vccz .LBB32_23
; %bb.20:                               ;   in Loop: Header=BB32_9 Depth=1
	v_dual_mov_b32 v7, v11 :: v_dual_mov_b32 v8, v9
	s_waitcnt vmcnt(0)
	v_mov_b32_e32 v3, v10
	s_mov_b32 s16, s21
	s_mov_b32 s19, s1
	s_branch .LBB32_9
.LBB32_21:
                                        ; implicit-def: $sgpr16_sgpr17
	s_load_b128 s[8:11], s[0:1], 0x44
	s_branch .LBB32_2
.LBB32_22:
                                        ; implicit-def: $sgpr18_sgpr19
	s_branch .LBB32_5
.LBB32_23:
	v_div_scale_f32 v0, null, v11, v11, v10
	s_waitcnt vmcnt(0)
	s_delay_alu instid0(VALU_DEP_1) | instskip(SKIP_2) | instid1(VALU_DEP_1)
	v_rcp_f32_e32 v3, v0
	s_waitcnt_depctr 0xfff
	v_fma_f32 v4, -v0, v3, 1.0
	v_fmac_f32_e32 v3, v4, v3
	v_div_scale_f32 v4, vcc_lo, v10, v11, v10
	s_delay_alu instid0(VALU_DEP_1) | instskip(NEXT) | instid1(VALU_DEP_1)
	v_mul_f32_e32 v5, v4, v3
	v_fma_f32 v6, -v0, v5, v4
	s_delay_alu instid0(VALU_DEP_1) | instskip(NEXT) | instid1(VALU_DEP_1)
	v_fmac_f32_e32 v5, v6, v3
	v_fma_f32 v0, -v0, v5, v4
	s_delay_alu instid0(VALU_DEP_1) | instskip(NEXT) | instid1(VALU_DEP_1)
	v_div_fmas_f32 v0, v0, v3, v5
	v_div_fixup_f32 v0, v0, v11, v10
	global_store_b32 v[1:2], v0, off
.LBB32_24:
	s_nop 0
	s_sendmsg sendmsg(MSG_DEALLOC_VGPRS)
	s_endpgm
	.section	.rodata,"a",@progbits
	.p2align	6, 0x0
	.amdhsa_kernel _ZL33flash_attn_stream_k_fixup_generalILi128ELi1ELi4EEvPfPK15HIP_vector_typeIfLj2EEiiiiS1_IjLj3EES5_S5_S5_
		.amdhsa_group_segment_fixed_size 0
		.amdhsa_private_segment_fixed_size 0
		.amdhsa_kernarg_size 336
		.amdhsa_user_sgpr_count 13
		.amdhsa_user_sgpr_dispatch_ptr 0
		.amdhsa_user_sgpr_queue_ptr 0
		.amdhsa_user_sgpr_kernarg_segment_ptr 1
		.amdhsa_user_sgpr_dispatch_id 0
		.amdhsa_user_sgpr_private_segment_size 0
		.amdhsa_wavefront_size32 1
		.amdhsa_uses_dynamic_stack 0
		.amdhsa_enable_private_segment 0
		.amdhsa_system_sgpr_workgroup_id_x 1
		.amdhsa_system_sgpr_workgroup_id_y 1
		.amdhsa_system_sgpr_workgroup_id_z 1
		.amdhsa_system_sgpr_workgroup_info 0
		.amdhsa_system_vgpr_workitem_id 0
		.amdhsa_next_free_vgpr 19
		.amdhsa_next_free_sgpr 32
		.amdhsa_reserve_vcc 1
		.amdhsa_float_round_mode_32 0
		.amdhsa_float_round_mode_16_64 0
		.amdhsa_float_denorm_mode_32 3
		.amdhsa_float_denorm_mode_16_64 3
		.amdhsa_dx10_clamp 1
		.amdhsa_ieee_mode 1
		.amdhsa_fp16_overflow 0
		.amdhsa_workgroup_processor_mode 1
		.amdhsa_memory_ordered 1
		.amdhsa_forward_progress 0
		.amdhsa_shared_vgpr_count 0
		.amdhsa_exception_fp_ieee_invalid_op 0
		.amdhsa_exception_fp_denorm_src 0
		.amdhsa_exception_fp_ieee_div_zero 0
		.amdhsa_exception_fp_ieee_overflow 0
		.amdhsa_exception_fp_ieee_underflow 0
		.amdhsa_exception_fp_ieee_inexact 0
		.amdhsa_exception_int_div_zero 0
	.end_amdhsa_kernel
	.section	.text._ZL33flash_attn_stream_k_fixup_generalILi128ELi1ELi4EEvPfPK15HIP_vector_typeIfLj2EEiiiiS1_IjLj3EES5_S5_S5_,"axG",@progbits,_ZL33flash_attn_stream_k_fixup_generalILi128ELi1ELi4EEvPfPK15HIP_vector_typeIfLj2EEiiiiS1_IjLj3EES5_S5_S5_,comdat
.Lfunc_end32:
	.size	_ZL33flash_attn_stream_k_fixup_generalILi128ELi1ELi4EEvPfPK15HIP_vector_typeIfLj2EEiiiiS1_IjLj3EES5_S5_S5_, .Lfunc_end32-_ZL33flash_attn_stream_k_fixup_generalILi128ELi1ELi4EEvPfPK15HIP_vector_typeIfLj2EEiiiiS1_IjLj3EES5_S5_S5_
                                        ; -- End function
	.section	.AMDGPU.csdata,"",@progbits
; Kernel info:
; codeLenInByte = 3200
; NumSgprs: 34
; NumVgprs: 19
; ScratchSize: 0
; MemoryBound: 0
; FloatMode: 240
; IeeeMode: 1
; LDSByteSize: 0 bytes/workgroup (compile time only)
; SGPRBlocks: 4
; VGPRBlocks: 2
; NumSGPRsForWavesPerEU: 34
; NumVGPRsForWavesPerEU: 19
; Occupancy: 16
; WaveLimiterHint : 0
; COMPUTE_PGM_RSRC2:SCRATCH_EN: 0
; COMPUTE_PGM_RSRC2:USER_SGPR: 13
; COMPUTE_PGM_RSRC2:TRAP_HANDLER: 0
; COMPUTE_PGM_RSRC2:TGID_X_EN: 1
; COMPUTE_PGM_RSRC2:TGID_Y_EN: 1
; COMPUTE_PGM_RSRC2:TGID_Z_EN: 1
; COMPUTE_PGM_RSRC2:TIDIG_COMP_CNT: 0
	.section	.text._ZL15flash_attn_tileILi128ELi128ELi32ELi2ELb0EEvPKcS1_S1_S1_S1_PKiPfP15HIP_vector_typeIfLj2EEffffjfiS5_IjLj3EEiiiiiiiiiiiliiliiiiil,"axG",@progbits,_ZL15flash_attn_tileILi128ELi128ELi32ELi2ELb0EEvPKcS1_S1_S1_S1_PKiPfP15HIP_vector_typeIfLj2EEffffjfiS5_IjLj3EEiiiiiiiiiiiliiliiiiil,comdat
	.globl	_ZL15flash_attn_tileILi128ELi128ELi32ELi2ELb0EEvPKcS1_S1_S1_S1_PKiPfP15HIP_vector_typeIfLj2EEffffjfiS5_IjLj3EEiiiiiiiiiiiliiliiiiil ; -- Begin function _ZL15flash_attn_tileILi128ELi128ELi32ELi2ELb0EEvPKcS1_S1_S1_S1_PKiPfP15HIP_vector_typeIfLj2EEffffjfiS5_IjLj3EEiiiiiiiiiiiliiliiiiil
	.p2align	8
	.type	_ZL15flash_attn_tileILi128ELi128ELi32ELi2ELb0EEvPKcS1_S1_S1_S1_PKiPfP15HIP_vector_typeIfLj2EEffffjfiS5_IjLj3EEiiiiiiiiiiiliiliiiiil,@function
_ZL15flash_attn_tileILi128ELi128ELi32ELi2ELb0EEvPKcS1_S1_S1_S1_PKiPfP15HIP_vector_typeIfLj2EEffffjfiS5_IjLj3EEiiiiiiiiiiiliiliiiiil: ; @_ZL15flash_attn_tileILi128ELi128ELi32ELi2ELb0EEvPKcS1_S1_S1_S1_PKiPfP15HIP_vector_typeIfLj2EEffffjfiS5_IjLj3EEiiiiiiiiiiiliiliiiiil
; %bb.0:
	s_clause 0x1
	s_load_b128 s[24:27], s[0:1], 0x5c
	s_load_b64 s[30:31], s[0:1], 0x80
	s_mov_b64 s[34:35], 0
	s_waitcnt lgkmcnt(0)
	s_lshr_b32 s2, s27, 31
	s_delay_alu instid0(SALU_CYCLE_1) | instskip(NEXT) | instid1(SALU_CYCLE_1)
	s_add_i32 s2, s27, s2
	s_ashr_i32 s2, s2, 1
	s_delay_alu instid0(SALU_CYCLE_1) | instskip(SKIP_1) | instid1(VALU_DEP_1)
	v_cvt_f32_u32_e32 v1, s2
	s_sub_i32 s4, 0, s2
	v_rcp_iflag_f32_e32 v1, v1
	s_waitcnt_depctr 0xfff
	v_mul_f32_e32 v1, 0x4f7ffffe, v1
	s_delay_alu instid0(VALU_DEP_1) | instskip(NEXT) | instid1(VALU_DEP_1)
	v_cvt_u32_f32_e32 v1, v1
	v_readfirstlane_b32 s3, v1
	s_delay_alu instid0(VALU_DEP_1) | instskip(NEXT) | instid1(SALU_CYCLE_1)
	s_mul_i32 s4, s4, s3
	s_mul_hi_u32 s4, s3, s4
	s_delay_alu instid0(SALU_CYCLE_1) | instskip(NEXT) | instid1(SALU_CYCLE_1)
	s_add_i32 s3, s3, s4
	s_mul_hi_u32 s3, s15, s3
	s_delay_alu instid0(SALU_CYCLE_1) | instskip(SKIP_2) | instid1(SALU_CYCLE_1)
	s_mul_i32 s4, s3, s2
	s_add_i32 s5, s3, 1
	s_sub_i32 s4, s15, s4
	s_sub_i32 s6, s4, s2
	s_cmp_ge_u32 s4, s2
	s_cselect_b32 s3, s5, s3
	s_cselect_b32 s4, s6, s4
	s_add_i32 s5, s3, 1
	s_cmp_ge_u32 s4, s2
	s_cselect_b32 s33, s5, s3
	s_abs_i32 s2, s31
	s_abs_i32 s7, s27
	v_cvt_f32_u32_e32 v1, s2
	s_sub_i32 s4, 0, s2
	s_lshl_b32 s5, s15, 1
	s_mul_i32 s6, s33, s27
	s_delay_alu instid0(VALU_DEP_1) | instskip(SKIP_3) | instid1(VALU_DEP_1)
	v_rcp_iflag_f32_e32 v1, v1
	s_sub_i32 s28, s5, s6
	s_waitcnt_depctr 0xfff
	v_mul_f32_e32 v1, 0x4f7ffffe, v1
	v_cvt_u32_f32_e32 v1, v1
	s_delay_alu instid0(VALU_DEP_1) | instskip(NEXT) | instid1(VALU_DEP_1)
	v_readfirstlane_b32 s3, v1
	s_mul_i32 s4, s4, s3
	s_delay_alu instid0(SALU_CYCLE_1) | instskip(NEXT) | instid1(SALU_CYCLE_1)
	s_mul_hi_u32 s4, s3, s4
	s_add_i32 s3, s3, s4
	s_xor_b32 s4, s27, s31
	s_mul_hi_u32 s3, s7, s3
	s_ashr_i32 s4, s4, 31
	s_mul_i32 s5, s3, s2
	s_add_i32 s6, s3, 1
	s_sub_i32 s5, s7, s5
	s_delay_alu instid0(SALU_CYCLE_1)
	s_sub_i32 s7, s5, s2
	s_cmp_ge_u32 s5, s2
	s_cselect_b32 s3, s6, s3
	s_cselect_b32 s5, s7, s5
	s_add_i32 s6, s3, 1
	s_cmp_ge_u32 s5, s2
	s_cselect_b32 s2, s6, s3
	s_delay_alu instid0(SALU_CYCLE_1) | instskip(NEXT) | instid1(SALU_CYCLE_1)
	s_xor_b32 s2, s2, s4
	s_sub_i32 s9, s2, s4
	s_clause 0x1
	s_load_b512 s[36:51], s[0:1], 0x0
	s_load_b64 s[2:3], s[0:1], 0xb8
	s_abs_i32 s8, s9
	s_delay_alu instid0(SALU_CYCLE_1) | instskip(NEXT) | instid1(VALU_DEP_1)
	v_cvt_f32_u32_e32 v1, s8
	v_rcp_iflag_f32_e32 v1, v1
	s_waitcnt_depctr 0xfff
	v_mul_f32_e32 v1, 0x4f7ffffe, v1
	s_waitcnt lgkmcnt(0)
	s_cmp_eq_u64 s[42:43], 0
	s_delay_alu instid0(VALU_DEP_1) | instskip(NEXT) | instid1(VALU_DEP_1)
	v_cvt_u32_f32_e32 v1, v1
	v_readfirstlane_b32 s10, v1
	s_cbranch_scc1 .LBB33_2
; %bb.1:
	s_abs_i32 s2, s2
	s_abs_i32 s6, s33
	v_cvt_f32_u32_e32 v1, s2
	s_sub_i32 s5, 0, s2
	s_delay_alu instid0(VALU_DEP_1) | instskip(SKIP_2) | instid1(VALU_DEP_1)
	v_rcp_iflag_f32_e32 v1, v1
	s_waitcnt_depctr 0xfff
	v_mul_f32_e32 v1, 0x4f7ffffe, v1
	v_cvt_u32_f32_e32 v1, v1
	s_delay_alu instid0(VALU_DEP_1) | instskip(NEXT) | instid1(VALU_DEP_1)
	v_readfirstlane_b32 s4, v1
	s_mul_i32 s5, s5, s4
	s_delay_alu instid0(SALU_CYCLE_1) | instskip(NEXT) | instid1(SALU_CYCLE_1)
	s_mul_hi_u32 s5, s4, s5
	s_add_i32 s7, s4, s5
	s_load_b64 s[4:5], s[0:1], 0xc8
	s_mul_hi_u32 s7, s6, s7
	s_delay_alu instid0(SALU_CYCLE_1) | instskip(NEXT) | instid1(SALU_CYCLE_1)
	s_mul_i32 s7, s7, s2
	s_sub_i32 s6, s6, s7
	s_ashr_i32 s7, s33, 31
	s_sub_i32 s11, s6, s2
	s_cmp_ge_u32 s6, s2
	s_cselect_b32 s6, s11, s6
	s_delay_alu instid0(SALU_CYCLE_1) | instskip(SKIP_2) | instid1(SALU_CYCLE_1)
	s_sub_i32 s11, s6, s2
	s_cmp_ge_u32 s6, s2
	s_cselect_b32 s2, s11, s6
	s_xor_b32 s2, s2, s7
	s_delay_alu instid0(SALU_CYCLE_1)
	s_sub_i32 s2, s2, s7
	s_waitcnt lgkmcnt(0)
	s_mul_i32 s5, s2, s5
	s_mul_hi_u32 s6, s2, s4
	s_ashr_i32 s7, s2, 31
	s_add_i32 s5, s6, s5
	s_mul_i32 s7, s7, s4
	s_mul_i32 s2, s2, s4
	s_add_i32 s5, s5, s7
	s_add_u32 s34, s42, s2
	s_addc_u32 s35, s43, s5
.LBB33_2:
	v_bfe_u32 v8, v0, 10, 10
	s_lshl_b32 s31, s13, 5
	s_load_b128 s[4:7], s[0:1], 0x70
	v_and_b32_e32 v214, 0x3ff, v0
	s_delay_alu instid0(VALU_DEP_2) | instskip(SKIP_1) | instid1(VALU_DEP_2)
	v_lshlrev_b32_e32 v17, 3, v8
	v_lshlrev_b32_e32 v107, 2, v8
	v_or_b32_e32 v35, 2, v17
	s_delay_alu instid0(VALU_DEP_2)
	v_add_nc_u32_e32 v215, s31, v107
	v_or_b32_e32 v36, 3, v17
	v_or_b32_e32 v37, 4, v17
	;; [unrolled: 1-line block ×3, first 2 shown]
	v_lshrrev_b32_e32 v105, 1, v35
	v_mul_hi_u32 v1, v215, s24
	v_lshrrev_b32_e32 v106, 1, v36
	v_lshrrev_b32_e32 v102, 1, v37
	;; [unrolled: 1-line block ×3, first 2 shown]
	v_add_nc_u32_e32 v212, s31, v105
	v_or_b32_e32 v39, 6, v17
	s_waitcnt lgkmcnt(0)
	s_mul_i32 s2, s33, s6
	v_add_nc_u32_e32 v211, s31, v106
	v_add_nc_u32_e32 v0, v215, v1
	v_mul_hi_u32 v1, v212, s24
	s_mul_i32 s6, s28, s5
	s_ashr_i32 s7, s2, 31
	s_add_u32 s2, s36, s2
	v_lshrrev_b32_e32 v0, s25, v0
	s_addc_u32 s7, s37, s7
	s_ashr_i32 s11, s6, 31
	s_add_u32 s2, s2, s6
	v_add_nc_u32_e32 v1, v212, v1
	v_mul_lo_u32 v0, v0, s26
	v_mul_hi_u32 v3, v211, s24
	s_addc_u32 s6, s7, s11
	s_ashr_i32 s7, s4, 31
	v_lshrrev_b32_e32 v1, s25, v1
	v_alignbit_b32 v21, s7, s4, 2
	s_lshr_b32 s4, s7, 2
	v_add_nc_u32_e32 v104, s31, v102
	v_sub_nc_u32_e32 v10, v215, v0
	v_mul_lo_u32 v2, v1, s26
	v_add_nc_u32_e32 v4, v211, v3
	s_ashr_i32 s7, s5, 31
	v_mul_hi_u32 v11, v104, s24
	v_mad_u64_u32 v[0:1], null, v21, v10, 0
	s_delay_alu instid0(VALU_DEP_3)
	v_lshrrev_b32_e32 v7, s25, v4
	s_and_b32 s5, s5, -4
	v_sub_nc_u32_e32 v6, v212, v2
	s_add_u32 s5, s2, s5
	s_addc_u32 s7, s6, s7
	v_mul_lo_u32 v7, v7, s26
	v_add_nc_u32_e32 v101, s31, v99
	v_mad_u64_u32 v[2:3], null, v21, v6, 0
	v_or_b32_e32 v40, 7, v17
	v_lshrrev_b32_e32 v98, 1, v39
	v_lshlrev_b32_e32 v35, 6, v35
	v_lshlrev_b32_e32 v36, 6, v36
	v_sub_nc_u32_e32 v18, v211, v7
	v_lshrrev_b32_e32 v96, 1, v40
	v_mad_u64_u32 v[4:5], null, s4, v10, v[1:2]
	v_add_nc_u32_e32 v100, s31, v98
	v_lshlrev_b32_e32 v43, 6, v37
	s_delay_alu instid0(VALU_DEP_4)
	v_add_nc_u32_e32 v97, s31, v96
	v_lshlrev_b32_e32 v44, 6, v38
	v_lshlrev_b32_e32 v39, 6, v39
	v_mul_hi_u32 v22, v100, s24
	v_mov_b32_e32 v1, v4
	v_mad_u64_u32 v[4:5], null, s4, v6, v[3:4]
	v_lshlrev_b32_e32 v9, 4, v214
	v_add_nc_u32_e32 v6, v104, v11
	s_delay_alu instid0(VALU_DEP_4)
	v_lshlrev_b64 v[0:1], 2, v[0:1]
	v_mad_u64_u32 v[11:12], null, v21, v18, 0
	v_mul_hi_u32 v23, v97, s24
	v_mov_b32_e32 v3, v4
	v_lshrrev_b32_e32 v15, s25, v6
	v_add_co_u32 v4, vcc_lo, s2, v0
	v_add_co_ci_u32_e32 v5, vcc_lo, s6, v1, vcc_lo
	v_add_co_u32 v7, vcc_lo, s5, v0
	v_add_co_ci_u32_e32 v13, vcc_lo, s7, v1, vcc_lo
	s_delay_alu instid0(VALU_DEP_4) | instskip(NEXT) | instid1(VALU_DEP_4)
	v_add_co_u32 v0, vcc_lo, v4, v9
	v_add_co_ci_u32_e32 v1, vcc_lo, 0, v5, vcc_lo
	s_delay_alu instid0(VALU_DEP_4) | instskip(NEXT) | instid1(VALU_DEP_4)
	v_add_co_u32 v4, vcc_lo, v7, v9
	v_add_co_ci_u32_e32 v5, vcc_lo, 0, v13, vcc_lo
	v_lshlrev_b64 v[13:14], 2, v[2:3]
	v_mul_lo_u32 v19, v15, s26
	v_add_nc_u32_e32 v23, v97, v23
	s_clause 0x1
	global_load_b128 v[0:3], v[0:1], off
	global_load_b128 v[4:7], v[4:5], off
	v_lshlrev_b32_e32 v42, 1, v214
	v_lshlrev_b32_e32 v41, 3, v214
	v_mad_u64_u32 v[15:16], null, s4, v18, v[12:13]
	v_mul_hi_u32 v16, v101, s24
	v_sub_nc_u32_e32 v19, v104, v19
	v_add_co_u32 v18, vcc_lo, s2, v13
	v_add_co_ci_u32_e32 v20, vcc_lo, s6, v14, vcc_lo
	s_delay_alu instid0(VALU_DEP_3) | instskip(SKIP_1) | instid1(VALU_DEP_4)
	v_mad_u64_u32 v[13:14], null, v21, v19, 0
	v_dual_mov_b32 v12, v15 :: v_dual_add_nc_u32 v17, v101, v16
	v_add_co_u32 v15, vcc_lo, v18, v9
	s_delay_alu instid0(VALU_DEP_4) | instskip(NEXT) | instid1(VALU_DEP_3)
	v_add_co_ci_u32_e32 v16, vcc_lo, 0, v20, vcc_lo
	v_lshrrev_b32_e32 v17, s25, v17
	s_delay_alu instid0(VALU_DEP_4)
	v_lshlrev_b64 v[11:12], 2, v[11:12]
	v_add_nc_u32_e32 v20, v100, v22
	v_lshrrev_b32_e32 v23, s25, v23
	v_add_lshl_u32 v45, v35, v42, 2
	v_mul_lo_u32 v22, v17, s26
	v_mad_u64_u32 v[17:18], null, s4, v19, v[14:15]
	v_lshrrev_b32_e32 v18, s25, v20
	v_add_co_u32 v11, vcc_lo, s5, v11
	v_add_co_ci_u32_e32 v12, vcc_lo, s7, v12, vcc_lo
	v_sub_nc_u32_e32 v22, v101, v22
	v_mov_b32_e32 v14, v17
	v_mul_lo_u32 v24, v18, s26
	v_add_co_u32 v17, vcc_lo, v11, v9
	v_add_co_ci_u32_e32 v18, vcc_lo, 0, v12, vcc_lo
	s_delay_alu instid0(VALU_DEP_4)
	v_lshlrev_b64 v[11:12], 2, v[13:14]
	v_mul_lo_u32 v14, v23, s26
	v_mad_u64_u32 v[19:20], null, v21, v22, 0
	v_sub_nc_u32_e32 v29, v100, v24
	v_add_lshl_u32 v46, v36, v42, 2
	v_lshl_or_b32 v41, v8, 11, v41
	v_lshlrev_b32_e32 v40, 6, v40
	v_add_lshl_u32 v43, v43, v42, 2
	v_sub_nc_u32_e32 v32, v97, v14
	v_mov_b32_e32 v13, v20
	v_mad_u64_u32 v[23:24], null, v21, v29, 0
	v_add_co_u32 v20, vcc_lo, s2, v11
	s_delay_alu instid0(VALU_DEP_4)
	v_mad_u64_u32 v[25:26], null, v21, v32, 0
	v_add_co_ci_u32_e32 v27, vcc_lo, s6, v12, vcc_lo
	v_mad_u64_u32 v[11:12], null, s4, v22, v[13:14]
	v_mov_b32_e32 v12, v24
	v_add_co_u32 v21, vcc_lo, v20, v9
	v_mov_b32_e32 v24, v26
	v_add_co_ci_u32_e32 v22, vcc_lo, 0, v27, vcc_lo
	v_mov_b32_e32 v20, v11
	v_mad_u64_u32 v[27:28], null, s4, v29, v[12:13]
	s_delay_alu instid0(VALU_DEP_4) | instskip(NEXT) | instid1(VALU_DEP_3)
	v_mad_u64_u32 v[30:31], null, s4, v32, v[24:25]
	v_lshlrev_b64 v[28:29], 2, v[19:20]
	s_clause 0x2
	global_load_b128 v[11:14], v[15:16], off
	global_load_b128 v[15:18], v[17:18], off
	;; [unrolled: 1-line block ×3, first 2 shown]
	v_add_lshl_u32 v44, v44, v42, 2
	v_mov_b32_e32 v24, v27
	s_cmp_eq_u64 s[46:47], 0
	v_add_co_u32 v27, vcc_lo, s5, v28
	v_mov_b32_e32 v26, v30
	v_add_co_ci_u32_e32 v28, vcc_lo, s7, v29, vcc_lo
	v_lshlrev_b64 v[23:24], 2, v[23:24]
	s_delay_alu instid0(VALU_DEP_4) | instskip(NEXT) | instid1(VALU_DEP_4)
	v_add_co_u32 v27, vcc_lo, v27, v9
	v_lshlrev_b64 v[25:26], 2, v[25:26]
	s_delay_alu instid0(VALU_DEP_4) | instskip(NEXT) | instid1(VALU_DEP_4)
	v_add_co_ci_u32_e32 v28, vcc_lo, 0, v28, vcc_lo
	v_add_co_u32 v23, vcc_lo, s2, v23
	v_add_co_ci_u32_e32 v24, vcc_lo, s6, v24, vcc_lo
	s_delay_alu instid0(VALU_DEP_4) | instskip(SKIP_1) | instid1(VALU_DEP_4)
	v_add_co_u32 v25, vcc_lo, s5, v25
	v_add_co_ci_u32_e32 v26, vcc_lo, s7, v26, vcc_lo
	v_add_co_u32 v29, vcc_lo, v23, v9
	s_delay_alu instid0(VALU_DEP_4) | instskip(NEXT) | instid1(VALU_DEP_4)
	v_add_co_ci_u32_e32 v30, vcc_lo, 0, v24, vcc_lo
	v_add_co_u32 v31, vcc_lo, v25, v9
	s_delay_alu instid0(VALU_DEP_4)
	v_add_co_ci_u32_e32 v32, vcc_lo, 0, v26, vcc_lo
	s_clause 0x2
	global_load_b128 v[23:26], v[27:28], off
	global_load_b128 v[27:30], v[29:30], off
	;; [unrolled: 1-line block ×3, first 2 shown]
	s_load_b32 s2, s[0:1], 0x40
	v_add_lshl_u32 v39, v39, v42, 2
	v_add_lshl_u32 v40, v40, v42, 2
	s_waitcnt vmcnt(7) lgkmcnt(0)
	v_fma_mixlo_f16 v36, v2, s2, 0
	v_fma_mixlo_f16 v35, v0, s2, 0
	s_waitcnt vmcnt(6)
	v_fma_mixlo_f16 v38, v6, s2, 0
	v_fma_mixlo_f16 v37, v4, s2, 0
	v_fma_mixhi_f16 v36, v3, s2, 0
	v_fma_mixhi_f16 v35, v1, s2, 0
	s_delay_alu instid0(VALU_DEP_4) | instskip(NEXT) | instid1(VALU_DEP_4)
	v_fma_mixhi_f16 v38, v7, s2, 0
	v_fma_mixhi_f16 v37, v5, s2, 0
	ds_store_2addr_b64 v41, v[35:36], v[37:38] offset1:32
	s_waitcnt vmcnt(5)
	v_fma_mixlo_f16 v0, v11, s2, 0
	v_fma_mixlo_f16 v1, v13, s2, 0
	s_waitcnt vmcnt(4)
	v_fma_mixlo_f16 v2, v15, s2, 0
	v_fma_mixlo_f16 v3, v17, s2, 0
	;; [unrolled: 3-line block ×3, first 2 shown]
	v_fma_mixhi_f16 v1, v14, s2, 0
	v_fma_mixhi_f16 v0, v12, s2, 0
	;; [unrolled: 1-line block ×6, first 2 shown]
	s_waitcnt vmcnt(2)
	v_fma_mixlo_f16 v6, v23, s2, 0
	v_fma_mixlo_f16 v7, v25, s2, 0
	s_waitcnt vmcnt(1)
	v_fma_mixlo_f16 v35, v27, s2, 0
	v_fma_mixlo_f16 v36, v29, s2, 0
	;; [unrolled: 3-line block ×3, first 2 shown]
	v_fma_mixhi_f16 v7, v26, s2, 0
	v_fma_mixhi_f16 v6, v24, s2, 0
	;; [unrolled: 1-line block ×6, first 2 shown]
	ds_store_b64 v45, v[0:1]
	ds_store_b64 v46, v[2:3]
	ds_store_b64 v43, v[4:5]
	ds_store_b64 v44, v[6:7]
	ds_store_b64 v39, v[35:36]
	ds_store_b64 v40, v[37:38]
	s_waitcnt lgkmcnt(0)
	s_barrier
	buffer_gl0_inv
	s_cbranch_scc1 .LBB33_4
; %bb.3:
	s_load_b32 s2, s[0:1], 0xd0
	s_mov_b32 s5, 0
	s_waitcnt lgkmcnt(0)
	s_mul_i32 s2, s2, s33
	s_delay_alu instid0(SALU_CYCLE_1) | instskip(NEXT) | instid1(SALU_CYCLE_1)
	s_add_i32 s4, s2, s13
	s_lshl_b64 s[4:5], s[4:5], 2
	s_delay_alu instid0(SALU_CYCLE_1)
	s_add_u32 s4, s46, s4
	s_addc_u32 s5, s47, s5
	s_load_b32 s30, s[4:5], 0x0
.LBB33_4:
	v_mbcnt_lo_u32_b32 v216, -1, 0
	s_lshl_b32 s29, s14, 6
	s_waitcnt lgkmcnt(0)
	s_cmp_lt_i32 s29, s30
	s_cbranch_scc1 .LBB33_6
; %bb.5:
	v_mbcnt_lo_u32_b32 v12, -1, 0
	v_mov_b32_e32 v11, 32
	s_mov_b32 s2, 0
	s_mov_b32 s4, 0xfeffffff
	s_delay_alu instid0(VALU_DEP_2)
	v_xor_b32_e32 v221, 16, v12
	v_xor_b32_e32 v220, 8, v12
	;; [unrolled: 1-line block ×5, first 2 shown]
	s_branch .LBB33_7
.LBB33_6:
	s_mov_b32 s2, -1
                                        ; implicit-def: $sgpr4
                                        ; implicit-def: $vgpr12
                                        ; implicit-def: $vgpr11
                                        ; implicit-def: $vgpr221
                                        ; implicit-def: $vgpr220
                                        ; implicit-def: $vgpr219
                                        ; implicit-def: $vgpr218
                                        ; implicit-def: $vgpr217
.LBB33_7:
	s_delay_alu instid0(SALU_CYCLE_1) | instskip(SKIP_2) | instid1(VALU_DEP_3)
	v_cndmask_b32_e64 v0, 0, 1, s2
	v_dual_mov_b32 v7, s4 :: v_dual_mov_b32 v240, s2
	v_dual_mov_b32 v40, s2 :: v_dual_lshlrev_b32 v103, 2, v214
	v_cmp_ne_u32_e32 vcc_lo, 1, v0
	v_dual_mov_b32 v6, s4 :: v_dual_mov_b32 v5, s4
	v_dual_mov_b32 v4, s4 :: v_dual_mov_b32 v3, s4
	;; [unrolled: 1-line block ×14, first 2 shown]
	v_mov_b32_e32 v27, s2
	s_cbranch_vccnz .LBB33_11
; %bb.8:
	s_clause 0x9
	scratch_store_b32 off, v106, off offset:36
	scratch_store_b32 off, v105, off offset:32
	;; [unrolled: 1-line block ×9, first 2 shown]
	scratch_store_b32 off, v96, off
	s_clause 0x1
	s_load_b128 s[4:7], s[0:1], 0x98
	s_load_b64 s[12:13], s[0:1], 0x8c
	v_lshrrev_b32_e32 v0, 3, v214
	v_dual_mov_b32 v26, 0 :: v_dual_and_b32 v11, 28, v103
	v_dual_mov_b32 v29, 0 :: v_dual_add_nc_u32 v6, 2, v215
	s_delay_alu instid0(VALU_DEP_3) | instskip(NEXT) | instid1(VALU_DEP_3)
	v_dual_mov_b32 v27, 0 :: v_dual_add_nc_u32 v0, v0, v107
	v_dual_mov_b32 v28, 0 :: v_dual_lshlrev_b32 v1, 2, v11
	s_sub_i32 s2, 0, s8
	v_add_nc_u32_e32 v5, 1, v215
	s_mul_i32 s2, s2, s10
	s_delay_alu instid0(VALU_DEP_2)
	v_mad_u32_u24 v3, 0x90, v0, v1
	s_mul_hi_u32 s2, s10, s2
	v_dual_mov_b32 v30, 0 :: v_dual_add_nc_u32 v7, 3, v215
	s_add_i32 s10, s10, s2
	s_ashr_i32 s2, s3, 1
	s_abs_i32 s11, s28
	s_waitcnt lgkmcnt(0)
	s_ashr_i32 s43, s12, 2
	v_mul_hi_u32 v4, s24, v7
	v_mul_lo_u32 v1, s43, v0
	v_mul_hi_u32 v0, s24, v6
	s_mul_hi_u32 s3, s11, s10
	s_ashr_i32 s10, s33, 31
	s_ashr_i32 s42, s6, 2
	s_mul_i32 s5, s33, s5
	s_mul_hi_u32 s6, s33, s4
	s_mul_i32 s12, s10, s4
	s_delay_alu instid0(VALU_DEP_1) | instskip(SKIP_3) | instid1(VALU_DEP_3)
	v_dual_mov_b32 v35, 0 :: v_dual_add_nc_u32 v0, v6, v0
	s_add_i32 s5, s6, s5
	v_dual_mov_b32 v37, 0 :: v_dual_add_nc_u32 v4, v7, v4
	v_lshrrev_b32_e32 v14, 4, v214
	v_lshrrev_b32_e32 v0, s25, v0
	s_mul_i32 s4, s33, s4
	s_ashr_i32 s15, s28, 31
	s_ashr_i32 s9, s9, 31
	s_load_b64 s[16:17], s[0:1], 0xa8
	v_mul_lo_u32 v0, v0, s26
	s_mul_i32 s18, s3, s8
	s_add_i32 s5, s5, s12
	s_add_u32 s4, s38, s4
	s_addc_u32 s5, s39, s5
	s_xor_b32 s6, s15, s9
	s_sub_i32 s9, s11, s18
	v_lshrrev_b32_e32 v13, s25, v4
	v_sub_nc_u32_e32 v0, v6, v0
	v_lshl_add_u32 v14, v8, 1, v14
	s_add_i32 s11, s3, 1
	s_sub_i32 s12, s9, s8
	s_cmp_ge_u32 s9, s8
	v_mul_lo_u32 v205, v0, s2
	v_mov_b32_e32 v0, 0xfeffffff
	v_mul_hi_u32 v2, s24, v5
	s_cselect_b32 s3, s11, s3
	s_cselect_b32 s9, s12, s9
	v_mul_lo_u32 v13, v13, s26
	s_add_i32 s11, s3, 1
	v_mov_b32_e32 v31, 0
	s_cmp_ge_u32 s9, s8
	v_dual_mov_b32 v34, 0 :: v_dual_and_b32 v15, 60, v103
	v_add_nc_u32_e32 v12, v5, v2
	s_cselect_b32 s3, s11, s3
	v_dual_mov_b32 v33, 0 :: v_dual_add_nc_u32 v222, 0x4000, v3
	s_xor_b32 s3, s3, s6
	s_delay_alu instid0(VALU_DEP_2) | instskip(SKIP_3) | instid1(VALU_DEP_3)
	v_lshrrev_b32_e32 v12, s25, v12
	s_sub_i32 s3, s3, s6
	v_dual_mov_b32 v32, 0 :: v_dual_add_nc_u32 v223, 0x5200, v3
	v_lshl_add_u32 v3, s43, 5, v1
	v_mul_lo_u32 v12, v12, s26
	v_sub_nc_u32_e32 v6, v7, v13
	v_dual_mov_b32 v39, 0 :: v_dual_lshlrev_b32 v16, 2, v15
	s_mul_i32 s9, s3, s13
	s_waitcnt lgkmcnt(0)
	s_mul_i32 s8, s33, s17
	s_mul_hi_u32 s6, s33, s16
	s_ashr_i32 s11, s9, 31
	v_sub_nc_u32_e32 v12, v5, v12
	v_mul_lo_u32 v5, s42, v14
	s_add_u32 s38, s4, s9
	v_ashrrev_i32_e32 v2, 31, v1
	v_ashrrev_i32_e32 v4, 31, v3
	v_dual_mov_b32 v36, 0 :: v_dual_lshlrev_b32 v225, 11, v8
	v_mul_lo_u32 v208, v6, s2
	v_lshl_add_u32 v230, v8, 10, 0x6400
	v_lshl_add_u32 v7, s42, 4, v5
	v_ashrrev_i32_e32 v6, 31, v5
	s_mul_i32 s10, s10, s16
	s_addc_u32 s39, s5, s11
	s_add_i32 s4, s6, s8
	v_ashrrev_i32_e32 v8, 31, v7
	v_mul_lo_u32 v201, v10, s2
	v_lshl_or_b32 v10, v14, 8, v16
	v_lshl_or_b32 v233, v214, 3, 0x4000
	s_mul_i32 s5, s33, s16
	s_add_i32 s4, s4, s10
	s_mul_i32 s3, s3, s7
	v_mul_lo_u32 v204, v12, s2
	s_add_u32 s5, s40, s5
	s_addc_u32 s4, s41, s4
	s_ashr_i32 s6, s3, 31
	v_lshlrev_b64 v[192:193], 2, v[1:2]
	v_lshlrev_b64 v[194:195], 2, v[3:4]
	;; [unrolled: 1-line block ×4, first 2 shown]
	s_add_u32 s40, s5, s3
	v_mul_u32_u24_e32 v224, 0x90, v214
	v_dual_mov_b32 v38, 0 :: v_dual_add_nc_u32 v231, 0x4000, v10
	v_dual_mov_b32 v41, 0 :: v_dual_add_nc_u32 v232, 0x5000, v10
	v_dual_mov_b32 v1, 0xfeffffff :: v_dual_lshlrev_b32 v234, 2, v11
	v_xor_b32_e32 v221, 16, v216
	v_xor_b32_e32 v220, 8, v216
	;; [unrolled: 1-line block ×5, first 2 shown]
	v_dual_mov_b32 v40, 0 :: v_dual_add_nc_u32 v235, v230, v9
	v_dual_mov_b32 v3, 0xfeffffff :: v_dual_lshlrev_b32 v236, 2, v15
	v_dual_mov_b32 v242, 0 :: v_dual_add_nc_u32 v237, 0x800, v233
	v_dual_mov_b32 v241, 0 :: v_dual_add_nc_u32 v238, 0x1000, v233
	;; [unrolled: 1-line block ×3, first 2 shown]
	v_dual_mov_b32 v2, 0xfeffffff :: v_dual_mov_b32 v5, 0xfeffffff
	v_dual_mov_b32 v4, 0xfeffffff :: v_dual_mov_b32 v7, 0xfeffffff
	;; [unrolled: 1-line block ×5, first 2 shown]
	s_addc_u32 s41, s4, s6
	s_add_u32 s36, s0, 0xd0
	s_addc_u32 s37, s1, 0
	scratch_store_b32 off, v107, off offset:40 ; 4-byte Folded Spill
.LBB33_9:                               ; =>This Inner Loop Header: Depth=1
	v_cmp_gt_i32_e32 vcc_lo, 32, v221
	v_dual_mov_b32 v44, v2 :: v_dual_mov_b32 v45, v1
	v_dual_mov_b32 v46, v0 :: v_dual_mov_b32 v47, 0
	v_dual_cndmask_b32 v1, v216, v221 :: v_dual_add_nc_u32 v0, s29, v214
	v_cmp_gt_i32_e32 vcc_lo, 32, v220
	v_dual_mov_b32 v42, v4 :: v_dual_mov_b32 v43, v3
	s_mul_hi_i32 s3, s29, s43
	s_mul_i32 s2, s29, s43
	v_cndmask_b32_e32 v2, v216, v220, vcc_lo
	v_cmp_gt_i32_e32 vcc_lo, 32, v219
	v_dual_mov_b32 v24, v6 :: v_dual_mov_b32 v25, v5
	s_lshl_b64 s[2:3], s[2:3], 2
	s_mul_hi_i32 s5, s29, s42
	v_cndmask_b32_e32 v4, v216, v219, vcc_lo
	v_cmp_gt_i32_e32 vcc_lo, 32, v218
	s_mul_i32 s4, s29, s42
	s_add_u32 s2, s38, s2
	s_addc_u32 s3, s39, s3
	s_lshl_b64 s[4:5], s[4:5], 2
	v_cndmask_b32_e32 v6, v216, v218, vcc_lo
	v_cmp_gt_i32_e32 vcc_lo, 32, v217
	v_dual_mov_b32 v22, v241 :: v_dual_mov_b32 v23, v7
	v_add_nc_u32_e32 v3, v0, v201
	v_add_nc_u32_e32 v5, v0, v204
	v_cndmask_b32_e32 v8, v216, v217, vcc_lo
	v_add_nc_u32_e32 v7, v0, v205
	v_add_nc_u32_e32 v9, v0, v208
	v_lshlrev_b32_e32 v72, 2, v1
	v_add_co_u32 v0, vcc_lo, s2, v194
	v_add_co_u32 v1, s2, s2, v192
	s_add_u32 s4, s40, s4
	v_lshlrev_b32_e32 v69, 2, v6
	v_lshlrev_b32_e32 v71, 2, v2
	v_add_co_ci_u32_e64 v2, s2, s3, v193, s2
	v_add_co_ci_u32_e32 v11, vcc_lo, s3, v195, vcc_lo
	s_addc_u32 s3, s41, s5
	v_add_co_u32 v57, s2, s4, v196
	v_add_co_u32 v56, vcc_lo, s4, v198
	v_add_co_ci_u32_e64 v59, s2, s3, v197, s2
	v_add_co_ci_u32_e32 v73, vcc_lo, s3, v199, vcc_lo
	v_add_co_u32 v14, s2, v1, v234
	v_add_co_u32 v12, vcc_lo, v0, v234
	v_add_co_ci_u32_e64 v15, s2, 0, v2, s2
	v_add_co_ci_u32_e32 v13, vcc_lo, 0, v11, vcc_lo
	v_add_co_u32 v0, vcc_lo, v56, v236
	v_add_co_ci_u32_e32 v1, vcc_lo, 0, v73, vcc_lo
	s_clause 0x1
	global_load_b128 v[73:76], v[14:15], off
	global_load_b128 v[77:80], v[12:13], off
	s_or_b32 s6, s29, 32
	v_lshlrev_b32_e32 v70, 2, v4
	v_ashrrev_i32_e32 v4, 31, v3
	s_mul_hi_i32 s5, s6, s42
	s_mul_i32 s4, s6, s42
	v_ashrrev_i32_e32 v6, 31, v5
	s_lshl_b64 s[4:5], s[4:5], 2
	v_add_co_u32 v2, s2, v57, v236
	s_add_u32 s3, s40, s4
	v_lshlrev_b64 v[57:58], 1, v[3:4]
	v_add_co_ci_u32_e64 v3, s2, 0, v59, s2
	v_lshlrev_b32_e32 v68, 2, v8
	v_ashrrev_i32_e32 v8, 31, v7
	v_add_co_u32 v4, s2, s3, v198
	v_lshlrev_b64 v[81:82], 1, v[5:6]
	s_addc_u32 s4, s41, s5
	v_add_co_u32 v59, vcc_lo, s3, v196
	v_ashrrev_i32_e32 v10, 31, v9
	v_add_co_ci_u32_e32 v85, vcc_lo, s4, v197, vcc_lo
	v_add_co_ci_u32_e64 v86, vcc_lo, s4, v199, s2
	v_lshlrev_b64 v[83:84], 1, v[7:8]
	v_add_co_u32 v56, vcc_lo, v4, v236
	v_add_co_u32 v4, s2, s34, v57
	s_delay_alu instid0(VALU_DEP_1) | instskip(SKIP_2) | instid1(VALU_DEP_1)
	v_add_co_ci_u32_e64 v5, s2, s35, v58, s2
	v_lshlrev_b64 v[10:11], 1, v[9:10]
	v_add_co_u32 v6, s2, s34, v81
	v_add_co_ci_u32_e64 v7, s2, s35, v82, s2
	v_add_co_u32 v8, s2, s34, v83
	s_delay_alu instid0(VALU_DEP_1) | instskip(SKIP_1) | instid1(VALU_DEP_1)
	v_add_co_ci_u32_e64 v9, s2, s35, v84, s2
	v_add_co_u32 v10, s2, s34, v10
	v_add_co_ci_u32_e64 v11, s2, s35, v11, s2
	v_add_co_u32 v58, s2, v59, v236
	s_delay_alu instid0(VALU_DEP_1)
	v_add_co_ci_u32_e64 v59, s2, 0, v85, s2
	v_add_co_ci_u32_e32 v57, vcc_lo, 0, v86, vcc_lo
	v_dual_mov_b32 v48, 0 :: v_dual_mov_b32 v49, 0
	v_dual_mov_b32 v50, 0 :: v_dual_mov_b32 v51, 0
	;; [unrolled: 1-line block ×11, first 2 shown]
	s_waitcnt vmcnt(1)
	ds_store_b128 v222, v[73:76]
	s_waitcnt vmcnt(0)
	ds_store_b128 v223, v[77:80]
	s_waitcnt lgkmcnt(0)
	s_waitcnt_vscnt null, 0x0
	s_barrier
	buffer_gl0_inv
	ds_load_b128 v[73:76], v224 offset:16384
	ds_load_b128 v[77:80], v225
	ds_load_b128 v[81:84], v225 offset:256
	ds_load_b128 v[85:88], v225 offset:512
	;; [unrolled: 1-line block ×8, first 2 shown]
	s_waitcnt lgkmcnt(8)
	;;#ASMSTART
	v_dot2_f32_f16 v47, v73, v77, v47
	;;#ASMEND
	;;#ASMSTART
	v_dot2_f32_f16 v47, v74, v78, v47
	;;#ASMEND
	;;#ASMSTART
	v_dot2_f32_f16 v47, v75, v79, v47
	;;#ASMEND
	;;#ASMSTART
	v_dot2_f32_f16 v47, v76, v80, v47
	;;#ASMEND
	s_waitcnt lgkmcnt(7)
	;;#ASMSTART
	v_dot2_f32_f16 v48, v73, v81, v48
	;;#ASMEND
	;;#ASMSTART
	v_dot2_f32_f16 v48, v74, v82, v48
	;;#ASMEND
	;;#ASMSTART
	v_dot2_f32_f16 v48, v75, v83, v48
	;;#ASMEND
	;;#ASMSTART
	v_dot2_f32_f16 v48, v76, v84, v48
	;;#ASMEND
	;; [unrolled: 13-line block ×8, first 2 shown]
	;;#ASMSTART
	v_dot2_f32_f16 v55, v93, v77, v55
	;;#ASMEND
	;;#ASMSTART
	v_dot2_f32_f16 v55, v94, v78, v55
	;;#ASMEND
	;; [unrolled: 3-line block ×32, first 2 shown]
	ds_load_b128 v[73:76], v224 offset:16400
	ds_load_b128 v[77:80], v225 offset:16
	ds_load_b128 v[81:84], v225 offset:272
	ds_load_b128 v[85:88], v225 offset:528
	ds_load_b128 v[89:92], v225 offset:784
	ds_load_b128 v[93:96], v224 offset:21008
	ds_load_b128 v[97:100], v225 offset:1040
	ds_load_b128 v[101:104], v225 offset:1296
	ds_load_b128 v[105:108], v225 offset:1552
	ds_load_b128 v[109:112], v225 offset:1808
	s_waitcnt lgkmcnt(8)
	;;#ASMSTART
	v_dot2_f32_f16 v47, v73, v77, v47
	;;#ASMEND
	;;#ASMSTART
	v_dot2_f32_f16 v47, v74, v78, v47
	;;#ASMEND
	;;#ASMSTART
	v_dot2_f32_f16 v47, v75, v79, v47
	;;#ASMEND
	;;#ASMSTART
	v_dot2_f32_f16 v47, v76, v80, v47
	;;#ASMEND
	s_waitcnt lgkmcnt(7)
	;;#ASMSTART
	v_dot2_f32_f16 v48, v73, v81, v48
	;;#ASMEND
	;;#ASMSTART
	v_dot2_f32_f16 v48, v74, v82, v48
	;;#ASMEND
	;;#ASMSTART
	v_dot2_f32_f16 v48, v75, v83, v48
	;;#ASMEND
	;;#ASMSTART
	v_dot2_f32_f16 v48, v76, v84, v48
	;;#ASMEND
	;; [unrolled: 13-line block ×8, first 2 shown]
	;;#ASMSTART
	v_dot2_f32_f16 v55, v93, v77, v55
	;;#ASMEND
	;;#ASMSTART
	v_dot2_f32_f16 v55, v94, v78, v55
	;;#ASMEND
	;; [unrolled: 3-line block ×32, first 2 shown]
	ds_load_b128 v[73:76], v224 offset:16416
	ds_load_b128 v[77:80], v225 offset:32
	ds_load_b128 v[81:84], v225 offset:288
	ds_load_b128 v[85:88], v225 offset:544
	ds_load_b128 v[89:92], v225 offset:800
	ds_load_b128 v[93:96], v224 offset:21024
	ds_load_b128 v[97:100], v225 offset:1056
	ds_load_b128 v[101:104], v225 offset:1312
	ds_load_b128 v[105:108], v225 offset:1568
	ds_load_b128 v[109:112], v225 offset:1824
	s_waitcnt lgkmcnt(8)
	;;#ASMSTART
	v_dot2_f32_f16 v47, v73, v77, v47
	;;#ASMEND
	;;#ASMSTART
	v_dot2_f32_f16 v47, v74, v78, v47
	;;#ASMEND
	;;#ASMSTART
	v_dot2_f32_f16 v47, v75, v79, v47
	;;#ASMEND
	;;#ASMSTART
	v_dot2_f32_f16 v47, v76, v80, v47
	;;#ASMEND
	s_waitcnt lgkmcnt(7)
	;;#ASMSTART
	v_dot2_f32_f16 v48, v73, v81, v48
	;;#ASMEND
	;;#ASMSTART
	v_dot2_f32_f16 v48, v74, v82, v48
	;;#ASMEND
	;;#ASMSTART
	v_dot2_f32_f16 v48, v75, v83, v48
	;;#ASMEND
	;;#ASMSTART
	v_dot2_f32_f16 v48, v76, v84, v48
	;;#ASMEND
	;; [unrolled: 13-line block ×8, first 2 shown]
	;;#ASMSTART
	v_dot2_f32_f16 v55, v93, v77, v55
	;;#ASMEND
	;;#ASMSTART
	v_dot2_f32_f16 v55, v94, v78, v55
	;;#ASMEND
	;; [unrolled: 3-line block ×32, first 2 shown]
	ds_load_b128 v[73:76], v224 offset:16432
	ds_load_b128 v[77:80], v225 offset:48
	;; [unrolled: 1-line block ×10, first 2 shown]
	s_waitcnt lgkmcnt(8)
	;;#ASMSTART
	v_dot2_f32_f16 v47, v73, v77, v47
	;;#ASMEND
	;;#ASMSTART
	v_dot2_f32_f16 v47, v74, v78, v47
	;;#ASMEND
	;;#ASMSTART
	v_dot2_f32_f16 v47, v75, v79, v47
	;;#ASMEND
	;;#ASMSTART
	v_dot2_f32_f16 v47, v76, v80, v47
	;;#ASMEND
	s_waitcnt lgkmcnt(7)
	;;#ASMSTART
	v_dot2_f32_f16 v48, v73, v81, v48
	;;#ASMEND
	;;#ASMSTART
	v_dot2_f32_f16 v48, v74, v82, v48
	;;#ASMEND
	;;#ASMSTART
	v_dot2_f32_f16 v48, v75, v83, v48
	;;#ASMEND
	;;#ASMSTART
	v_dot2_f32_f16 v48, v76, v84, v48
	;;#ASMEND
	;; [unrolled: 13-line block ×8, first 2 shown]
	;;#ASMSTART
	v_dot2_f32_f16 v55, v93, v77, v55
	;;#ASMEND
	;;#ASMSTART
	v_dot2_f32_f16 v55, v94, v78, v55
	;;#ASMEND
	;; [unrolled: 3-line block ×32, first 2 shown]
	ds_load_b128 v[73:76], v224 offset:16448
	ds_load_b128 v[77:80], v225 offset:64
	;; [unrolled: 1-line block ×10, first 2 shown]
	s_waitcnt lgkmcnt(8)
	;;#ASMSTART
	v_dot2_f32_f16 v47, v73, v77, v47
	;;#ASMEND
	;;#ASMSTART
	v_dot2_f32_f16 v47, v74, v78, v47
	;;#ASMEND
	;;#ASMSTART
	v_dot2_f32_f16 v47, v75, v79, v47
	;;#ASMEND
	;;#ASMSTART
	v_dot2_f32_f16 v47, v76, v80, v47
	;;#ASMEND
	s_waitcnt lgkmcnt(7)
	;;#ASMSTART
	v_dot2_f32_f16 v48, v73, v81, v48
	;;#ASMEND
	;;#ASMSTART
	v_dot2_f32_f16 v48, v74, v82, v48
	;;#ASMEND
	;;#ASMSTART
	v_dot2_f32_f16 v48, v75, v83, v48
	;;#ASMEND
	;;#ASMSTART
	v_dot2_f32_f16 v48, v76, v84, v48
	;;#ASMEND
	;; [unrolled: 13-line block ×8, first 2 shown]
	;;#ASMSTART
	v_dot2_f32_f16 v55, v93, v77, v55
	;;#ASMEND
	;;#ASMSTART
	v_dot2_f32_f16 v55, v94, v78, v55
	;;#ASMEND
	;; [unrolled: 3-line block ×32, first 2 shown]
	ds_load_b128 v[73:76], v224 offset:16464
	ds_load_b128 v[77:80], v225 offset:80
	;; [unrolled: 1-line block ×10, first 2 shown]
	s_waitcnt lgkmcnt(8)
	;;#ASMSTART
	v_dot2_f32_f16 v47, v73, v77, v47
	;;#ASMEND
	;;#ASMSTART
	v_dot2_f32_f16 v47, v74, v78, v47
	;;#ASMEND
	;;#ASMSTART
	v_dot2_f32_f16 v47, v75, v79, v47
	;;#ASMEND
	;;#ASMSTART
	v_dot2_f32_f16 v47, v76, v80, v47
	;;#ASMEND
	s_waitcnt lgkmcnt(7)
	;;#ASMSTART
	v_dot2_f32_f16 v48, v73, v81, v48
	;;#ASMEND
	;;#ASMSTART
	v_dot2_f32_f16 v48, v74, v82, v48
	;;#ASMEND
	;;#ASMSTART
	v_dot2_f32_f16 v48, v75, v83, v48
	;;#ASMEND
	;;#ASMSTART
	v_dot2_f32_f16 v48, v76, v84, v48
	;;#ASMEND
	;; [unrolled: 13-line block ×8, first 2 shown]
	;;#ASMSTART
	v_dot2_f32_f16 v55, v93, v77, v55
	;;#ASMEND
	;;#ASMSTART
	v_dot2_f32_f16 v55, v94, v78, v55
	;;#ASMEND
	;; [unrolled: 3-line block ×32, first 2 shown]
	ds_load_b128 v[73:76], v224 offset:16480
	ds_load_b128 v[77:80], v225 offset:96
	;; [unrolled: 1-line block ×10, first 2 shown]
	s_waitcnt lgkmcnt(8)
	;;#ASMSTART
	v_dot2_f32_f16 v47, v73, v77, v47
	;;#ASMEND
	;;#ASMSTART
	v_dot2_f32_f16 v47, v74, v78, v47
	;;#ASMEND
	;;#ASMSTART
	v_dot2_f32_f16 v47, v75, v79, v47
	;;#ASMEND
	;;#ASMSTART
	v_dot2_f32_f16 v47, v76, v80, v47
	;;#ASMEND
	s_waitcnt lgkmcnt(7)
	;;#ASMSTART
	v_dot2_f32_f16 v48, v73, v81, v48
	;;#ASMEND
	;;#ASMSTART
	v_dot2_f32_f16 v48, v74, v82, v48
	;;#ASMEND
	;;#ASMSTART
	v_dot2_f32_f16 v48, v75, v83, v48
	;;#ASMEND
	;;#ASMSTART
	v_dot2_f32_f16 v48, v76, v84, v48
	;;#ASMEND
	;; [unrolled: 13-line block ×8, first 2 shown]
	;;#ASMSTART
	v_dot2_f32_f16 v55, v93, v77, v55
	;;#ASMEND
	;;#ASMSTART
	v_dot2_f32_f16 v55, v94, v78, v55
	;;#ASMEND
	;; [unrolled: 3-line block ×32, first 2 shown]
	ds_load_b128 v[73:76], v224 offset:16496
	ds_load_b128 v[77:80], v225 offset:112
	ds_load_b128 v[81:84], v225 offset:368
	ds_load_b128 v[85:88], v225 offset:624
	ds_load_b128 v[89:92], v225 offset:880
	ds_load_b128 v[93:96], v224 offset:21104
	ds_load_b128 v[97:100], v225 offset:1136
	ds_load_b128 v[101:104], v225 offset:1392
	ds_load_b128 v[105:108], v225 offset:1648
	ds_load_b128 v[109:112], v225 offset:1904
	s_waitcnt lgkmcnt(8)
	;;#ASMSTART
	v_dot2_f32_f16 v47, v73, v77, v47
	;;#ASMEND
	;;#ASMSTART
	v_dot2_f32_f16 v47, v74, v78, v47
	;;#ASMEND
	;;#ASMSTART
	v_dot2_f32_f16 v47, v75, v79, v47
	;;#ASMEND
	;;#ASMSTART
	v_dot2_f32_f16 v47, v76, v80, v47
	;;#ASMEND
	s_waitcnt lgkmcnt(7)
	;;#ASMSTART
	v_dot2_f32_f16 v48, v73, v81, v48
	;;#ASMEND
	;;#ASMSTART
	v_dot2_f32_f16 v48, v74, v82, v48
	;;#ASMEND
	;;#ASMSTART
	v_dot2_f32_f16 v48, v75, v83, v48
	;;#ASMEND
	;;#ASMSTART
	v_dot2_f32_f16 v48, v76, v84, v48
	;;#ASMEND
	;; [unrolled: 13-line block ×8, first 2 shown]
	;;#ASMSTART
	v_dot2_f32_f16 v55, v93, v77, v55
	;;#ASMEND
	;;#ASMSTART
	v_dot2_f32_f16 v55, v94, v78, v55
	;;#ASMEND
	;; [unrolled: 3-line block ×32, first 2 shown]
	s_barrier
	buffer_gl0_inv
	s_clause 0x1
	global_load_b128 v[73:76], v[14:15], off offset:128
	global_load_b128 v[12:15], v[12:13], off offset:128
	s_waitcnt vmcnt(1)
	ds_store_b128 v222, v[73:76]
	s_waitcnt vmcnt(0)
	ds_store_b128 v223, v[12:15]
	s_waitcnt lgkmcnt(0)
	s_barrier
	buffer_gl0_inv
	ds_load_b128 v[12:15], v224 offset:16384
	ds_load_b128 v[73:76], v225 offset:128
	;; [unrolled: 1-line block ×10, first 2 shown]
	s_waitcnt lgkmcnt(8)
	;;#ASMSTART
	v_dot2_f32_f16 v47, v12, v73, v47
	;;#ASMEND
	;;#ASMSTART
	v_dot2_f32_f16 v47, v13, v74, v47
	;;#ASMEND
	;;#ASMSTART
	v_dot2_f32_f16 v47, v14, v75, v47
	;;#ASMEND
	;;#ASMSTART
	v_dot2_f32_f16 v47, v15, v76, v47
	;;#ASMEND
	s_waitcnt lgkmcnt(7)
	;;#ASMSTART
	v_dot2_f32_f16 v48, v12, v77, v48
	;;#ASMEND
	;;#ASMSTART
	v_dot2_f32_f16 v48, v13, v78, v48
	;;#ASMEND
	;;#ASMSTART
	v_dot2_f32_f16 v48, v14, v79, v48
	;;#ASMEND
	;;#ASMSTART
	v_dot2_f32_f16 v48, v15, v80, v48
	;;#ASMEND
	;; [unrolled: 13-line block ×8, first 2 shown]
	;;#ASMSTART
	v_dot2_f32_f16 v55, v89, v73, v55
	;;#ASMEND
	;;#ASMSTART
	v_dot2_f32_f16 v55, v90, v74, v55
	;;#ASMEND
	;; [unrolled: 3-line block ×32, first 2 shown]
	ds_load_b128 v[12:15], v224 offset:16400
	ds_load_b128 v[73:76], v225 offset:144
	;; [unrolled: 1-line block ×10, first 2 shown]
	s_waitcnt lgkmcnt(8)
	;;#ASMSTART
	v_dot2_f32_f16 v47, v12, v73, v47
	;;#ASMEND
	;;#ASMSTART
	v_dot2_f32_f16 v47, v13, v74, v47
	;;#ASMEND
	;;#ASMSTART
	v_dot2_f32_f16 v47, v14, v75, v47
	;;#ASMEND
	;;#ASMSTART
	v_dot2_f32_f16 v47, v15, v76, v47
	;;#ASMEND
	s_waitcnt lgkmcnt(7)
	;;#ASMSTART
	v_dot2_f32_f16 v48, v12, v77, v48
	;;#ASMEND
	;;#ASMSTART
	v_dot2_f32_f16 v48, v13, v78, v48
	;;#ASMEND
	;;#ASMSTART
	v_dot2_f32_f16 v48, v14, v79, v48
	;;#ASMEND
	;;#ASMSTART
	v_dot2_f32_f16 v48, v15, v80, v48
	;;#ASMEND
	;; [unrolled: 13-line block ×8, first 2 shown]
	;;#ASMSTART
	v_dot2_f32_f16 v55, v89, v73, v55
	;;#ASMEND
	;;#ASMSTART
	v_dot2_f32_f16 v55, v90, v74, v55
	;;#ASMEND
	;; [unrolled: 3-line block ×32, first 2 shown]
	ds_load_b128 v[12:15], v224 offset:16416
	ds_load_b128 v[73:76], v225 offset:160
	;; [unrolled: 1-line block ×10, first 2 shown]
	s_waitcnt lgkmcnt(8)
	;;#ASMSTART
	v_dot2_f32_f16 v47, v12, v73, v47
	;;#ASMEND
	;;#ASMSTART
	v_dot2_f32_f16 v47, v13, v74, v47
	;;#ASMEND
	;;#ASMSTART
	v_dot2_f32_f16 v47, v14, v75, v47
	;;#ASMEND
	;;#ASMSTART
	v_dot2_f32_f16 v47, v15, v76, v47
	;;#ASMEND
	s_waitcnt lgkmcnt(7)
	;;#ASMSTART
	v_dot2_f32_f16 v48, v12, v77, v48
	;;#ASMEND
	;;#ASMSTART
	v_dot2_f32_f16 v48, v13, v78, v48
	;;#ASMEND
	;;#ASMSTART
	v_dot2_f32_f16 v48, v14, v79, v48
	;;#ASMEND
	;;#ASMSTART
	v_dot2_f32_f16 v48, v15, v80, v48
	;;#ASMEND
	;; [unrolled: 13-line block ×8, first 2 shown]
	;;#ASMSTART
	v_dot2_f32_f16 v55, v89, v73, v55
	;;#ASMEND
	;;#ASMSTART
	v_dot2_f32_f16 v55, v90, v74, v55
	;;#ASMEND
	;;#ASMSTART
	v_dot2_f32_f16 v55, v91, v75, v55
	;;#ASMEND
	;;#ASMSTART
	v_dot2_f32_f16 v55, v92, v76, v55
	;;#ASMEND
	;;#ASMSTART
	v_dot2_f32_f16 v60, v89, v77, v60
	;;#ASMEND
	;;#ASMSTART
	v_dot2_f32_f16 v60, v90, v78, v60
	;;#ASMEND
	;;#ASMSTART
	v_dot2_f32_f16 v60, v91, v79, v60
	;;#ASMEND
	;;#ASMSTART
	v_dot2_f32_f16 v60, v92, v80, v60
	;;#ASMEND
	;;#ASMSTART
	v_dot2_f32_f16 v61, v89, v81, v61
	;;#ASMEND
	;;#ASMSTART
	v_dot2_f32_f16 v61, v90, v82, v61
	;;#ASMEND
	;;#ASMSTART
	v_dot2_f32_f16 v61, v91, v83, v61
	;;#ASMEND
	;;#ASMSTART
	v_dot2_f32_f16 v61, v92, v84, v61
	;;#ASMEND
	;;#ASMSTART
	v_dot2_f32_f16 v62, v89, v85, v62
	;;#ASMEND
	;;#ASMSTART
	v_dot2_f32_f16 v62, v90, v86, v62
	;;#ASMEND
	;;#ASMSTART
	v_dot2_f32_f16 v62, v91, v87, v62
	;;#ASMEND
	;;#ASMSTART
	v_dot2_f32_f16 v62, v92, v88, v62
	;;#ASMEND
	;;#ASMSTART
	v_dot2_f32_f16 v63, v89, v93, v63
	;;#ASMEND
	;;#ASMSTART
	v_dot2_f32_f16 v63, v90, v94, v63
	;;#ASMEND
	;;#ASMSTART
	v_dot2_f32_f16 v63, v91, v95, v63
	;;#ASMEND
	;;#ASMSTART
	v_dot2_f32_f16 v63, v92, v96, v63
	;;#ASMEND
	;;#ASMSTART
	v_dot2_f32_f16 v64, v89, v97, v64
	;;#ASMEND
	;;#ASMSTART
	v_dot2_f32_f16 v64, v90, v98, v64
	;;#ASMEND
	;;#ASMSTART
	v_dot2_f32_f16 v64, v91, v99, v64
	;;#ASMEND
	;;#ASMSTART
	v_dot2_f32_f16 v64, v92, v100, v64
	;;#ASMEND
	;;#ASMSTART
	v_dot2_f32_f16 v65, v89, v101, v65
	;;#ASMEND
	;;#ASMSTART
	v_dot2_f32_f16 v65, v90, v102, v65
	;;#ASMEND
	;;#ASMSTART
	v_dot2_f32_f16 v65, v91, v103, v65
	;;#ASMEND
	;;#ASMSTART
	v_dot2_f32_f16 v65, v92, v104, v65
	;;#ASMEND
	;;#ASMSTART
	v_dot2_f32_f16 v66, v89, v105, v66
	;;#ASMEND
	;;#ASMSTART
	v_dot2_f32_f16 v66, v90, v106, v66
	;;#ASMEND
	;;#ASMSTART
	v_dot2_f32_f16 v66, v91, v107, v66
	;;#ASMEND
	;;#ASMSTART
	v_dot2_f32_f16 v66, v92, v108, v66
	;;#ASMEND
	ds_load_b128 v[12:15], v224 offset:16432
	ds_load_b128 v[73:76], v225 offset:176
	;; [unrolled: 1-line block ×10, first 2 shown]
	s_waitcnt lgkmcnt(8)
	;;#ASMSTART
	v_dot2_f32_f16 v47, v12, v73, v47
	;;#ASMEND
	;;#ASMSTART
	v_dot2_f32_f16 v47, v13, v74, v47
	;;#ASMEND
	;;#ASMSTART
	v_dot2_f32_f16 v47, v14, v75, v47
	;;#ASMEND
	;;#ASMSTART
	v_dot2_f32_f16 v47, v15, v76, v47
	;;#ASMEND
	s_waitcnt lgkmcnt(7)
	;;#ASMSTART
	v_dot2_f32_f16 v48, v12, v77, v48
	;;#ASMEND
	;;#ASMSTART
	v_dot2_f32_f16 v48, v13, v78, v48
	;;#ASMEND
	;;#ASMSTART
	v_dot2_f32_f16 v48, v14, v79, v48
	;;#ASMEND
	;;#ASMSTART
	v_dot2_f32_f16 v48, v15, v80, v48
	;;#ASMEND
	;; [unrolled: 13-line block ×8, first 2 shown]
	;;#ASMSTART
	v_dot2_f32_f16 v55, v89, v73, v55
	;;#ASMEND
	;;#ASMSTART
	v_dot2_f32_f16 v55, v90, v74, v55
	;;#ASMEND
	;; [unrolled: 3-line block ×32, first 2 shown]
	ds_load_b128 v[12:15], v224 offset:16448
	ds_load_b128 v[73:76], v225 offset:192
	;; [unrolled: 1-line block ×10, first 2 shown]
	s_waitcnt lgkmcnt(8)
	;;#ASMSTART
	v_dot2_f32_f16 v47, v12, v73, v47
	;;#ASMEND
	;;#ASMSTART
	v_dot2_f32_f16 v47, v13, v74, v47
	;;#ASMEND
	;;#ASMSTART
	v_dot2_f32_f16 v47, v14, v75, v47
	;;#ASMEND
	;;#ASMSTART
	v_dot2_f32_f16 v47, v15, v76, v47
	;;#ASMEND
	s_waitcnt lgkmcnt(7)
	;;#ASMSTART
	v_dot2_f32_f16 v48, v12, v77, v48
	;;#ASMEND
	;;#ASMSTART
	v_dot2_f32_f16 v48, v13, v78, v48
	;;#ASMEND
	;;#ASMSTART
	v_dot2_f32_f16 v48, v14, v79, v48
	;;#ASMEND
	;;#ASMSTART
	v_dot2_f32_f16 v48, v15, v80, v48
	;;#ASMEND
	;; [unrolled: 13-line block ×8, first 2 shown]
	;;#ASMSTART
	v_dot2_f32_f16 v55, v89, v73, v55
	;;#ASMEND
	;;#ASMSTART
	v_dot2_f32_f16 v55, v90, v74, v55
	;;#ASMEND
	;; [unrolled: 3-line block ×32, first 2 shown]
	ds_load_b128 v[12:15], v224 offset:16464
	ds_load_b128 v[73:76], v225 offset:208
	;; [unrolled: 1-line block ×10, first 2 shown]
	s_waitcnt lgkmcnt(8)
	;;#ASMSTART
	v_dot2_f32_f16 v47, v12, v73, v47
	;;#ASMEND
	;;#ASMSTART
	v_dot2_f32_f16 v47, v13, v74, v47
	;;#ASMEND
	;;#ASMSTART
	v_dot2_f32_f16 v47, v14, v75, v47
	;;#ASMEND
	;;#ASMSTART
	v_dot2_f32_f16 v47, v15, v76, v47
	;;#ASMEND
	s_waitcnt lgkmcnt(7)
	;;#ASMSTART
	v_dot2_f32_f16 v48, v12, v77, v48
	;;#ASMEND
	;;#ASMSTART
	v_dot2_f32_f16 v48, v13, v78, v48
	;;#ASMEND
	;;#ASMSTART
	v_dot2_f32_f16 v48, v14, v79, v48
	;;#ASMEND
	;;#ASMSTART
	v_dot2_f32_f16 v48, v15, v80, v48
	;;#ASMEND
	;; [unrolled: 13-line block ×8, first 2 shown]
	;;#ASMSTART
	v_dot2_f32_f16 v55, v89, v73, v55
	;;#ASMEND
	;;#ASMSTART
	v_dot2_f32_f16 v55, v90, v74, v55
	;;#ASMEND
	;;#ASMSTART
	v_dot2_f32_f16 v55, v91, v75, v55
	;;#ASMEND
	;;#ASMSTART
	v_dot2_f32_f16 v55, v92, v76, v55
	;;#ASMEND
	;;#ASMSTART
	v_dot2_f32_f16 v60, v89, v77, v60
	;;#ASMEND
	;;#ASMSTART
	v_dot2_f32_f16 v60, v90, v78, v60
	;;#ASMEND
	;;#ASMSTART
	v_dot2_f32_f16 v60, v91, v79, v60
	;;#ASMEND
	;;#ASMSTART
	v_dot2_f32_f16 v60, v92, v80, v60
	;;#ASMEND
	;;#ASMSTART
	v_dot2_f32_f16 v61, v89, v81, v61
	;;#ASMEND
	;;#ASMSTART
	v_dot2_f32_f16 v61, v90, v82, v61
	;;#ASMEND
	;;#ASMSTART
	v_dot2_f32_f16 v61, v91, v83, v61
	;;#ASMEND
	;;#ASMSTART
	v_dot2_f32_f16 v61, v92, v84, v61
	;;#ASMEND
	;;#ASMSTART
	v_dot2_f32_f16 v62, v89, v85, v62
	;;#ASMEND
	;;#ASMSTART
	v_dot2_f32_f16 v62, v90, v86, v62
	;;#ASMEND
	;;#ASMSTART
	v_dot2_f32_f16 v62, v91, v87, v62
	;;#ASMEND
	;;#ASMSTART
	v_dot2_f32_f16 v62, v92, v88, v62
	;;#ASMEND
	;;#ASMSTART
	v_dot2_f32_f16 v63, v89, v93, v63
	;;#ASMEND
	;;#ASMSTART
	v_dot2_f32_f16 v63, v90, v94, v63
	;;#ASMEND
	;;#ASMSTART
	v_dot2_f32_f16 v63, v91, v95, v63
	;;#ASMEND
	;;#ASMSTART
	v_dot2_f32_f16 v63, v92, v96, v63
	;;#ASMEND
	;;#ASMSTART
	v_dot2_f32_f16 v64, v89, v97, v64
	;;#ASMEND
	;;#ASMSTART
	v_dot2_f32_f16 v64, v90, v98, v64
	;;#ASMEND
	;;#ASMSTART
	v_dot2_f32_f16 v64, v91, v99, v64
	;;#ASMEND
	;;#ASMSTART
	v_dot2_f32_f16 v64, v92, v100, v64
	;;#ASMEND
	;;#ASMSTART
	v_dot2_f32_f16 v65, v89, v101, v65
	;;#ASMEND
	;;#ASMSTART
	v_dot2_f32_f16 v65, v90, v102, v65
	;;#ASMEND
	;;#ASMSTART
	v_dot2_f32_f16 v65, v91, v103, v65
	;;#ASMEND
	;;#ASMSTART
	v_dot2_f32_f16 v65, v92, v104, v65
	;;#ASMEND
	;;#ASMSTART
	v_dot2_f32_f16 v66, v89, v105, v66
	;;#ASMEND
	;;#ASMSTART
	v_dot2_f32_f16 v66, v90, v106, v66
	;;#ASMEND
	;;#ASMSTART
	v_dot2_f32_f16 v66, v91, v107, v66
	;;#ASMEND
	;;#ASMSTART
	v_dot2_f32_f16 v66, v92, v108, v66
	;;#ASMEND
	ds_load_b128 v[12:15], v224 offset:16480
	ds_load_b128 v[73:76], v225 offset:224
	;; [unrolled: 1-line block ×10, first 2 shown]
	s_waitcnt lgkmcnt(8)
	;;#ASMSTART
	v_dot2_f32_f16 v47, v12, v73, v47
	;;#ASMEND
	;;#ASMSTART
	v_dot2_f32_f16 v47, v13, v74, v47
	;;#ASMEND
	;;#ASMSTART
	v_dot2_f32_f16 v47, v14, v75, v47
	;;#ASMEND
	;;#ASMSTART
	v_dot2_f32_f16 v47, v15, v76, v47
	;;#ASMEND
	s_waitcnt lgkmcnt(7)
	;;#ASMSTART
	v_dot2_f32_f16 v48, v12, v77, v48
	;;#ASMEND
	;;#ASMSTART
	v_dot2_f32_f16 v48, v13, v78, v48
	;;#ASMEND
	;;#ASMSTART
	v_dot2_f32_f16 v48, v14, v79, v48
	;;#ASMEND
	;;#ASMSTART
	v_dot2_f32_f16 v48, v15, v80, v48
	;;#ASMEND
	;; [unrolled: 13-line block ×8, first 2 shown]
	;;#ASMSTART
	v_dot2_f32_f16 v55, v89, v73, v55
	;;#ASMEND
	;;#ASMSTART
	v_dot2_f32_f16 v55, v90, v74, v55
	;;#ASMEND
	;; [unrolled: 3-line block ×32, first 2 shown]
	ds_load_b128 v[12:15], v224 offset:16496
	ds_load_b128 v[73:76], v225 offset:240
	ds_load_b128 v[77:80], v225 offset:496
	ds_load_b128 v[81:84], v225 offset:752
	ds_load_b128 v[85:88], v225 offset:1008
	ds_load_b128 v[89:92], v224 offset:21104
	ds_load_b128 v[93:96], v225 offset:1264
	ds_load_b128 v[97:100], v225 offset:1520
	ds_load_b128 v[101:104], v225 offset:1776
	ds_load_b128 v[105:108], v225 offset:2032
	s_waitcnt lgkmcnt(8)
	;;#ASMSTART
	v_dot2_f32_f16 v47, v12, v73, v47
	;;#ASMEND
	;;#ASMSTART
	v_dot2_f32_f16 v47, v13, v74, v47
	;;#ASMEND
	;;#ASMSTART
	v_dot2_f32_f16 v47, v14, v75, v47
	;;#ASMEND
	;;#ASMSTART
	v_dot2_f32_f16 v47, v15, v76, v47
	;;#ASMEND
	s_waitcnt lgkmcnt(7)
	;;#ASMSTART
	v_dot2_f32_f16 v48, v12, v77, v48
	;;#ASMEND
	;;#ASMSTART
	v_dot2_f32_f16 v48, v13, v78, v48
	;;#ASMEND
	;;#ASMSTART
	v_dot2_f32_f16 v48, v14, v79, v48
	;;#ASMEND
	;;#ASMSTART
	v_dot2_f32_f16 v48, v15, v80, v48
	;;#ASMEND
	s_waitcnt lgkmcnt(6)
	;;#ASMSTART
	v_dot2_f32_f16 v49, v12, v81, v49
	;;#ASMEND
	;;#ASMSTART
	v_dot2_f32_f16 v49, v13, v82, v49
	;;#ASMEND
	;;#ASMSTART
	v_dot2_f32_f16 v49, v14, v83, v49
	;;#ASMEND
	;;#ASMSTART
	v_dot2_f32_f16 v49, v15, v84, v49
	;;#ASMEND
	s_waitcnt lgkmcnt(5)
	;;#ASMSTART
	v_dot2_f32_f16 v50, v12, v85, v50
	;;#ASMEND
	;;#ASMSTART
	v_dot2_f32_f16 v50, v13, v86, v50
	;;#ASMEND
	;;#ASMSTART
	v_dot2_f32_f16 v50, v14, v87, v50
	;;#ASMEND
	;;#ASMSTART
	v_dot2_f32_f16 v50, v15, v88, v50
	;;#ASMEND
	s_waitcnt lgkmcnt(3)
	;;#ASMSTART
	v_dot2_f32_f16 v51, v12, v93, v51
	;;#ASMEND
	;;#ASMSTART
	v_dot2_f32_f16 v51, v13, v94, v51
	;;#ASMEND
	;;#ASMSTART
	v_dot2_f32_f16 v51, v14, v95, v51
	;;#ASMEND
	;;#ASMSTART
	v_dot2_f32_f16 v51, v15, v96, v51
	;;#ASMEND
	s_waitcnt lgkmcnt(2)
	;;#ASMSTART
	v_dot2_f32_f16 v52, v12, v97, v52
	;;#ASMEND
	;;#ASMSTART
	v_dot2_f32_f16 v52, v13, v98, v52
	;;#ASMEND
	;;#ASMSTART
	v_dot2_f32_f16 v52, v14, v99, v52
	;;#ASMEND
	;;#ASMSTART
	v_dot2_f32_f16 v52, v15, v100, v52
	;;#ASMEND
	s_waitcnt lgkmcnt(1)
	;;#ASMSTART
	v_dot2_f32_f16 v53, v12, v101, v53
	;;#ASMEND
	;;#ASMSTART
	v_dot2_f32_f16 v53, v13, v102, v53
	;;#ASMEND
	;;#ASMSTART
	v_dot2_f32_f16 v53, v14, v103, v53
	;;#ASMEND
	;;#ASMSTART
	v_dot2_f32_f16 v53, v15, v104, v53
	;;#ASMEND
	s_waitcnt lgkmcnt(0)
	;;#ASMSTART
	v_dot2_f32_f16 v54, v12, v105, v54
	;;#ASMEND
	;;#ASMSTART
	v_dot2_f32_f16 v54, v13, v106, v54
	;;#ASMEND
	;;#ASMSTART
	v_dot2_f32_f16 v54, v14, v107, v54
	;;#ASMEND
	;;#ASMSTART
	v_dot2_f32_f16 v54, v15, v108, v54
	;;#ASMEND
	;;#ASMSTART
	v_dot2_f32_f16 v55, v89, v73, v55
	;;#ASMEND
	;;#ASMSTART
	v_dot2_f32_f16 v55, v90, v74, v55
	;;#ASMEND
	;;#ASMSTART
	v_dot2_f32_f16 v55, v91, v75, v55
	;;#ASMEND
	;;#ASMSTART
	v_dot2_f32_f16 v55, v92, v76, v55
	;;#ASMEND
	;;#ASMSTART
	v_dot2_f32_f16 v60, v89, v77, v60
	;;#ASMEND
	;;#ASMSTART
	v_dot2_f32_f16 v60, v90, v78, v60
	;;#ASMEND
	;;#ASMSTART
	v_dot2_f32_f16 v60, v91, v79, v60
	;;#ASMEND
	;;#ASMSTART
	v_dot2_f32_f16 v60, v92, v80, v60
	;;#ASMEND
	;;#ASMSTART
	v_dot2_f32_f16 v61, v89, v81, v61
	;;#ASMEND
	;;#ASMSTART
	v_dot2_f32_f16 v61, v90, v82, v61
	;;#ASMEND
	;;#ASMSTART
	v_dot2_f32_f16 v61, v91, v83, v61
	;;#ASMEND
	;;#ASMSTART
	v_dot2_f32_f16 v61, v92, v84, v61
	;;#ASMEND
	;;#ASMSTART
	v_dot2_f32_f16 v62, v89, v85, v62
	;;#ASMEND
	;;#ASMSTART
	v_dot2_f32_f16 v62, v90, v86, v62
	;;#ASMEND
	;;#ASMSTART
	v_dot2_f32_f16 v62, v91, v87, v62
	;;#ASMEND
	;;#ASMSTART
	v_dot2_f32_f16 v62, v92, v88, v62
	;;#ASMEND
	;;#ASMSTART
	v_dot2_f32_f16 v63, v89, v93, v63
	;;#ASMEND
	;;#ASMSTART
	v_dot2_f32_f16 v63, v90, v94, v63
	;;#ASMEND
	;;#ASMSTART
	v_dot2_f32_f16 v63, v91, v95, v63
	;;#ASMEND
	;;#ASMSTART
	v_dot2_f32_f16 v63, v92, v96, v63
	;;#ASMEND
	;;#ASMSTART
	v_dot2_f32_f16 v64, v89, v97, v64
	;;#ASMEND
	;;#ASMSTART
	v_dot2_f32_f16 v64, v90, v98, v64
	;;#ASMEND
	;;#ASMSTART
	v_dot2_f32_f16 v64, v91, v99, v64
	;;#ASMEND
	;;#ASMSTART
	v_dot2_f32_f16 v64, v92, v100, v64
	;;#ASMEND
	;;#ASMSTART
	v_dot2_f32_f16 v65, v89, v101, v65
	;;#ASMEND
	;;#ASMSTART
	v_dot2_f32_f16 v65, v90, v102, v65
	;;#ASMEND
	;;#ASMSTART
	v_dot2_f32_f16 v65, v91, v103, v65
	;;#ASMEND
	;;#ASMSTART
	v_dot2_f32_f16 v65, v92, v104, v65
	;;#ASMEND
	;;#ASMSTART
	v_dot2_f32_f16 v66, v89, v105, v66
	;;#ASMEND
	;;#ASMSTART
	v_dot2_f32_f16 v66, v90, v106, v66
	;;#ASMEND
	;;#ASMSTART
	v_dot2_f32_f16 v66, v91, v107, v66
	;;#ASMEND
	;;#ASMSTART
	v_dot2_f32_f16 v66, v92, v108, v66
	;;#ASMEND
	s_clause 0x7
	flat_load_u16 v73, v[4:5]
	flat_load_u16 v4, v[4:5] offset:64
	flat_load_u16 v5, v[6:7]
	flat_load_u16 v6, v[6:7] offset:64
	;; [unrolled: 2-line block ×4, first 2 shown]
	s_waitcnt vmcnt(0) lgkmcnt(0)
	s_barrier
	buffer_gl0_inv
	s_clause 0x1
	global_load_b128 v[8:11], v[2:3], off
	global_load_b128 v[12:15], v[0:1], off
	v_cvt_f32_f16_e32 v0, v73
	v_cvt_f32_f16_e32 v1, v4
	;; [unrolled: 1-line block ×6, first 2 shown]
	v_add_f32_e32 v47, v47, v0
	v_add_f32_e32 v55, v55, v1
	v_cvt_f32_f16_e32 v6, v75
	v_cvt_f32_f16_e32 v7, v76
	v_add_f32_e32 v48, v48, v0
	v_dual_add_f32 v73, v60, v1 :: v_dual_add_f32 v74, v50, v2
	s_delay_alu instid0(VALU_DEP_4)
	v_add_f32_e32 v79, v54, v6
	v_add_f32_e32 v49, v49, v2
	;; [unrolled: 1-line block ×4, first 2 shown]
	v_dual_add_f32 v76, v52, v4 :: v_dual_add_f32 v81, v66, v7
	v_dual_add_f32 v77, v51, v4 :: v_dual_add_f32 v78, v64, v5
	;; [unrolled: 1-line block ×3, first 2 shown]
	v_add_f32_e32 v2, 0x40051340, v55
	v_dual_add_f32 v52, v63, v5 :: v_dual_add_f32 v5, 0x40051340, v74
	v_add_f32_e32 v80, v53, v6
	v_dual_add_f32 v82, v65, v7 :: v_dual_add_f32 v1, 0x40051340, v48
	v_dual_add_f32 v4, 0x40051340, v49 :: v_dual_add_f32 v7, 0x40051340, v75
	;; [unrolled: 1-line block ×4, first 2 shown]
	v_max3_f32 v0, v46, v0, v2
	v_max3_f32 v1, v45, v1, v3
	s_delay_alu instid0(VALU_DEP_4) | instskip(NEXT) | instid1(VALU_DEP_4)
	v_max3_f32 v3, v44, v4, v6
	v_max3_f32 v4, v25, v51, v54
	v_dual_add_f32 v50, 0x40051340, v77 :: v_dual_add_f32 v53, 0x40051340, v52
	ds_bpermute_b32 v51, v72, v0
	v_dual_add_f32 v60, 0x40051340, v80 :: v_dual_add_f32 v63, 0x40051340, v82
	v_max3_f32 v2, v43, v5, v7
	v_add_f32_e32 v64, 0x40051340, v81
	v_max3_f32 v5, v42, v50, v53
	ds_bpermute_b32 v50, v72, v1
	v_max3_f32 v7, v24, v60, v63
	ds_bpermute_b32 v53, v72, v2
	ds_bpermute_b32 v54, v72, v3
	;; [unrolled: 1-line block ×3, first 2 shown]
	s_waitcnt lgkmcnt(4)
	v_max_f32_e32 v51, v51, v51
	v_max3_f32 v6, v23, v61, v64
	ds_bpermute_b32 v64, v72, v7
	ds_bpermute_b32 v61, v72, v5
	;; [unrolled: 1-line block ×3, first 2 shown]
	s_waitcnt lgkmcnt(5)
	v_dual_max_f32 v50, v50, v50 :: v_dual_max_f32 v53, v53, v53
	s_waitcnt lgkmcnt(4)
	v_max_f32_e32 v54, v54, v54
	s_waitcnt lgkmcnt(3)
	s_delay_alu instid0(VALU_DEP_2)
	v_dual_max_f32 v60, v60, v60 :: v_dual_max_f32 v1, v1, v50
	ds_bpermute_b32 v50, v71, v1
	s_waitcnt lgkmcnt(3)
	v_max_f32_e32 v64, v64, v64
	v_max_f32_e32 v2, v2, v53
	s_waitcnt lgkmcnt(2)
	v_dual_max_f32 v61, v61, v61 :: v_dual_max_f32 v0, v0, v51
	v_max_f32_e32 v3, v3, v54
	v_max_f32_e32 v7, v7, v64
	ds_bpermute_b32 v53, v71, v2
	s_waitcnt lgkmcnt(2)
	v_max_f32_e32 v63, v63, v63
	ds_bpermute_b32 v51, v71, v0
	v_dual_max_f32 v4, v4, v60 :: v_dual_max_f32 v5, v5, v61
	ds_bpermute_b32 v64, v71, v7
	v_max_f32_e32 v6, v6, v63
	ds_bpermute_b32 v54, v71, v3
	ds_bpermute_b32 v60, v71, v4
	;; [unrolled: 1-line block ×3, first 2 shown]
	s_waitcnt lgkmcnt(5)
	v_dual_max_f32 v50, v50, v50 :: v_dual_max_f32 v53, v53, v53
	ds_bpermute_b32 v63, v71, v6
	s_waitcnt lgkmcnt(5)
	v_max_f32_e32 v51, v51, v51
	s_waitcnt lgkmcnt(4)
	v_dual_max_f32 v1, v1, v50 :: v_dual_max_f32 v64, v64, v64
	v_max_f32_e32 v2, v2, v53
	s_waitcnt lgkmcnt(3)
	v_max_f32_e32 v54, v54, v54
	s_waitcnt lgkmcnt(1)
	v_dual_max_f32 v60, v60, v60 :: v_dual_max_f32 v61, v61, v61
	v_max_f32_e32 v7, v7, v64
	ds_bpermute_b32 v53, v70, v2
	v_dual_max_f32 v0, v0, v51 :: v_dual_max_f32 v3, v3, v54
	v_max_f32_e32 v5, v5, v61
	ds_bpermute_b32 v50, v70, v1
	ds_bpermute_b32 v64, v70, v7
	;; [unrolled: 1-line block ×5, first 2 shown]
	s_waitcnt lgkmcnt(6)
	v_dual_max_f32 v63, v63, v63 :: v_dual_max_f32 v4, v4, v60
	s_delay_alu instid0(VALU_DEP_1)
	v_max_f32_e32 v6, v6, v63
	ds_bpermute_b32 v60, v70, v4
	s_waitcnt lgkmcnt(6)
	v_max_f32_e32 v53, v53, v53
	ds_bpermute_b32 v63, v70, v6
	s_waitcnt lgkmcnt(4)
	v_dual_max_f32 v50, v50, v50 :: v_dual_max_f32 v51, v51, v51
	s_waitcnt lgkmcnt(2)
	v_dual_max_f32 v54, v54, v54 :: v_dual_max_f32 v61, v61, v61
	s_delay_alu instid0(VALU_DEP_2) | instskip(NEXT) | instid1(VALU_DEP_2)
	v_dual_max_f32 v64, v64, v64 :: v_dual_max_f32 v1, v1, v50
	v_dual_max_f32 v0, v0, v51 :: v_dual_max_f32 v3, v3, v54
	s_delay_alu instid0(VALU_DEP_2)
	v_dual_max_f32 v2, v2, v53 :: v_dual_max_f32 v7, v7, v64
	s_waitcnt lgkmcnt(1)
	v_dual_max_f32 v5, v5, v61 :: v_dual_max_f32 v60, v60, v60
	ds_bpermute_b32 v50, v69, v1
	ds_bpermute_b32 v51, v69, v0
	ds_bpermute_b32 v53, v69, v2
	ds_bpermute_b32 v54, v69, v3
	s_waitcnt lgkmcnt(4)
	v_dual_max_f32 v63, v63, v63 :: v_dual_max_f32 v4, v4, v60
	ds_bpermute_b32 v61, v69, v5
	ds_bpermute_b32 v64, v69, v7
	v_max_f32_e32 v6, v6, v63
	ds_bpermute_b32 v60, v69, v4
	s_waitcnt lgkmcnt(5)
	v_dual_max_f32 v50, v50, v50 :: v_dual_max_f32 v51, v51, v51
	s_waitcnt lgkmcnt(4)
	v_max_f32_e32 v53, v53, v53
	ds_bpermute_b32 v63, v69, v6
	s_waitcnt lgkmcnt(4)
	v_max_f32_e32 v54, v54, v54
	v_max_f32_e32 v1, v1, v50
	s_waitcnt lgkmcnt(2)
	v_dual_max_f32 v61, v61, v61 :: v_dual_max_f32 v64, v64, v64
	v_max_f32_e32 v0, v0, v51
	v_max_f32_e32 v2, v2, v53
	s_waitcnt lgkmcnt(1)
	s_delay_alu instid0(VALU_DEP_3)
	v_dual_max_f32 v60, v60, v60 :: v_dual_max_f32 v51, v5, v61
	v_max_f32_e32 v53, v7, v64
	ds_bpermute_b32 v5, v68, v0
	v_max_f32_e32 v50, v3, v54
	ds_bpermute_b32 v3, v68, v1
	ds_bpermute_b32 v61, v68, v51
	;; [unrolled: 1-line block ×4, first 2 shown]
	s_waitcnt lgkmcnt(5)
	v_dual_max_f32 v63, v63, v63 :: v_dual_max_f32 v4, v4, v60
	s_waitcnt lgkmcnt(4)
	s_delay_alu instid0(VALU_DEP_1)
	v_dual_max_f32 v6, v6, v63 :: v_dual_max_f32 v5, v5, v5
	ds_bpermute_b32 v54, v68, v50
	s_waitcnt lgkmcnt(4)
	v_max_f32_e32 v3, v3, v3
	s_waitcnt lgkmcnt(3)
	v_max_f32_e32 v61, v61, v61
	ds_bpermute_b32 v60, v68, v4
	ds_bpermute_b32 v63, v68, v6
	s_waitcnt lgkmcnt(3)
	v_dual_max_f32 v7, v7, v7 :: v_dual_max_f32 v64, v64, v64
	v_max_f32_e32 v1, v1, v3
	s_delay_alu instid0(VALU_DEP_1) | instskip(NEXT) | instid1(VALU_DEP_1)
	v_sub_f32_e32 v66, v48, v1
	v_cmp_ngt_f32_e64 s25, 0xc2ce8ed0, v66
	s_waitcnt lgkmcnt(2)
	v_max_f32_e32 v54, v54, v54
	v_dual_max_f32 v0, v0, v5 :: v_dual_max_f32 v3, v2, v7
	s_waitcnt lgkmcnt(0)
	v_dual_max_f32 v60, v60, v60 :: v_dual_max_f32 v63, v63, v63
	s_delay_alu instid0(VALU_DEP_2) | instskip(SKIP_1) | instid1(VALU_DEP_3)
	v_dual_max_f32 v2, v50, v54 :: v_dual_sub_f32 v65, v47, v0
	v_mul_f32_e32 v69, 0x3fb8aa3b, v66
	v_dual_max_f32 v5, v4, v60 :: v_dual_max_f32 v4, v51, v61
	s_delay_alu instid0(VALU_DEP_4)
	v_dual_max_f32 v7, v6, v63 :: v_dual_max_f32 v6, v53, v64
	v_sub_f32_e32 v63, v74, v3
	v_dual_sub_f32 v60, v46, v0 :: v_dual_sub_f32 v61, v45, v1
	v_dual_sub_f32 v46, v55, v0 :: v_dual_sub_f32 v55, v49, v2
	;; [unrolled: 1-line block ×10, first 2 shown]
	v_dual_sub_f32 v42, v80, v6 :: v_dual_mul_f32 v71, 0x3fb8aa3b, v60
	v_dual_mul_f32 v68, 0x3fb8aa3b, v46 :: v_dual_mul_f32 v73, 0x3fb8aa3b, v61
	v_mul_f32_e32 v70, 0x3fb8aa3b, v65
	v_dual_mul_f32 v72, 0x3fb8aa3b, v64 :: v_dual_mul_f32 v75, 0x3fb8aa3b, v63
	v_dual_mul_f32 v74, 0x3fb8aa3b, v62 :: v_dual_mul_f32 v79, 0x3fb8aa3b, v51
	;; [unrolled: 1-line block ×9, first 2 shown]
	v_fma_f32 v92, 0x3fb8aa3b, v46, -v68
	v_rndne_f32_e32 v93, v68
	v_fma_f32 v94, 0x3fb8aa3b, v66, -v69
	v_rndne_f32_e32 v95, v69
	;; [unrolled: 2-line block ×9, first 2 shown]
	v_rndne_f32_e32 v119, v81
	v_rndne_f32_e32 v131, v87
	v_dual_mul_f32 v90, 0x3fb8aa3b, v25 :: v_dual_sub_f32 v69, v69, v95
	v_rndne_f32_e32 v111, v77
	v_rndne_f32_e32 v113, v78
	;; [unrolled: 1-line block ×3, first 2 shown]
	v_fma_f32 v118, 0x3fb8aa3b, v53, -v81
	v_rndne_f32_e32 v123, v83
	v_rndne_f32_e32 v127, v85
	v_fma_f32 v130, 0x3fb8aa3b, v47, -v87
	v_rndne_f32_e32 v135, v89
	v_rndne_f32_e32 v139, v91
	v_dual_fmac_f32 v92, 0x32a5705f, v46 :: v_dual_sub_f32 v71, v71, v99
	v_dual_sub_f32 v68, v68, v93 :: v_dual_sub_f32 v73, v73, v103
	v_dual_fmac_f32 v94, 0x32a5705f, v66 :: v_dual_sub_f32 v75, v75, v107
	v_fmac_f32_e32 v96, 0x32a5705f, v65
	v_sub_f32_e32 v70, v70, v97
	v_dual_fmac_f32 v98, 0x32a5705f, v60 :: v_dual_sub_f32 v81, v81, v119
	v_fmac_f32_e32 v100, 0x32a5705f, v64
	v_sub_f32_e32 v72, v72, v101
	;; [unrolled: 3-line block ×3, first 2 shown]
	v_dual_fmac_f32 v106, 0x32a5705f, v63 :: v_dual_add_f32 v69, v69, v94
	v_dual_fmac_f32 v108, 0x32a5705f, v55 :: v_dual_add_f32 v71, v71, v98
	v_dual_sub_f32 v76, v76, v109 :: v_dual_add_f32 v73, v73, v102
	v_fma_f32 v110, 0x3fb8aa3b, v50, -v77
	v_fma_f32 v112, 0x3fb8aa3b, v54, -v78
	;; [unrolled: 1-line block ×7, first 2 shown]
	v_dual_sub_f32 v77, v77, v111 :: v_dual_sub_f32 v78, v78, v113
	v_add_f32_e32 v75, v75, v106
	v_sub_f32_e32 v79, v79, v115
	v_sub_f32_e32 v83, v83, v123
	;; [unrolled: 1-line block ×4, first 2 shown]
	v_dual_sub_f32 v91, v91, v139 :: v_dual_add_f32 v70, v70, v96
	v_add_f32_e32 v72, v72, v100
	v_add_f32_e32 v74, v74, v104
	;; [unrolled: 1-line block ×3, first 2 shown]
	v_exp_f32_e32 v69, v69
	v_exp_f32_e32 v70, v70
	;; [unrolled: 1-line block ×8, first 2 shown]
	v_cvt_i32_f32_e32 v95, v95
	v_cvt_i32_f32_e32 v97, v97
	v_cvt_i32_f32_e32 v99, v99
	v_cvt_i32_f32_e32 v101, v101
	v_cvt_i32_f32_e32 v103, v103
	v_cvt_i32_f32_e32 v105, v105
	v_cvt_i32_f32_e32 v107, v107
	v_cvt_i32_f32_e32 v109, v109
	v_ldexp_f32 v70, v70, v97
	v_cmp_ngt_f32_e32 vcc_lo, 0xc2ce8ed0, v65
	v_ldexp_f32 v71, v71, v99
	v_cmp_ngt_f32_e64 s2, 0xc2ce8ed0, v60
	v_ldexp_f32 v72, v72, v101
	v_cmp_ngt_f32_e64 s3, 0xc2ce8ed0, v64
	;; [unrolled: 2-line block ×6, first 2 shown]
	v_ldexp_f32 v69, v69, v95
	v_fma_f32 v116, 0x3fb8aa3b, v52, -v80
	v_rndne_f32_e32 v117, v80
	v_fma_f32 v120, 0x3fb8aa3b, v49, -v82
	v_rndne_f32_e32 v121, v82
	v_fmac_f32_e32 v110, 0x32a5705f, v50
	v_fmac_f32_e32 v134, 0x32a5705f, v24
	;; [unrolled: 1-line block ×3, first 2 shown]
	v_cndmask_b32_e64 v69, 0, v69, s25
	v_cmp_nlt_f32_e64 s25, 0x42b17218, v66
	v_cndmask_b32_e32 v66, 0, v70, vcc_lo
	v_add_f32_e32 v89, v89, v134
	v_cmp_nlt_f32_e32 vcc_lo, 0x42b17218, v65
	v_cndmask_b32_e64 v65, 0, v71, s2
	v_cmp_nlt_f32_e64 s2, 0x42b17218, v60
	v_cndmask_b32_e64 v60, 0, v72, s3
	v_cmp_nlt_f32_e64 s3, 0x42b17218, v64
	;; [unrolled: 2-line block ×6, first 2 shown]
	v_dual_fmac_f32 v114, 0x32a5705f, v51 :: v_dual_add_f32 v77, v77, v110
	v_fmac_f32_e32 v116, 0x32a5705f, v52
	v_dual_fmac_f32 v118, 0x32a5705f, v53 :: v_dual_add_f32 v83, v83, v122
	v_sub_f32_e32 v80, v80, v117
	v_fmac_f32_e32 v130, 0x32a5705f, v47
	v_sub_f32_e32 v82, v82, v121
	v_cndmask_b32_e64 v65, 0x7f800000, v65, s2
	v_fmac_f32_e32 v126, 0x32a5705f, v44
	v_fmac_f32_e32 v120, 0x32a5705f, v49
	v_cndmask_b32_e64 v61, 0x7f800000, v61, s5
	v_cndmask_b32_e64 v63, 0x7f800000, v63, s7
	v_fmac_f32_e32 v112, 0x32a5705f, v54
	v_add_f32_e32 v79, v79, v114
	v_dual_add_f32 v81, v81, v118 :: v_dual_add_f32 v80, v80, v116
	s_delay_alu instid0(VALU_DEP_3) | instskip(SKIP_3) | instid1(VALU_DEP_3)
	v_dual_add_f32 v243, v63, v61 :: v_dual_add_f32 v78, v78, v112
	v_add_f32_e32 v85, v85, v126
	v_dual_add_f32 v87, v87, v130 :: v_dual_add_f32 v82, v82, v120
	v_exp_f32_e32 v77, v77
	v_exp_f32_e32 v78, v78
	v_exp_f32_e32 v79, v79
	v_exp_f32_e32 v80, v80
	v_exp_f32_e32 v81, v81
	v_exp_f32_e32 v82, v82
	v_cvt_i32_f32_e32 v111, v111
	v_cvt_i32_f32_e32 v113, v113
	;; [unrolled: 1-line block ×6, first 2 shown]
	v_ldexp_f32 v77, v77, v111
	v_cmp_ngt_f32_e64 s8, 0xc2ce8ed0, v50
	v_ldexp_f32 v78, v78, v113
	v_cmp_ngt_f32_e64 s9, 0xc2ce8ed0, v54
	v_ldexp_f32 v79, v79, v115
	v_cmp_ngt_f32_e64 s10, 0xc2ce8ed0, v51
	v_ldexp_f32 v80, v80, v117
	v_cmp_ngt_f32_e64 s11, 0xc2ce8ed0, v52
	v_ldexp_f32 v81, v81, v119
	v_cmp_ngt_f32_e64 s12, 0xc2ce8ed0, v53
	v_ldexp_f32 v82, v82, v121
	v_cmp_ngt_f32_e64 s13, 0xc2ce8ed0, v49
	v_fma_f32 v124, 0x3fb8aa3b, v48, -v84
	v_rndne_f32_e32 v125, v84
	v_fma_f32 v128, 0x3fb8aa3b, v45, -v86
	v_rndne_f32_e32 v129, v86
	;; [unrolled: 2-line block ×3, first 2 shown]
	v_cndmask_b32_e64 v55, 0, v77, s8
	v_cmp_nlt_f32_e64 s8, 0x42b17218, v50
	v_cndmask_b32_e64 v50, 0, v78, s9
	v_cmp_nlt_f32_e64 s9, 0x42b17218, v54
	;; [unrolled: 2-line block ×6, first 2 shown]
	v_fma_f32 v136, 0x3fb8aa3b, v25, -v90
	v_rndne_f32_e32 v137, v90
	v_fmac_f32_e32 v128, 0x32a5705f, v45
	v_fmac_f32_e32 v132, 0x32a5705f, v42
	v_sub_f32_e32 v88, v88, v133
	v_fmac_f32_e32 v138, 0x32a5705f, v23
	v_fmac_f32_e32 v124, 0x32a5705f, v48
	v_cndmask_b32_e64 v55, 0x7f800000, v55, s8
	v_sub_f32_e32 v86, v86, v129
	v_cndmask_b32_e64 v51, 0x7f800000, v51, s11
	v_cndmask_b32_e64 v53, 0x7f800000, v53, s13
	v_sub_f32_e32 v84, v84, v125
	v_fmac_f32_e32 v136, 0x32a5705f, v25
	v_sub_f32_e32 v90, v90, v137
	s_delay_alu instid0(VALU_DEP_4)
	v_dual_add_f32 v68, v68, v92 :: v_dual_add_f32 v245, v53, v51
	v_dual_add_f32 v88, v88, v132 :: v_dual_add_f32 v91, v91, v138
	v_add_f32_e32 v84, v84, v124
	v_dual_fmac_f32 v243, v20, v55 :: v_dual_add_f32 v86, v86, v128
	v_add_f32_e32 v90, v90, v136
	v_exp_f32_e32 v68, v68
	v_exp_f32_e32 v83, v83
	;; [unrolled: 1-line block ×10, first 2 shown]
	v_cvt_i32_f32_e32 v93, v93
	v_cvt_i32_f32_e32 v123, v123
	;; [unrolled: 1-line block ×10, first 2 shown]
	v_ldexp_f32 v83, v83, v123
	v_cmp_ngt_f32_e64 s15, 0xc2ce8ed0, v43
	v_ldexp_f32 v84, v84, v125
	v_cmp_ngt_f32_e64 s16, 0xc2ce8ed0, v48
	;; [unrolled: 2-line block ×10, first 2 shown]
	v_cndmask_b32_e64 v49, 0, v83, s15
	v_cmp_nlt_f32_e64 s15, 0x42b17218, v43
	v_cndmask_b32_e64 v43, 0, v84, s16
	v_cmp_nlt_f32_e64 s16, 0x42b17218, v48
	;; [unrolled: 2-line block ×10, first 2 shown]
	v_cndmask_b32_e64 v23, 0x7f800000, v24, s24
	v_cndmask_b32_e64 v24, 0x7f800000, v69, s25
	v_cndmask_b32_e32 v46, 0x7f800000, v66, vcc_lo
	v_cndmask_b32_e64 v62, 0x7f800000, v62, s6
	v_cndmask_b32_e64 v50, 0x7f800000, v50, s9
	;; [unrolled: 1-line block ×15, first 2 shown]
	v_add_f32_e32 v241, v46, v23
	v_cvt_f16_f32_e32 v69, v24
	v_cvt_f16_f32_e32 v46, v46
	;; [unrolled: 1-line block ×4, first 2 shown]
	v_add_f32_e32 v244, v62, v50
	v_cvt_f16_f32_e32 v73, v52
	v_cvt_f16_f32_e32 v53, v53
	v_dual_add_f32 v246, v52, v43 :: v_dual_add_f32 v247, v47, v44
	v_cvt_f16_f32_e32 v75, v45
	v_cvt_f16_f32_e32 v47, v47
	;; [unrolled: 1-line block ×4, first 2 shown]
	v_add_f32_e32 v242, v24, v60
	v_cvt_f16_f32_e32 v24, v60
	v_cvt_f16_f32_e32 v60, v64
	;; [unrolled: 1-line block ×12, first 2 shown]
	v_add_f32_e32 v240, v45, v66
	v_cvt_f16_f32_e32 v45, v66
	v_cvt_f16_f32_e32 v66, v25
	v_dual_fmac_f32 v244, v19, v54 :: v_dual_fmac_f32 v245, v18, v49
	v_dual_fmac_f32 v246, v17, v48 :: v_dual_fmac_f32 v247, v16, v42
	v_pack_b32_f16 v19, v47, v75
	v_pack_b32_f16 v18, v53, v73
	;; [unrolled: 1-line block ×4, first 2 shown]
	v_fmac_f32_e32 v241, v22, v65
	v_pk_mul_f16 v200, v23, v40 op_sel_hi:[0,1]
	v_pk_mul_f16 v202, v23, v41 op_sel_hi:[0,1]
	v_fmac_f32_e32 v242, v21, v64
	v_pk_mul_f16 v203, v60, v38 op_sel_hi:[0,1]
	v_pk_mul_f16 v206, v60, v39 op_sel_hi:[0,1]
	;; [unrolled: 1-line block ×12, first 2 shown]
	v_pack_b32_f16 v23, v44, v45
	v_pack_b32_f16 v22, v51, v43
	;; [unrolled: 1-line block ×4, first 2 shown]
	v_pk_mul_f16 v250, v66, v27 op_sel_hi:[0,1]
	v_pk_mul_f16 v251, v66, v26 op_sel_hi:[0,1]
	v_fmac_f32_e32 v240, v67, v25
	ds_store_b128 v235, v[16:19]
	ds_store_b128 v235, v[20:23] offset:512
	s_waitcnt vmcnt(1)
	ds_store_b128 v231, v[8:11]
	s_waitcnt vmcnt(0)
	ds_store_b128 v232, v[12:15]
	s_waitcnt lgkmcnt(0)
	s_barrier
	buffer_gl0_inv
	ds_load_2addr_b64 v[60:63], v233 offset1:32
	ds_load_b128 v[16:19], v230
	ds_load_b128 v[64:67], v230 offset:16
	ds_load_b128 v[68:71], v230 offset:32
	;; [unrolled: 1-line block ×3, first 2 shown]
	ds_load_2addr_b64 v[76:79], v233 offset0:64 offset1:96
	ds_load_2addr_b64 v[80:83], v233 offset0:128 offset1:160
	ds_load_b128 v[84:87], v230 offset:64
	ds_load_b128 v[88:91], v230 offset:80
	ds_load_2addr_b64 v[92:95], v233 offset0:192 offset1:224
	ds_load_b128 v[96:99], v230 offset:96
	ds_load_b128 v[100:103], v230 offset:112
	ds_load_2addr_b64 v[104:107], v237 offset1:32
	ds_load_b128 v[108:111], v230 offset:128
	ds_load_b128 v[112:115], v230 offset:144
	ds_load_2addr_b64 v[116:119], v237 offset0:64 offset1:96
	ds_load_b128 v[120:123], v230 offset:160
	ds_load_b128 v[124:127], v230 offset:176
	ds_load_2addr_b64 v[128:131], v237 offset0:128 offset1:160
	ds_load_b128 v[132:135], v230 offset:192
	ds_load_b128 v[136:139], v230 offset:208
	ds_load_2addr_b64 v[140:143], v237 offset0:192 offset1:224
	ds_load_b128 v[144:147], v230 offset:224
	ds_load_b128 v[148:151], v230 offset:240
	ds_load_2addr_b64 v[152:155], v238 offset1:32
	ds_load_b128 v[156:159], v230 offset:256
	ds_load_b128 v[160:163], v230 offset:272
	ds_load_2addr_b64 v[164:167], v238 offset0:64 offset1:96
	ds_load_b128 v[168:171], v230 offset:288
	ds_load_b128 v[172:175], v230 offset:304
	ds_load_2addr_b64 v[176:179], v238 offset0:128 offset1:160
	ds_load_b128 v[180:183], v230 offset:320
	ds_load_b128 v[184:187], v230 offset:336
	ds_load_2addr_b64 v[48:51], v238 offset0:192 offset1:224
	ds_load_b128 v[188:191], v230 offset:352
	ds_load_b128 v[52:55], v230 offset:368
	ds_load_2addr_b64 v[20:23], v239 offset1:32
	ds_load_b128 v[44:47], v230 offset:384
	ds_load_b128 v[24:27], v230 offset:400
	ds_load_2addr_b64 v[8:11], v239 offset0:64 offset1:96
	ds_load_b128 v[28:31], v230 offset:416
	ds_load_b128 v[32:35], v230 offset:432
	ds_load_2addr_b64 v[12:15], v239 offset0:128 offset1:160
	ds_load_b128 v[36:39], v230 offset:448
	ds_load_b128 v[40:43], v230 offset:464
	s_waitcnt lgkmcnt(43)
	v_pk_fma_f16 v200, v60, v16, v200 op_sel_hi:[1,0,1]
	v_pk_fma_f16 v203, v60, v16, v203 op_sel:[0,1,0]
	v_pk_fma_f16 v207, v60, v17, v207 op_sel_hi:[1,0,1]
	v_pk_fma_f16 v210, v60, v17, v210 op_sel:[0,1,0]
	;; [unrolled: 2-line block ×8, first 2 shown]
	ds_load_2addr_b64 v[16:19], v239 offset0:192 offset1:224
	s_waitcnt lgkmcnt(43)
	v_pk_fma_f16 v200, v62, v64, v200 op_sel_hi:[1,0,1]
	v_pk_fma_f16 v203, v62, v64, v203 op_sel:[0,1,0]
	v_pk_fma_f16 v207, v62, v65, v207 op_sel_hi:[1,0,1]
	v_pk_fma_f16 v210, v62, v65, v210 op_sel:[0,1,0]
	;; [unrolled: 2-line block ×8, first 2 shown]
	ds_load_b128 v[60:63], v230 offset:480
	ds_load_b128 v[64:67], v230 offset:496
	s_waitcnt lgkmcnt(0)
	s_barrier
	buffer_gl0_inv
	s_clause 0x1
	global_load_b128 v[226:229], v[58:59], off
	global_load_b128 v[56:59], v[56:57], off
	v_pk_fma_f16 v200, v76, v68, v200 op_sel_hi:[1,0,1]
	v_pk_fma_f16 v203, v76, v68, v203 op_sel:[0,1,0]
	v_pk_fma_f16 v207, v76, v69, v207 op_sel_hi:[1,0,1]
	v_pk_fma_f16 v210, v76, v69, v210 op_sel:[0,1,0]
	;; [unrolled: 2-line block ×240, first 2 shown]
	s_waitcnt vmcnt(1)
	ds_store_b128 v231, v[226:229]
	s_waitcnt vmcnt(0)
	ds_store_b128 v232, v[56:59]
	s_waitcnt lgkmcnt(0)
	s_barrier
	buffer_gl0_inv
	ds_load_2addr_b64 v[120:123], v233 offset1:32
	ds_load_b128 v[164:167], v230 offset:512
	ds_load_b128 v[136:139], v230 offset:528
	ds_load_b128 v[12:15], v230 offset:544
	ds_load_b128 v[8:11], v230 offset:560
	ds_load_2addr_b64 v[16:19], v233 offset0:64 offset1:96
	ds_load_2addr_b64 v[20:23], v233 offset0:128 offset1:160
	ds_load_b128 v[36:39], v230 offset:576
	ds_load_b128 v[40:43], v230 offset:592
	ds_load_2addr_b64 v[24:27], v233 offset0:192 offset1:224
	ds_load_b128 v[48:51], v230 offset:608
	ds_load_b128 v[52:55], v230 offset:624
	ds_load_2addr_b64 v[28:31], v237 offset1:32
	ds_load_b128 v[60:63], v230 offset:640
	ds_load_b128 v[64:67], v230 offset:656
	ds_load_2addr_b64 v[32:35], v237 offset0:64 offset1:96
	ds_load_b128 v[72:75], v230 offset:672
	ds_load_b128 v[76:79], v230 offset:688
	ds_load_2addr_b64 v[44:47], v237 offset0:128 offset1:160
	ds_load_b128 v[84:87], v230 offset:704
	ds_load_b128 v[88:91], v230 offset:720
	ds_load_2addr_b64 v[56:59], v237 offset0:192 offset1:224
	ds_load_b128 v[96:99], v230 offset:736
	ds_load_b128 v[100:103], v230 offset:752
	ds_load_2addr_b64 v[68:71], v238 offset1:32
	ds_load_b128 v[108:111], v230 offset:768
	ds_load_b128 v[112:115], v230 offset:784
	ds_load_2addr_b64 v[80:83], v238 offset0:64 offset1:96
	ds_load_b128 v[124:127], v230 offset:800
	ds_load_b128 v[128:131], v230 offset:816
	;; [unrolled: 12-line block ×3, first 2 shown]
	ds_load_2addr_b64 v[176:179], v239 offset0:128 offset1:160
	ds_load_b128 v[180:183], v230 offset:960
	ds_load_b128 v[184:187], v230 offset:976
	ds_load_2addr_b64 v[188:191], v239 offset0:192 offset1:224
	s_waitcnt lgkmcnt(44)
	v_pk_fma_f16 v226, v120, v164, v248 op_sel_hi:[1,0,1]
	v_pk_fma_f16 v227, v120, v164, v249 op_sel:[0,1,0]
	v_pk_fma_f16 v228, v120, v165, v250 op_sel_hi:[1,0,1]
	v_pk_fma_f16 v229, v120, v165, v251 op_sel:[0,1,0]
	v_pk_fma_f16 v248, v120, v166, v252 op_sel_hi:[1,0,1]
	v_pk_fma_f16 v249, v120, v166, v253 op_sel:[0,1,0]
	v_pk_fma_f16 v250, v120, v167, v254 op_sel_hi:[1,0,1]
	v_pk_fma_f16 v120, v120, v167, v255 op_sel:[0,1,0]
	v_pk_fma_f16 v200, v121, v164, v200 op_sel_hi:[1,0,1]
	v_pk_fma_f16 v202, v121, v164, v202 op_sel:[0,1,0]
	v_pk_fma_f16 v203, v121, v165, v203 op_sel_hi:[1,0,1]
	v_pk_fma_f16 v206, v121, v165, v206 op_sel:[0,1,0]
	v_pk_fma_f16 v210, v121, v166, v210 op_sel_hi:[1,0,1]
	v_pk_fma_f16 v209, v121, v166, v209 op_sel:[0,1,0]
	v_pk_fma_f16 v213, v121, v167, v213 op_sel_hi:[1,0,1]
	v_pk_fma_f16 v121, v121, v167, v207 op_sel:[0,1,0]
	s_waitcnt lgkmcnt(43)
	v_pk_fma_f16 v207, v122, v136, v226 op_sel_hi:[1,0,1]
	v_pk_fma_f16 v226, v122, v136, v227 op_sel:[0,1,0]
	v_pk_fma_f16 v227, v122, v137, v228 op_sel_hi:[1,0,1]
	v_pk_fma_f16 v228, v122, v137, v229 op_sel:[0,1,0]
	v_pk_fma_f16 v229, v122, v138, v248 op_sel_hi:[1,0,1]
	v_pk_fma_f16 v248, v122, v138, v249 op_sel:[0,1,0]
	v_pk_fma_f16 v249, v122, v139, v250 op_sel_hi:[1,0,1]
	v_pk_fma_f16 v250, v122, v139, v120 op_sel:[0,1,0]
	v_pk_fma_f16 v200, v123, v136, v200 op_sel_hi:[1,0,1]
	v_pk_fma_f16 v136, v123, v136, v202 op_sel:[0,1,0]
	v_pk_fma_f16 v202, v123, v137, v203 op_sel_hi:[1,0,1]
	v_pk_fma_f16 v137, v123, v137, v206 op_sel:[0,1,0]
	v_pk_fma_f16 v203, v123, v138, v210 op_sel_hi:[1,0,1]
	v_pk_fma_f16 v138, v123, v138, v209 op_sel:[0,1,0]
	v_pk_fma_f16 v206, v123, v139, v213 op_sel_hi:[1,0,1]
	v_pk_fma_f16 v139, v123, v139, v121 op_sel:[0,1,0]
	;; [unrolled: 17-line block ×3, first 2 shown]
	v_pk_fma_f16 v17, v18, v8, v207 op_sel_hi:[1,0,1]
	v_pk_fma_f16 v139, v18, v8, v209 op_sel:[0,1,0]
	v_pk_fma_f16 v202, v18, v9, v210 op_sel_hi:[1,0,1]
	v_pk_fma_f16 v203, v18, v9, v213 op_sel:[0,1,0]
	v_pk_fma_f16 v206, v18, v10, v226 op_sel_hi:[1,0,1]
	v_pk_fma_f16 v207, v18, v10, v227 op_sel:[0,1,0]
	v_pk_fma_f16 v209, v18, v11, v228 op_sel_hi:[1,0,1]
	v_pk_fma_f16 v16, v18, v11, v16 op_sel:[0,1,0]
	v_pk_fma_f16 v18, v19, v8, v200 op_sel_hi:[1,0,1]
	v_pk_fma_f16 v8, v19, v8, v12 op_sel:[0,1,0]
	v_pk_fma_f16 v12, v19, v9, v136 op_sel_hi:[1,0,1]
	v_pk_fma_f16 v9, v19, v9, v13 op_sel:[0,1,0]
	v_pk_fma_f16 v13, v19, v10, v137 op_sel_hi:[1,0,1]
	v_pk_fma_f16 v10, v19, v10, v14 op_sel:[0,1,0]
	v_pk_fma_f16 v14, v19, v11, v138 op_sel_hi:[1,0,1]
	v_pk_fma_f16 v11, v19, v11, v15 op_sel:[0,1,0]
	s_waitcnt lgkmcnt(38)
	v_pk_fma_f16 v15, v20, v36, v17 op_sel_hi:[1,0,1]
	v_pk_fma_f16 v17, v20, v36, v139 op_sel:[0,1,0]
	v_pk_fma_f16 v19, v20, v37, v202 op_sel_hi:[1,0,1]
	v_pk_fma_f16 v136, v20, v37, v203 op_sel:[0,1,0]
	v_pk_fma_f16 v137, v20, v38, v206 op_sel_hi:[1,0,1]
	v_pk_fma_f16 v138, v20, v38, v207 op_sel:[0,1,0]
	v_pk_fma_f16 v139, v20, v39, v209 op_sel_hi:[1,0,1]
	v_pk_fma_f16 v16, v20, v39, v16 op_sel:[0,1,0]
	v_pk_fma_f16 v18, v21, v36, v18 op_sel_hi:[1,0,1]
	v_pk_fma_f16 v8, v21, v36, v8 op_sel:[0,1,0]
	v_pk_fma_f16 v12, v21, v37, v12 op_sel_hi:[1,0,1]
	v_pk_fma_f16 v9, v21, v37, v9 op_sel:[0,1,0]
	v_pk_fma_f16 v13, v21, v38, v13 op_sel_hi:[1,0,1]
	v_pk_fma_f16 v10, v21, v38, v10 op_sel:[0,1,0]
	v_pk_fma_f16 v14, v21, v39, v14 op_sel_hi:[1,0,1]
	v_pk_fma_f16 v11, v21, v39, v11 op_sel:[0,1,0]
	s_waitcnt lgkmcnt(37)
	;; [unrolled: 17-line block ×22, first 2 shown]
	v_pk_fma_f16 v15, v118, v160, v15 op_sel_hi:[1,0,1]
	v_pk_fma_f16 v17, v118, v160, v17 op_sel:[0,1,0]
	v_pk_fma_f16 v19, v118, v161, v19 op_sel_hi:[1,0,1]
	v_pk_fma_f16 v20, v118, v161, v20 op_sel:[0,1,0]
	;; [unrolled: 2-line block ×8, first 2 shown]
	ds_load_b128 v[164:167], v230 offset:992
	ds_load_b128 v[120:123], v230 offset:1008
	s_waitcnt lgkmcnt(7)
	v_pk_fma_f16 v15, v132, v168, v15 op_sel_hi:[1,0,1]
	v_pk_fma_f16 v17, v132, v168, v17 op_sel:[0,1,0]
	v_pk_fma_f16 v19, v132, v169, v19 op_sel_hi:[1,0,1]
	v_pk_fma_f16 v20, v132, v169, v20 op_sel:[0,1,0]
	;; [unrolled: 2-line block ×8, first 2 shown]
	s_waitcnt lgkmcnt(0)
	s_barrier
	buffer_gl0_inv
	s_load_b32 s2, s[36:37], 0x4
	v_pk_fma_f16 v15, v134, v172, v15 op_sel_hi:[1,0,1]
	v_pk_fma_f16 v17, v134, v172, v17 op_sel:[0,1,0]
	v_pk_fma_f16 v19, v134, v173, v19 op_sel_hi:[1,0,1]
	v_pk_fma_f16 v20, v134, v173, v20 op_sel:[0,1,0]
	;; [unrolled: 2-line block ×32, first 2 shown]
	s_waitcnt lgkmcnt(0)
	s_lshl_b32 s2, s2, 6
	v_pk_fma_f16 v40, v190, v120, v15 op_sel_hi:[1,0,1]
	v_pk_fma_f16 v38, v190, v120, v17 op_sel:[0,1,0]
	v_pk_fma_f16 v36, v190, v121, v19 op_sel_hi:[1,0,1]
	v_pk_fma_f16 v34, v190, v121, v20 op_sel:[0,1,0]
	;; [unrolled: 2-line block ×8, first 2 shown]
	s_add_i32 s29, s2, s29
	s_delay_alu instid0(SALU_CYCLE_1)
	s_cmp_ge_i32 s29, s30
	s_cbranch_scc0 .LBB33_9
; %bb.10:
	s_clause 0xa
	scratch_load_b32 v96, off, off
	scratch_load_b32 v97, off, off offset:4
	scratch_load_b32 v98, off, off offset:8
	;; [unrolled: 1-line block ×10, first 2 shown]
	v_dual_mov_b32 v11, 32 :: v_dual_mov_b32 v12, v216
	v_lshlrev_b32_e32 v103, 2, v214
.LBB33_11:
	s_delay_alu instid0(VALU_DEP_2)
	v_cmp_lt_i32_e32 vcc_lo, v221, v11
	s_cmp_lg_u64 s[44:45], 0
	s_cselect_b32 s2, -1, 0
	s_cmp_eq_u32 s14, 0
	v_cndmask_b32_e32 v8, v12, v221, vcc_lo
	v_cmp_lt_i32_e32 vcc_lo, v220, v11
	s_cselect_b32 s3, -1, 0
	s_delay_alu instid0(SALU_CYCLE_1) | instskip(NEXT) | instid1(VALU_DEP_2)
	s_and_b32 s2, s3, s2
	v_lshlrev_b32_e32 v8, 2, v8
	ds_bpermute_b32 v9, v8, v241
	s_waitcnt lgkmcnt(0)
	v_add_f32_e32 v9, v241, v9
	ds_bpermute_b32 v13, v8, v243
	ds_bpermute_b32 v17, v8, v247
	v_cndmask_b32_e32 v18, v12, v220, vcc_lo
	ds_bpermute_b32 v10, v8, v242
	ds_bpermute_b32 v15, v8, v245
	;; [unrolled: 1-line block ×4, first 2 shown]
	v_cmp_lt_i32_e32 vcc_lo, v219, v11
	ds_bpermute_b32 v8, v8, v240
	s_waitcnt lgkmcnt(6)
	v_dual_add_f32 v13, v243, v13 :: v_dual_lshlrev_b32 v18, 2, v18
	s_waitcnt lgkmcnt(5)
	v_add_f32_e32 v17, v247, v17
	s_waitcnt lgkmcnt(3)
	v_add_f32_e32 v15, v245, v15
	ds_bpermute_b32 v19, v18, v9
	v_add_f32_e32 v10, v242, v10
	ds_bpermute_b32 v21, v18, v13
	ds_bpermute_b32 v23, v18, v15
	s_waitcnt lgkmcnt(5)
	v_add_f32_e32 v14, v244, v14
	s_waitcnt lgkmcnt(4)
	v_add_f32_e32 v16, v246, v16
	ds_bpermute_b32 v25, v18, v17
	s_waitcnt lgkmcnt(3)
	v_dual_add_f32 v8, v240, v8 :: v_dual_add_f32 v9, v9, v19
	ds_bpermute_b32 v20, v18, v10
	s_waitcnt lgkmcnt(3)
	v_dual_cndmask_b32 v42, v12, v219 :: v_dual_add_f32 v13, v13, v21
	s_waitcnt lgkmcnt(2)
	v_add_f32_e32 v15, v15, v23
	ds_bpermute_b32 v24, v18, v16
	ds_bpermute_b32 v22, v18, v14
	s_waitcnt lgkmcnt(3)
	v_dual_add_f32 v17, v17, v25 :: v_dual_lshlrev_b32 v42, 2, v42
	ds_bpermute_b32 v18, v18, v8
	v_cmp_lt_i32_e32 vcc_lo, v218, v11
	s_waitcnt lgkmcnt(3)
	v_add_f32_e32 v10, v10, v20
	ds_bpermute_b32 v20, v42, v13
	s_waitcnt lgkmcnt(3)
	v_add_f32_e32 v16, v16, v24
	s_waitcnt lgkmcnt(0)
	v_add_f32_e32 v13, v13, v20
	ds_bpermute_b32 v24, v42, v17
	v_add_f32_e32 v14, v14, v22
	ds_bpermute_b32 v22, v42, v15
	ds_bpermute_b32 v23, v42, v16
	s_waitcnt lgkmcnt(2)
	v_add_f32_e32 v17, v17, v24
	ds_bpermute_b32 v21, v42, v14
	s_waitcnt lgkmcnt(2)
	v_add_f32_e32 v15, v15, v22
	;; [unrolled: 3-line block ×3, first 2 shown]
	v_add_f32_e32 v8, v8, v18
	ds_bpermute_b32 v18, v42, v9
	ds_bpermute_b32 v25, v42, v8
	v_cndmask_b32_e32 v42, v12, v218, vcc_lo
	v_cmp_lt_i32_e32 vcc_lo, v217, v11
	s_delay_alu instid0(VALU_DEP_2)
	v_dual_cndmask_b32 v11, v12, v217 :: v_dual_lshlrev_b32 v42, 2, v42
	s_and_b32 vcc_lo, exec_lo, s2
	ds_bpermute_b32 v20, v42, v13
	v_lshlrev_b32_e32 v11, 2, v11
	ds_bpermute_b32 v21, v42, v14
	ds_bpermute_b32 v22, v42, v15
	;; [unrolled: 1-line block ×3, first 2 shown]
	s_waitcnt lgkmcnt(5)
	v_add_f32_e32 v9, v9, v18
	ds_bpermute_b32 v18, v42, v9
	v_add_f32_e32 v10, v10, v19
	s_waitcnt lgkmcnt(3)
	v_dual_add_f32 v12, v13, v20 :: v_dual_add_f32 v13, v14, v21
	s_waitcnt lgkmcnt(2)
	v_add_f32_e32 v14, v15, v22
	ds_bpermute_b32 v20, v11, v13
	ds_bpermute_b32 v21, v11, v14
	s_waitcnt lgkmcnt(2)
	v_add_f32_e32 v9, v9, v18
	ds_bpermute_b32 v19, v42, v10
	s_waitcnt lgkmcnt(0)
	v_add_f32_e32 v10, v10, v19
	ds_bpermute_b32 v19, v11, v12
	ds_bpermute_b32 v18, v11, v10
	v_add_f32_e32 v16, v16, v23
	ds_bpermute_b32 v23, v42, v16
	s_waitcnt lgkmcnt(0)
	v_dual_add_f32 v15, v16, v23 :: v_dual_add_f32 v16, v17, v24
	ds_bpermute_b32 v22, v11, v15
	v_add_f32_e32 v8, v8, v25
	ds_bpermute_b32 v23, v11, v16
	ds_bpermute_b32 v25, v42, v8
	s_waitcnt lgkmcnt(0)
	v_add_f32_e32 v17, v8, v25
	ds_bpermute_b32 v8, v11, v9
	ds_bpermute_b32 v24, v11, v17
	v_add_f32_e32 v11, v13, v20
	s_waitcnt lgkmcnt(1)
	v_dual_add_f32 v13, v15, v22 :: v_dual_add_f32 v8, v9, v8
	v_dual_add_f32 v9, v10, v18 :: v_dual_add_f32 v10, v12, v19
	s_waitcnt lgkmcnt(0)
	v_dual_add_f32 v15, v17, v24 :: v_dual_add_f32 v12, v14, v21
	v_add_f32_e32 v14, v16, v23
	s_cbranch_vccz .LBB33_14
; %bb.12:
	s_ashr_i32 s29, s28, 31
	v_dual_mov_b32 v16, 0 :: v_dual_max_f32 v17, v1, v1
	s_lshl_b64 s[2:3], s[28:29], 2
	v_dual_max_f32 v20, v4, v4 :: v_dual_max_f32 v21, v5, v5
	s_add_u32 s2, s44, s2
	s_addc_u32 s3, s45, s3
	v_max_f32_e32 v19, v3, v3
	global_load_b64 v[24:25], v16, s[2:3]
	v_max_f32_e32 v16, v0, v0
	v_dual_max_f32 v18, v2, v2 :: v_dual_max_f32 v43, v7, v7
	s_waitcnt vmcnt(0)
	v_dual_max_f32 v23, v25, v25 :: v_dual_max_f32 v22, v24, v24
	s_delay_alu instid0(VALU_DEP_1) | instskip(NEXT) | instid1(VALU_DEP_2)
	v_dual_max_f32 v42, v6, v6 :: v_dual_max_f32 v17, v17, v23
	v_dual_max_f32 v16, v16, v22 :: v_dual_max_f32 v19, v19, v23
	;; [unrolled: 1-line block ×4, first 2 shown]
	s_delay_alu instid0(VALU_DEP_3) | instskip(SKIP_1) | instid1(VALU_DEP_4)
	v_dual_max_f32 v22, v42, v22 :: v_dual_sub_f32 v43, v24, v16
	v_dual_sub_f32 v42, v0, v16 :: v_dual_sub_f32 v45, v25, v17
	v_dual_sub_f32 v44, v1, v17 :: v_dual_sub_f32 v47, v24, v18
	;; [unrolled: 1-line block ×7, first 2 shown]
	v_dual_mov_b32 v0, v16 :: v_dual_mov_b32 v3, v19
	v_dual_sub_f32 v24, v24, v22 :: v_dual_mov_b32 v1, v17
	v_dual_mov_b32 v2, v18 :: v_dual_mov_b32 v5, v21
	v_dual_mov_b32 v4, v20 :: v_dual_mov_b32 v7, v23
	v_dual_mov_b32 v6, v22 :: v_dual_mul_f32 v17, 0x3fb8aa3b, v43
	v_dual_mul_f32 v16, 0x3fb8aa3b, v42 :: v_dual_mul_f32 v19, 0x3fb8aa3b, v45
	v_dual_mul_f32 v22, 0x3fb8aa3b, v48 :: v_dual_mul_f32 v57, 0x3fb8aa3b, v51
	;; [unrolled: 1-line block ×3, first 2 shown]
	s_delay_alu instid0(VALU_DEP_3)
	v_fma_f32 v64, 0x3fb8aa3b, v42, -v16
	v_rndne_f32_e32 v65, v16
	v_fma_f32 v66, 0x3fb8aa3b, v43, -v17
	v_rndne_f32_e32 v67, v17
	;; [unrolled: 2-line block ×3, first 2 shown]
	v_rndne_f32_e32 v83, v57
	s_delay_alu instid0(VALU_DEP_4) | instskip(NEXT) | instid1(VALU_DEP_3)
	v_dual_fmac_f32 v64, 0x32a5705f, v42 :: v_dual_sub_f32 v17, v17, v67
	v_dual_sub_f32 v16, v16, v65 :: v_dual_sub_f32 v19, v19, v71
	v_dual_mul_f32 v20, 0x3fb8aa3b, v46 :: v_dual_mul_f32 v23, 0x3fb8aa3b, v49
	v_fma_f32 v68, 0x3fb8aa3b, v44, -v18
	v_rndne_f32_e32 v69, v18
	v_fma_f32 v82, 0x3fb8aa3b, v51, -v57
	v_dual_fmac_f32 v70, 0x32a5705f, v45 :: v_dual_sub_f32 v57, v57, v83
	v_fmac_f32_e32 v66, 0x32a5705f, v43
	v_add_f32_e32 v16, v16, v64
	v_dual_mul_f32 v60, 0x3fb8aa3b, v54 :: v_dual_mul_f32 v61, 0x3fb8aa3b, v24
	v_rndne_f32_e32 v75, v21
	v_rndne_f32_e32 v79, v23
	v_fmac_f32_e32 v68, 0x32a5705f, v44
	v_dual_sub_f32 v18, v18, v69 :: v_dual_add_f32 v19, v19, v70
	v_dual_mul_f32 v62, 0x3fb8aa3b, v55 :: v_dual_add_f32 v17, v17, v66
	v_exp_f32_e32 v16, v16
	v_dual_mul_f32 v56, 0x3fb8aa3b, v50 :: v_dual_mul_f32 v59, 0x3fb8aa3b, v53
	v_fma_f32 v72, 0x3fb8aa3b, v46, -v20
	v_rndne_f32_e32 v73, v20
	v_fma_f32 v74, 0x3fb8aa3b, v47, -v21
	v_fma_f32 v78, 0x3fb8aa3b, v49, -v23
	;; [unrolled: 1-line block ×3, first 2 shown]
	v_rndne_f32_e32 v91, v61
	v_cvt_i32_f32_e32 v65, v65
	v_sub_f32_e32 v21, v21, v75
	v_dual_sub_f32 v23, v23, v79 :: v_dual_add_f32 v18, v18, v68
	v_exp_f32_e32 v17, v17
	v_rndne_f32_e32 v87, v59
	v_cvt_i32_f32_e32 v67, v67
	v_fmac_f32_e32 v72, 0x32a5705f, v46
	v_dual_sub_f32 v20, v20, v73 :: v_dual_sub_f32 v61, v61, v91
	v_fmac_f32_e32 v90, 0x32a5705f, v24
	v_fmac_f32_e32 v82, 0x32a5705f, v51
	v_exp_f32_e32 v18, v18
	v_ldexp_f32 v16, v16, v65
	v_cmp_ngt_f32_e32 vcc_lo, 0xc2ce8ed0, v42
	v_dual_add_f32 v61, v61, v90 :: v_dual_mul_f32 v58, 0x3fb8aa3b, v52
	v_mul_f32_e32 v63, 0x3fb8aa3b, v25
	v_fma_f32 v76, 0x3fb8aa3b, v48, -v22
	v_rndne_f32_e32 v77, v22
	v_fma_f32 v80, 0x3fb8aa3b, v50, -v56
	v_fma_f32 v86, 0x3fb8aa3b, v53, -v59
	v_cvt_i32_f32_e32 v69, v69
	v_dual_fmac_f32 v78, 0x32a5705f, v49 :: v_dual_add_f32 v57, v57, v82
	v_fmac_f32_e32 v74, 0x32a5705f, v47
	v_dual_sub_f32 v59, v59, v87 :: v_dual_add_f32 v20, v20, v72
	v_exp_f32_e32 v19, v19
	v_ldexp_f32 v17, v17, v67
	v_cndmask_b32_e32 v16, 0, v16, vcc_lo
	v_cmp_ngt_f32_e32 vcc_lo, 0xc2ce8ed0, v43
	v_rndne_f32_e32 v95, v63
	v_cvt_i32_f32_e32 v71, v71
	v_fmac_f32_e32 v76, 0x32a5705f, v48
	v_dual_fmac_f32 v80, 0x32a5705f, v50 :: v_dual_cndmask_b32 v17, 0, v17
	v_dual_add_f32 v23, v23, v78 :: v_dual_sub_f32 v22, v22, v77
	v_add_f32_e32 v21, v21, v74
	v_exp_f32_e32 v20, v20
	v_ldexp_f32 v18, v18, v69
	v_cmp_ngt_f32_e32 vcc_lo, 0xc2ce8ed0, v44
	v_rndne_f32_e32 v85, v58
	v_fma_f32 v94, 0x3fb8aa3b, v25, -v63
	v_cvt_i32_f32_e32 v73, v73
	v_dual_sub_f32 v63, v63, v95 :: v_dual_add_f32 v22, v22, v76
	v_exp_f32_e32 v21, v21
	v_ldexp_f32 v19, v19, v71
	v_cndmask_b32_e32 v18, 0, v18, vcc_lo
	v_cmp_ngt_f32_e32 vcc_lo, 0xc2ce8ed0, v45
	v_fma_f32 v84, 0x3fb8aa3b, v52, -v58
	v_cvt_i32_f32_e32 v75, v75
	v_sub_f32_e32 v58, v58, v85
	v_exp_f32_e32 v22, v22
	v_cndmask_b32_e32 v19, 0, v19, vcc_lo
	v_ldexp_f32 v20, v20, v73
	v_cmp_ngt_f32_e32 vcc_lo, 0xc2ce8ed0, v46
	v_fma_f32 v88, 0x3fb8aa3b, v54, -v60
	v_cvt_i32_f32_e32 v77, v77
	v_exp_f32_e32 v23, v23
	v_ldexp_f32 v21, v21, v75
	v_cndmask_b32_e32 v20, 0, v20, vcc_lo
	v_cmp_ngt_f32_e32 vcc_lo, 0xc2ce8ed0, v47
	v_cvt_i32_f32_e32 v79, v79
	v_fmac_f32_e32 v88, 0x32a5705f, v54
	v_ldexp_f32 v22, v22, v77
	v_rndne_f32_e32 v81, v56
	v_cndmask_b32_e32 v21, 0, v21, vcc_lo
	v_cmp_ngt_f32_e32 vcc_lo, 0xc2ce8ed0, v48
	v_ldexp_f32 v23, v23, v79
	v_fmac_f32_e32 v94, 0x32a5705f, v25
	v_fmac_f32_e32 v84, 0x32a5705f, v52
	v_exp_f32_e32 v57, v57
	v_cndmask_b32_e32 v22, 0, v22, vcc_lo
	v_cmp_ngt_f32_e32 vcc_lo, 0xc2ce8ed0, v49
	v_dual_fmac_f32 v86, 0x32a5705f, v53 :: v_dual_add_f32 v63, v63, v94
	v_add_f32_e32 v58, v58, v84
	v_cvt_i32_f32_e32 v83, v83
	v_dual_cndmask_b32 v23, 0, v23 :: v_dual_sub_f32 v56, v56, v81
	s_delay_alu instid0(VALU_DEP_4)
	v_add_f32_e32 v59, v59, v86
	v_cvt_i32_f32_e32 v81, v81
	v_exp_f32_e32 v58, v58
	v_cmp_ngt_f32_e32 vcc_lo, 0xc2ce8ed0, v50
	v_add_f32_e32 v56, v56, v80
	v_cvt_i32_f32_e32 v85, v85
	v_exp_f32_e32 v59, v59
	v_ldexp_f32 v57, v57, v83
	v_rndne_f32_e32 v89, v60
	v_exp_f32_e32 v56, v56
	v_cvt_i32_f32_e32 v87, v87
	v_exp_f32_e32 v61, v61
	v_ldexp_f32 v58, v58, v85
	v_exp_f32_e32 v63, v63
	v_fma_f32 v92, 0x3fb8aa3b, v55, -v62
	v_rndne_f32_e32 v93, v62
	v_ldexp_f32 v59, v59, v87
	v_cvt_i32_f32_e32 v91, v91
	v_cvt_i32_f32_e32 v95, v95
	v_ldexp_f32 v56, v56, v81
	s_delay_alu instid0(TRANS32_DEP_2) | instid1(VALU_DEP_3)
	v_ldexp_f32 v61, v61, v91
	s_delay_alu instid0(TRANS32_DEP_1) | instid1(VALU_DEP_3)
	v_ldexp_f32 v63, v63, v95
	s_delay_alu instid0(VALU_DEP_3)
	v_cndmask_b32_e32 v56, 0, v56, vcc_lo
	v_cmp_ngt_f32_e32 vcc_lo, 0xc2ce8ed0, v51
	v_sub_f32_e32 v62, v62, v93
	v_cvt_i32_f32_e32 v93, v93
	v_cndmask_b32_e32 v57, 0, v57, vcc_lo
	v_cmp_ngt_f32_e32 vcc_lo, 0xc2ce8ed0, v52
	v_cndmask_b32_e32 v58, 0, v58, vcc_lo
	v_cmp_ngt_f32_e32 vcc_lo, 0xc2ce8ed0, v53
	v_sub_f32_e32 v60, v60, v89
	v_cvt_i32_f32_e32 v89, v89
	s_delay_alu instid0(VALU_DEP_2) | instskip(SKIP_1) | instid1(VALU_DEP_2)
	v_dual_cndmask_b32 v59, 0, v59 :: v_dual_add_f32 v60, v60, v88
	v_cmp_ngt_f32_e32 vcc_lo, 0xc2ce8ed0, v54
	v_exp_f32_e32 v60, v60
	s_waitcnt_depctr 0xfff
	v_ldexp_f32 v60, v60, v89
	s_delay_alu instid0(VALU_DEP_1) | instskip(SKIP_2) | instid1(VALU_DEP_1)
	v_cndmask_b32_e32 v60, 0, v60, vcc_lo
	v_cmp_ngt_f32_e32 vcc_lo, 0xc2ce8ed0, v24
	v_dual_fmac_f32 v92, 0x32a5705f, v55 :: v_dual_cndmask_b32 v61, 0, v61
	v_add_f32_e32 v62, v62, v92
	v_cmp_ngt_f32_e32 vcc_lo, 0xc2ce8ed0, v55
	s_delay_alu instid0(VALU_DEP_2) | instskip(SKIP_2) | instid1(VALU_DEP_1)
	v_exp_f32_e32 v62, v62
	s_waitcnt_depctr 0xfff
	v_ldexp_f32 v62, v62, v93
	v_cndmask_b32_e32 v62, 0, v62, vcc_lo
	v_cmp_ngt_f32_e32 vcc_lo, 0xc2ce8ed0, v25
	v_cndmask_b32_e32 v63, 0, v63, vcc_lo
	v_cmp_nlt_f32_e32 vcc_lo, 0x42b17218, v42
	v_cndmask_b32_e32 v42, 0x7f800000, v16, vcc_lo
	v_cmp_nlt_f32_e32 vcc_lo, 0x42b17218, v43
	;; [unrolled: 2-line block ×3, first 2 shown]
	s_delay_alu instid0(VALU_DEP_2)
	v_fmac_f32_e32 v16, v8, v42
	v_cndmask_b32_e32 v43, 0x7f800000, v18, vcc_lo
	v_cmp_nlt_f32_e32 vcc_lo, 0x42b17218, v45
	v_cvt_f16_f32_e32 v8, v42
	v_cndmask_b32_e32 v17, 0x7f800000, v19, vcc_lo
	v_cmp_nlt_f32_e32 vcc_lo, 0x42b17218, v46
	s_delay_alu instid0(VALU_DEP_3) | instskip(SKIP_1) | instid1(VALU_DEP_4)
	v_pk_mul_f16 v40, v8, v40 op_sel_hi:[0,1]
	v_pk_mul_f16 v41, v8, v41 op_sel_hi:[0,1]
	v_dual_mov_b32 v8, v16 :: v_dual_fmac_f32 v17, v9, v43
	v_cvt_f16_f32_e32 v9, v43
	s_delay_alu instid0(VALU_DEP_1) | instskip(SKIP_1) | instid1(VALU_DEP_4)
	v_pk_mul_f16 v38, v9, v38 op_sel_hi:[0,1]
	v_pk_mul_f16 v39, v9, v39 op_sel_hi:[0,1]
	v_dual_mov_b32 v9, v17 :: v_dual_cndmask_b32 v44, 0x7f800000, v20
	v_cmp_nlt_f32_e32 vcc_lo, 0x42b17218, v47
	v_cndmask_b32_e32 v18, 0x7f800000, v21, vcc_lo
	v_cmp_nlt_f32_e32 vcc_lo, 0x42b17218, v48
	s_delay_alu instid0(VALU_DEP_2) | instskip(SKIP_4) | instid1(VALU_DEP_3)
	v_dual_fmac_f32 v18, v10, v44 :: v_dual_cndmask_b32 v45, 0x7f800000, v22
	v_cmp_nlt_f32_e32 vcc_lo, 0x42b17218, v49
	v_cvt_f16_f32_e32 v10, v44
	v_cndmask_b32_e32 v19, 0x7f800000, v23, vcc_lo
	v_cmp_nlt_f32_e32 vcc_lo, 0x42b17218, v50
	v_pk_mul_f16 v36, v10, v36 op_sel_hi:[0,1]
	v_pk_mul_f16 v37, v10, v37 op_sel_hi:[0,1]
	s_delay_alu instid0(VALU_DEP_4)
	v_dual_mov_b32 v10, v18 :: v_dual_fmac_f32 v19, v11, v45
	v_cndmask_b32_e32 v46, 0x7f800000, v56, vcc_lo
	v_cmp_nlt_f32_e32 vcc_lo, 0x42b17218, v51
	v_cvt_f16_f32_e32 v11, v45
	v_cndmask_b32_e32 v20, 0x7f800000, v57, vcc_lo
	v_cmp_nlt_f32_e32 vcc_lo, 0x42b17218, v52
	s_delay_alu instid0(VALU_DEP_3) | instskip(SKIP_1) | instid1(VALU_DEP_4)
	v_pk_mul_f16 v34, v11, v34 op_sel_hi:[0,1]
	v_pk_mul_f16 v35, v11, v35 op_sel_hi:[0,1]
	v_dual_mov_b32 v11, v19 :: v_dual_fmac_f32 v20, v12, v46
	v_cndmask_b32_e32 v47, 0x7f800000, v58, vcc_lo
	v_cmp_nlt_f32_e32 vcc_lo, 0x42b17218, v53
	v_cvt_f16_f32_e32 v12, v46
	v_cndmask_b32_e32 v21, 0x7f800000, v59, vcc_lo
	v_cmp_nlt_f32_e32 vcc_lo, 0x42b17218, v54
	s_delay_alu instid0(VALU_DEP_3) | instskip(SKIP_1) | instid1(VALU_DEP_4)
	v_pk_mul_f16 v32, v12, v32 op_sel_hi:[0,1]
	v_pk_mul_f16 v33, v12, v33 op_sel_hi:[0,1]
	;; [unrolled: 9-line block ×3, first 2 shown]
	v_dual_mov_b32 v13, v21 :: v_dual_fmac_f32 v22, v14, v48
	v_cndmask_b32_e32 v24, 0x7f800000, v62, vcc_lo
	v_cmp_nlt_f32_e32 vcc_lo, 0x42b17218, v25
	v_cvt_f16_f32_e32 v14, v48
	v_cndmask_b32_e32 v23, 0x7f800000, v63, vcc_lo
	s_delay_alu instid0(VALU_DEP_2) | instskip(SKIP_1) | instid1(VALU_DEP_3)
	v_pk_mul_f16 v28, v14, v28 op_sel_hi:[0,1]
	v_pk_mul_f16 v29, v14, v29 op_sel_hi:[0,1]
	v_dual_mov_b32 v14, v22 :: v_dual_fmac_f32 v23, v15, v24
	v_cvt_f16_f32_e32 v15, v24
	s_delay_alu instid0(VALU_DEP_1) | instskip(SKIP_1) | instid1(VALU_DEP_4)
	v_pk_mul_f16 v27, v15, v27 op_sel_hi:[0,1]
	v_pk_mul_f16 v26, v15, v26 op_sel_hi:[0,1]
	v_mov_b32_e32 v15, v23
	s_mov_b32 s2, exec_lo
	v_cmpx_gt_i32_e64 s26, v215
	s_cbranch_execnz .LBB33_15
.LBB33_13:
	s_nop 0
	s_sendmsg sendmsg(MSG_DEALLOC_VGPRS)
	s_endpgm
.LBB33_14:
	s_delay_alu instid0(VALU_DEP_1) | instskip(NEXT) | instid1(VALU_DEP_3)
	v_dual_mov_b32 v23, v15 :: v_dual_mov_b32 v22, v14
	v_dual_mov_b32 v21, v13 :: v_dual_mov_b32 v20, v12
	;; [unrolled: 1-line block ×4, first 2 shown]
	s_mov_b32 s2, exec_lo
	v_cmpx_gt_i32_e64 s26, v215
	s_cbranch_execz .LBB33_13
.LBB33_15:
	s_load_b32 s1, s[0:1], 0xd4
	v_mov_b32_e32 v42, 1.0
	s_waitcnt lgkmcnt(0)
	s_cmp_lg_u32 s1, 1
	s_cselect_b32 s3, -1, 0
	s_cmp_eq_u32 s1, 1
	s_cselect_b32 s4, -1, 0
	s_and_b32 vcc_lo, exec_lo, s3
	s_cbranch_vccnz .LBB33_17
; %bb.16:
	v_div_scale_f32 v24, null, v8, v8, 1.0
	s_delay_alu instid0(VALU_DEP_1) | instskip(SKIP_2) | instid1(VALU_DEP_1)
	v_rcp_f32_e32 v25, v24
	s_waitcnt_depctr 0xfff
	v_fma_f32 v42, -v24, v25, 1.0
	v_fmac_f32_e32 v25, v42, v25
	v_div_scale_f32 v42, vcc_lo, 1.0, v8, 1.0
	s_delay_alu instid0(VALU_DEP_1) | instskip(NEXT) | instid1(VALU_DEP_1)
	v_mul_f32_e32 v43, v42, v25
	v_fma_f32 v44, -v24, v43, v42
	s_delay_alu instid0(VALU_DEP_1) | instskip(NEXT) | instid1(VALU_DEP_1)
	v_fmac_f32_e32 v43, v44, v25
	v_fma_f32 v24, -v24, v43, v42
	s_delay_alu instid0(VALU_DEP_1) | instskip(NEXT) | instid1(VALU_DEP_1)
	v_div_fmas_f32 v24, v24, v25, v43
	v_div_fixup_f32 v42, v24, v8, 1.0
.LBB33_17:
	s_mul_i32 s2, s33, s26
	v_cvt_f32_f16_e32 v46, v40
	s_add_i32 s2, s2, s31
	v_lshrrev_b32_e32 v45, 16, v41
	s_waitcnt vmcnt(0)
	v_add_nc_u32_e32 v8, s2, v107
	v_cvt_f32_f16_e32 v47, v41
	v_cmp_eq_u32_e32 vcc_lo, 0, v214
	v_mov_b32_e32 v44, 0
	v_cvt_f32_f16_e32 v48, v45
	v_mul_lo_u32 v8, v8, s27
	v_mul_f32_e32 v45, v42, v47
	s_and_b32 s3, vcc_lo, s3
	s_delay_alu instid0(VALU_DEP_2) | instskip(NEXT) | instid1(VALU_DEP_1)
	v_add_nc_u32_e32 v43, s28, v8
	v_mad_u64_u32 v[24:25], null, s1, v43, s[14:15]
	v_lshrrev_b32_e32 v25, 16, v40
	s_delay_alu instid0(VALU_DEP_1) | instskip(NEXT) | instid1(VALU_DEP_3)
	v_cvt_f32_f16_e32 v25, v25
	v_lshl_add_u32 v43, v24, 7, v103
	s_delay_alu instid0(VALU_DEP_1) | instskip(SKIP_1) | instid1(VALU_DEP_4)
	v_lshlrev_b64 v[40:41], 2, v[43:44]
	v_mul_f32_e32 v43, v42, v46
	v_mul_f32_e32 v44, v42, v25
	;; [unrolled: 1-line block ×3, first 2 shown]
	s_delay_alu instid0(VALU_DEP_4) | instskip(NEXT) | instid1(VALU_DEP_1)
	v_add_co_u32 v40, s0, s48, v40
	v_add_co_ci_u32_e64 v41, s0, s49, v41, s0
	global_store_b128 v[40:41], v[43:46], off
	s_and_saveexec_b32 s0, s3
	s_cbranch_execz .LBB33_19
; %bb.18:
	v_ashrrev_i32_e32 v25, 31, v24
	v_mov_b32_e32 v40, v0
	v_mov_b32_e32 v41, v16
	s_delay_alu instid0(VALU_DEP_3) | instskip(NEXT) | instid1(VALU_DEP_1)
	v_lshlrev_b64 v[24:25], 3, v[24:25]
	v_add_co_u32 v24, vcc_lo, s50, v24
	s_delay_alu instid0(VALU_DEP_2)
	v_add_co_ci_u32_e32 v25, vcc_lo, s51, v25, vcc_lo
	global_store_b64 v[24:25], v[40:41], off
.LBB33_19:
	s_or_b32 exec_lo, exec_lo, s0
	v_cndmask_b32_e64 v24, 0, 1, s4
	v_mov_b32_e32 v0, 1.0
	s_and_not1_b32 vcc_lo, exec_lo, s4
	s_cbranch_vccnz .LBB33_21
; %bb.20:
	v_div_scale_f32 v0, null, v9, v9, 1.0
	s_delay_alu instid0(VALU_DEP_1) | instskip(SKIP_2) | instid1(VALU_DEP_1)
	v_rcp_f32_e32 v16, v0
	s_waitcnt_depctr 0xfff
	v_fma_f32 v25, -v0, v16, 1.0
	v_fmac_f32_e32 v16, v25, v16
	v_div_scale_f32 v25, vcc_lo, 1.0, v9, 1.0
	s_delay_alu instid0(VALU_DEP_1) | instskip(NEXT) | instid1(VALU_DEP_1)
	v_mul_f32_e32 v40, v25, v16
	v_fma_f32 v41, -v0, v40, v25
	s_delay_alu instid0(VALU_DEP_1) | instskip(NEXT) | instid1(VALU_DEP_1)
	v_fmac_f32_e32 v40, v41, v16
	v_fma_f32 v0, -v0, v40, v25
	s_delay_alu instid0(VALU_DEP_1) | instskip(NEXT) | instid1(VALU_DEP_1)
	v_div_fmas_f32 v0, v0, v16, v40
	v_div_fixup_f32 v0, v0, v9, 1.0
.LBB33_21:
	s_add_i32 s0, s28, 1
	v_cvt_f32_f16_e32 v25, v38
	v_dual_mov_b32 v41, 0 :: v_dual_add_nc_u32 v16, s0, v8
	s_delay_alu instid0(VALU_DEP_1) | instskip(SKIP_4) | instid1(VALU_DEP_4)
	v_mad_u64_u32 v[8:9], null, s1, v16, s[14:15]
	v_lshrrev_b32_e32 v9, 16, v38
	v_lshrrev_b32_e32 v16, 16, v39
	v_cvt_f32_f16_e32 v39, v39
	v_mul_f32_e32 v38, v0, v25
	v_cvt_f32_f16_e32 v9, v9
	v_lshl_add_u32 v40, v8, 7, v103
	v_cvt_f32_f16_e32 v16, v16
	s_delay_alu instid0(VALU_DEP_2) | instskip(SKIP_2) | instid1(VALU_DEP_4)
	v_lshlrev_b64 v[42:43], 2, v[40:41]
	v_mul_f32_e32 v40, v0, v39
	v_mul_f32_e32 v39, v0, v9
	;; [unrolled: 1-line block ×3, first 2 shown]
	s_delay_alu instid0(VALU_DEP_4)
	v_add_co_u32 v42, vcc_lo, s48, v42
	v_add_co_ci_u32_e32 v43, vcc_lo, s49, v43, vcc_lo
	global_store_b128 v[42:43], v[38:41], off
	s_and_saveexec_b32 s4, s3
	s_cbranch_execz .LBB33_23
; %bb.22:
	v_ashrrev_i32_e32 v9, 31, v8
	v_mov_b32_e32 v16, v1
	s_delay_alu instid0(VALU_DEP_2) | instskip(NEXT) | instid1(VALU_DEP_1)
	v_lshlrev_b64 v[8:9], 3, v[8:9]
	v_add_co_u32 v8, vcc_lo, s50, v8
	s_delay_alu instid0(VALU_DEP_2)
	v_add_co_ci_u32_e32 v9, vcc_lo, s51, v9, vcc_lo
	global_store_b64 v[8:9], v[16:17], off
.LBB33_23:
	s_or_b32 exec_lo, exec_lo, s4
	v_cmp_gt_i32_e32 vcc_lo, s26, v212
	s_and_b32 exec_lo, exec_lo, vcc_lo
	s_cbranch_execz .LBB33_13
; %bb.24:
	v_cmp_ne_u32_e32 vcc_lo, 1, v24
	v_mov_b32_e32 v8, 1.0
	s_cbranch_vccnz .LBB33_26
; %bb.25:
	v_div_scale_f32 v0, null, v10, v10, 1.0
	s_delay_alu instid0(VALU_DEP_1) | instskip(SKIP_2) | instid1(VALU_DEP_1)
	v_rcp_f32_e32 v1, v0
	s_waitcnt_depctr 0xfff
	v_fma_f32 v8, -v0, v1, 1.0
	v_fmac_f32_e32 v1, v8, v1
	v_div_scale_f32 v8, vcc_lo, 1.0, v10, 1.0
	s_delay_alu instid0(VALU_DEP_1) | instskip(NEXT) | instid1(VALU_DEP_1)
	v_mul_f32_e32 v9, v8, v1
	v_fma_f32 v16, -v0, v9, v8
	s_delay_alu instid0(VALU_DEP_1) | instskip(NEXT) | instid1(VALU_DEP_1)
	v_fmac_f32_e32 v9, v16, v1
	v_fma_f32 v0, -v0, v9, v8
	s_delay_alu instid0(VALU_DEP_1) | instskip(NEXT) | instid1(VALU_DEP_1)
	v_div_fmas_f32 v0, v0, v1, v9
	v_div_fixup_f32 v8, v0, v10, 1.0
.LBB33_26:
	v_lshrrev_b32_e32 v16, 16, v37
	v_cvt_f32_f16_e32 v25, v37
	v_cvt_f32_f16_e32 v17, v36
	s_delay_alu instid0(VALU_DEP_3) | instskip(SKIP_1) | instid1(VALU_DEP_4)
	v_cvt_f32_f16_e32 v16, v16
	v_add_nc_u32_e32 v0, s2, v105
	v_mul_f32_e32 v38, v8, v25
	s_delay_alu instid0(VALU_DEP_3) | instskip(NEXT) | instid1(VALU_DEP_3)
	v_mul_f32_e32 v39, v8, v16
	v_mad_u64_u32 v[9:10], null, v0, s27, s[28:29]
	s_delay_alu instid0(VALU_DEP_1) | instskip(SKIP_2) | instid1(VALU_DEP_2)
	v_mad_u64_u32 v[0:1], null, s1, v9, s[14:15]
	v_lshrrev_b32_e32 v1, 16, v36
	v_mul_f32_e32 v36, v8, v17
	v_cvt_f32_f16_e32 v1, v1
	v_mov_b32_e32 v10, 0
	v_lshl_add_u32 v9, v0, 7, v103
	s_delay_alu instid0(VALU_DEP_3) | instskip(NEXT) | instid1(VALU_DEP_2)
	v_mul_f32_e32 v37, v8, v1
	v_lshlrev_b64 v[9:10], 2, v[9:10]
	s_delay_alu instid0(VALU_DEP_1) | instskip(NEXT) | instid1(VALU_DEP_2)
	v_add_co_u32 v8, vcc_lo, s48, v9
	v_add_co_ci_u32_e32 v9, vcc_lo, s49, v10, vcc_lo
	global_store_b128 v[8:9], v[36:39], off
	s_and_saveexec_b32 s4, s3
	s_cbranch_execz .LBB33_28
; %bb.27:
	v_ashrrev_i32_e32 v1, 31, v0
	v_mov_b32_e32 v17, v2
	s_delay_alu instid0(VALU_DEP_2) | instskip(NEXT) | instid1(VALU_DEP_1)
	v_lshlrev_b64 v[0:1], 3, v[0:1]
	v_add_co_u32 v0, vcc_lo, s50, v0
	s_delay_alu instid0(VALU_DEP_2)
	v_add_co_ci_u32_e32 v1, vcc_lo, s51, v1, vcc_lo
	global_store_b64 v[0:1], v[17:18], off
.LBB33_28:
	s_or_b32 exec_lo, exec_lo, s4
	v_cmp_gt_i32_e32 vcc_lo, s26, v211
	s_and_b32 exec_lo, exec_lo, vcc_lo
	s_cbranch_execz .LBB33_13
; %bb.29:
	v_cmp_ne_u32_e32 vcc_lo, 1, v24
	v_mov_b32_e32 v2, 1.0
	s_cbranch_vccnz .LBB33_31
; %bb.30:
	v_div_scale_f32 v0, null, v11, v11, 1.0
	s_delay_alu instid0(VALU_DEP_1) | instskip(SKIP_2) | instid1(VALU_DEP_1)
	v_rcp_f32_e32 v1, v0
	s_waitcnt_depctr 0xfff
	v_fma_f32 v2, -v0, v1, 1.0
	v_fmac_f32_e32 v1, v2, v1
	v_div_scale_f32 v2, vcc_lo, 1.0, v11, 1.0
	s_delay_alu instid0(VALU_DEP_1) | instskip(NEXT) | instid1(VALU_DEP_1)
	v_mul_f32_e32 v8, v2, v1
	v_fma_f32 v9, -v0, v8, v2
	s_delay_alu instid0(VALU_DEP_1) | instskip(NEXT) | instid1(VALU_DEP_1)
	v_fmac_f32_e32 v8, v9, v1
	v_fma_f32 v0, -v0, v8, v2
	s_delay_alu instid0(VALU_DEP_1) | instskip(NEXT) | instid1(VALU_DEP_1)
	v_div_fmas_f32 v0, v0, v1, v8
	v_div_fixup_f32 v2, v0, v11, 1.0
.LBB33_31:
	v_add_nc_u32_e32 v0, s2, v106
	v_lshrrev_b32_e32 v10, 16, v35
	v_cvt_f32_f16_e32 v11, v34
	v_cvt_f32_f16_e32 v18, v35
	s_delay_alu instid0(VALU_DEP_4) | instskip(SKIP_2) | instid1(VALU_DEP_4)
	v_mad_u64_u32 v[8:9], null, v0, s27, s[0:1]
	v_mov_b32_e32 v9, 0
	v_cvt_f32_f16_e32 v25, v10
	v_mul_f32_e32 v10, v2, v18
	s_delay_alu instid0(VALU_DEP_4) | instskip(SKIP_1) | instid1(VALU_DEP_1)
	v_mad_u64_u32 v[0:1], null, s1, v8, s[14:15]
	v_lshrrev_b32_e32 v1, 16, v34
	v_cvt_f32_f16_e32 v1, v1
	s_delay_alu instid0(VALU_DEP_3) | instskip(NEXT) | instid1(VALU_DEP_1)
	v_lshl_add_u32 v8, v0, 7, v103
	v_lshlrev_b64 v[16:17], 2, v[8:9]
	s_delay_alu instid0(VALU_DEP_3) | instskip(SKIP_2) | instid1(VALU_DEP_4)
	v_mul_f32_e32 v9, v2, v1
	v_mul_f32_e32 v8, v2, v11
	v_mul_f32_e32 v11, v2, v25
	v_add_co_u32 v1, vcc_lo, s48, v16
	v_add_co_ci_u32_e32 v2, vcc_lo, s49, v17, vcc_lo
	global_store_b128 v[1:2], v[8:11], off
	s_and_saveexec_b32 s4, s3
	s_cbranch_execz .LBB33_33
; %bb.32:
	v_ashrrev_i32_e32 v1, 31, v0
	v_mov_b32_e32 v18, v3
	s_delay_alu instid0(VALU_DEP_2) | instskip(NEXT) | instid1(VALU_DEP_1)
	v_lshlrev_b64 v[0:1], 3, v[0:1]
	v_add_co_u32 v0, vcc_lo, s50, v0
	s_delay_alu instid0(VALU_DEP_2)
	v_add_co_ci_u32_e32 v1, vcc_lo, s51, v1, vcc_lo
	global_store_b64 v[0:1], v[18:19], off
.LBB33_33:
	s_or_b32 exec_lo, exec_lo, s4
	v_cmp_gt_i32_e32 vcc_lo, s26, v104
	s_and_b32 exec_lo, exec_lo, vcc_lo
	s_cbranch_execz .LBB33_13
; %bb.34:
	v_cmp_ne_u32_e32 vcc_lo, 1, v24
	v_mov_b32_e32 v2, 1.0
	s_cbranch_vccnz .LBB33_36
; %bb.35:
	v_div_scale_f32 v0, null, v12, v12, 1.0
	s_delay_alu instid0(VALU_DEP_1) | instskip(SKIP_2) | instid1(VALU_DEP_1)
	v_rcp_f32_e32 v1, v0
	s_waitcnt_depctr 0xfff
	v_fma_f32 v2, -v0, v1, 1.0
	v_fmac_f32_e32 v1, v2, v1
	v_div_scale_f32 v2, vcc_lo, 1.0, v12, 1.0
	s_delay_alu instid0(VALU_DEP_1) | instskip(NEXT) | instid1(VALU_DEP_1)
	v_mul_f32_e32 v3, v2, v1
	v_fma_f32 v8, -v0, v3, v2
	s_delay_alu instid0(VALU_DEP_1) | instskip(NEXT) | instid1(VALU_DEP_1)
	v_fmac_f32_e32 v3, v8, v1
	v_fma_f32 v0, -v0, v3, v2
	s_delay_alu instid0(VALU_DEP_1) | instskip(NEXT) | instid1(VALU_DEP_1)
	v_div_fmas_f32 v0, v0, v1, v3
	v_div_fixup_f32 v2, v0, v12, 1.0
.LBB33_36:
	v_add_nc_u32_e32 v0, s2, v102
	v_lshrrev_b32_e32 v3, 16, v33
	v_cvt_f32_f16_e32 v10, v32
	v_cvt_f32_f16_e32 v11, v33
	s_delay_alu instid0(VALU_DEP_4) | instskip(SKIP_2) | instid1(VALU_DEP_3)
	v_mad_u64_u32 v[8:9], null, v0, s27, s[28:29]
	v_mov_b32_e32 v9, 0
	v_cvt_f32_f16_e32 v3, v3
	v_mad_u64_u32 v[0:1], null, s1, v8, s[14:15]
	v_lshrrev_b32_e32 v1, 16, v32
	s_delay_alu instid0(VALU_DEP_1) | instskip(NEXT) | instid1(VALU_DEP_3)
	v_cvt_f32_f16_e32 v1, v1
	v_lshl_add_u32 v8, v0, 7, v103
	s_delay_alu instid0(VALU_DEP_1) | instskip(NEXT) | instid1(VALU_DEP_3)
	v_lshlrev_b64 v[16:17], 2, v[8:9]
	v_mul_f32_e32 v9, v2, v1
	v_mul_f32_e32 v8, v2, v10
	;; [unrolled: 1-line block ×4, first 2 shown]
	v_add_co_u32 v1, vcc_lo, s48, v16
	v_add_co_ci_u32_e32 v2, vcc_lo, s49, v17, vcc_lo
	global_store_b128 v[1:2], v[8:11], off
	s_and_saveexec_b32 s4, s3
	s_cbranch_execz .LBB33_38
; %bb.37:
	v_ashrrev_i32_e32 v1, 31, v0
	v_mov_b32_e32 v19, v4
	s_delay_alu instid0(VALU_DEP_2) | instskip(NEXT) | instid1(VALU_DEP_1)
	v_lshlrev_b64 v[0:1], 3, v[0:1]
	v_add_co_u32 v0, vcc_lo, s50, v0
	s_delay_alu instid0(VALU_DEP_2)
	v_add_co_ci_u32_e32 v1, vcc_lo, s51, v1, vcc_lo
	global_store_b64 v[0:1], v[19:20], off
.LBB33_38:
	s_or_b32 exec_lo, exec_lo, s4
	v_cmp_gt_i32_e32 vcc_lo, s26, v101
	s_and_b32 exec_lo, exec_lo, vcc_lo
	s_cbranch_execz .LBB33_13
; %bb.39:
	v_cmp_ne_u32_e32 vcc_lo, 1, v24
	v_mov_b32_e32 v2, 1.0
	s_cbranch_vccnz .LBB33_41
; %bb.40:
	v_div_scale_f32 v0, null, v13, v13, 1.0
	s_delay_alu instid0(VALU_DEP_1) | instskip(SKIP_2) | instid1(VALU_DEP_1)
	v_rcp_f32_e32 v1, v0
	s_waitcnt_depctr 0xfff
	v_fma_f32 v2, -v0, v1, 1.0
	v_fmac_f32_e32 v1, v2, v1
	v_div_scale_f32 v2, vcc_lo, 1.0, v13, 1.0
	s_delay_alu instid0(VALU_DEP_1) | instskip(NEXT) | instid1(VALU_DEP_1)
	v_mul_f32_e32 v3, v2, v1
	v_fma_f32 v4, -v0, v3, v2
	s_delay_alu instid0(VALU_DEP_1) | instskip(NEXT) | instid1(VALU_DEP_1)
	v_fmac_f32_e32 v3, v4, v1
	v_fma_f32 v0, -v0, v3, v2
	s_delay_alu instid0(VALU_DEP_1) | instskip(NEXT) | instid1(VALU_DEP_1)
	v_div_fmas_f32 v0, v0, v1, v3
	v_div_fixup_f32 v2, v0, v13, 1.0
.LBB33_41:
	v_add_nc_u32_e32 v0, s2, v99
	v_lshrrev_b32_e32 v8, 16, v31
	v_cvt_f32_f16_e32 v9, v30
	v_cvt_f32_f16_e32 v10, v31
	s_delay_alu instid0(VALU_DEP_4) | instskip(NEXT) | instid1(VALU_DEP_4)
	v_mad_u64_u32 v[3:4], null, v0, s27, s[0:1]
	v_cvt_f32_f16_e32 v11, v8
	v_mov_b32_e32 v4, 0
	v_mul_f32_e32 v8, v2, v9
	v_mul_f32_e32 v10, v2, v10
	s_delay_alu instid0(VALU_DEP_4) | instskip(SKIP_2) | instid1(VALU_DEP_1)
	v_mul_f32_e32 v11, v2, v11
	v_mad_u64_u32 v[0:1], null, s1, v3, s[14:15]
	v_lshrrev_b32_e32 v1, 16, v30
	v_cvt_f32_f16_e32 v1, v1
	s_delay_alu instid0(VALU_DEP_3) | instskip(NEXT) | instid1(VALU_DEP_2)
	v_lshl_add_u32 v3, v0, 7, v103
	v_mul_f32_e32 v9, v2, v1
	s_delay_alu instid0(VALU_DEP_2) | instskip(NEXT) | instid1(VALU_DEP_1)
	v_lshlrev_b64 v[3:4], 2, v[3:4]
	v_add_co_u32 v1, vcc_lo, s48, v3
	s_delay_alu instid0(VALU_DEP_2)
	v_add_co_ci_u32_e32 v2, vcc_lo, s49, v4, vcc_lo
	global_store_b128 v[1:2], v[8:11], off
	s_and_saveexec_b32 s4, s3
	s_cbranch_execz .LBB33_43
; %bb.42:
	v_ashrrev_i32_e32 v1, 31, v0
	v_mov_b32_e32 v20, v5
	s_delay_alu instid0(VALU_DEP_2) | instskip(NEXT) | instid1(VALU_DEP_1)
	v_lshlrev_b64 v[0:1], 3, v[0:1]
	v_add_co_u32 v0, vcc_lo, s50, v0
	s_delay_alu instid0(VALU_DEP_2)
	v_add_co_ci_u32_e32 v1, vcc_lo, s51, v1, vcc_lo
	global_store_b64 v[0:1], v[20:21], off
.LBB33_43:
	s_or_b32 exec_lo, exec_lo, s4
	v_cmp_gt_i32_e32 vcc_lo, s26, v100
	s_and_b32 exec_lo, exec_lo, vcc_lo
	s_cbranch_execz .LBB33_13
; %bb.44:
	v_cmp_ne_u32_e32 vcc_lo, 1, v24
	v_mov_b32_e32 v2, 1.0
	s_cbranch_vccnz .LBB33_46
; %bb.45:
	v_div_scale_f32 v0, null, v14, v14, 1.0
	s_delay_alu instid0(VALU_DEP_1) | instskip(SKIP_2) | instid1(VALU_DEP_1)
	v_rcp_f32_e32 v1, v0
	s_waitcnt_depctr 0xfff
	v_fma_f32 v2, -v0, v1, 1.0
	v_fmac_f32_e32 v1, v2, v1
	v_div_scale_f32 v2, vcc_lo, 1.0, v14, 1.0
	s_delay_alu instid0(VALU_DEP_1) | instskip(NEXT) | instid1(VALU_DEP_1)
	v_mul_f32_e32 v3, v2, v1
	v_fma_f32 v4, -v0, v3, v2
	s_delay_alu instid0(VALU_DEP_1) | instskip(NEXT) | instid1(VALU_DEP_1)
	v_fmac_f32_e32 v3, v4, v1
	v_fma_f32 v0, -v0, v3, v2
	s_delay_alu instid0(VALU_DEP_1) | instskip(NEXT) | instid1(VALU_DEP_1)
	v_div_fmas_f32 v0, v0, v1, v3
	v_div_fixup_f32 v2, v0, v14, 1.0
.LBB33_46:
	v_add_nc_u32_e32 v0, s2, v98
	v_lshrrev_b32_e32 v5, 16, v29
	v_cvt_f32_f16_e32 v9, v29
	v_cvt_f32_f16_e32 v8, v28
	s_delay_alu instid0(VALU_DEP_4) | instskip(NEXT) | instid1(VALU_DEP_4)
	v_mad_u64_u32 v[3:4], null, v0, s27, s[28:29]
	v_cvt_f32_f16_e32 v5, v5
	v_mov_b32_e32 v4, 0
	v_mul_f32_e32 v10, v2, v9
	v_mul_f32_e32 v8, v2, v8
	s_delay_alu instid0(VALU_DEP_4) | instskip(SKIP_2) | instid1(VALU_DEP_1)
	v_mul_f32_e32 v11, v2, v5
	v_mad_u64_u32 v[0:1], null, s1, v3, s[14:15]
	v_lshrrev_b32_e32 v1, 16, v28
	v_cvt_f32_f16_e32 v1, v1
	s_delay_alu instid0(VALU_DEP_3) | instskip(NEXT) | instid1(VALU_DEP_2)
	v_lshl_add_u32 v3, v0, 7, v103
	v_mul_f32_e32 v9, v2, v1
	s_delay_alu instid0(VALU_DEP_2) | instskip(NEXT) | instid1(VALU_DEP_1)
	v_lshlrev_b64 v[3:4], 2, v[3:4]
	v_add_co_u32 v1, vcc_lo, s48, v3
	s_delay_alu instid0(VALU_DEP_2)
	v_add_co_ci_u32_e32 v2, vcc_lo, s49, v4, vcc_lo
	global_store_b128 v[1:2], v[8:11], off
	s_and_saveexec_b32 s4, s3
	s_cbranch_execz .LBB33_48
; %bb.47:
	v_ashrrev_i32_e32 v1, 31, v0
	v_mov_b32_e32 v21, v6
	s_delay_alu instid0(VALU_DEP_2) | instskip(NEXT) | instid1(VALU_DEP_1)
	v_lshlrev_b64 v[0:1], 3, v[0:1]
	v_add_co_u32 v0, vcc_lo, s50, v0
	s_delay_alu instid0(VALU_DEP_2)
	v_add_co_ci_u32_e32 v1, vcc_lo, s51, v1, vcc_lo
	global_store_b64 v[0:1], v[21:22], off
.LBB33_48:
	s_or_b32 exec_lo, exec_lo, s4
	v_cmp_gt_i32_e32 vcc_lo, s26, v97
	s_and_b32 exec_lo, exec_lo, vcc_lo
	s_cbranch_execz .LBB33_13
; %bb.49:
	v_cmp_ne_u32_e32 vcc_lo, 1, v24
	v_mov_b32_e32 v2, 1.0
	s_cbranch_vccnz .LBB33_51
; %bb.50:
	v_div_scale_f32 v0, null, v15, v15, 1.0
	s_delay_alu instid0(VALU_DEP_1) | instskip(SKIP_2) | instid1(VALU_DEP_1)
	v_rcp_f32_e32 v1, v0
	s_waitcnt_depctr 0xfff
	v_fma_f32 v2, -v0, v1, 1.0
	v_fmac_f32_e32 v1, v2, v1
	v_div_scale_f32 v2, vcc_lo, 1.0, v15, 1.0
	s_delay_alu instid0(VALU_DEP_1) | instskip(NEXT) | instid1(VALU_DEP_1)
	v_mul_f32_e32 v3, v2, v1
	v_fma_f32 v4, -v0, v3, v2
	s_delay_alu instid0(VALU_DEP_1) | instskip(NEXT) | instid1(VALU_DEP_1)
	v_fmac_f32_e32 v3, v4, v1
	v_fma_f32 v0, -v0, v3, v2
	s_delay_alu instid0(VALU_DEP_1) | instskip(NEXT) | instid1(VALU_DEP_1)
	v_div_fmas_f32 v0, v0, v1, v3
	v_div_fixup_f32 v2, v0, v15, 1.0
.LBB33_51:
	v_cvt_f32_f16_e32 v6, v27
	v_add_nc_u32_e32 v0, s2, v96
	v_lshrrev_b32_e32 v5, 16, v26
	v_cvt_f32_f16_e32 v10, v26
	s_delay_alu instid0(VALU_DEP_3) | instskip(SKIP_1) | instid1(VALU_DEP_4)
	v_mad_u64_u32 v[3:4], null, v0, s27, s[0:1]
	v_mov_b32_e32 v4, 0
	v_cvt_f32_f16_e32 v11, v5
	s_delay_alu instid0(VALU_DEP_4) | instskip(NEXT) | instid1(VALU_DEP_4)
	v_mul_f32_e32 v5, v2, v10
	v_mad_u64_u32 v[0:1], null, s1, v3, s[14:15]
	v_lshrrev_b32_e32 v1, 16, v27
	s_delay_alu instid0(VALU_DEP_1) | instskip(NEXT) | instid1(VALU_DEP_3)
	v_cvt_f32_f16_e32 v1, v1
	v_lshl_add_u32 v3, v0, 7, v103
	s_delay_alu instid0(VALU_DEP_1) | instskip(NEXT) | instid1(VALU_DEP_3)
	v_lshlrev_b64 v[8:9], 2, v[3:4]
	v_mul_f32_e32 v4, v2, v1
	v_mul_f32_e32 v3, v2, v6
	;; [unrolled: 1-line block ×3, first 2 shown]
	s_delay_alu instid0(VALU_DEP_4)
	v_add_co_u32 v1, vcc_lo, s48, v8
	v_add_co_ci_u32_e32 v2, vcc_lo, s49, v9, vcc_lo
	global_store_b128 v[1:2], v[3:6], off
	s_and_b32 exec_lo, exec_lo, s3
	s_cbranch_execz .LBB33_13
; %bb.52:
	v_ashrrev_i32_e32 v1, 31, v0
	v_mov_b32_e32 v22, v7
	s_delay_alu instid0(VALU_DEP_2) | instskip(NEXT) | instid1(VALU_DEP_1)
	v_lshlrev_b64 v[0:1], 3, v[0:1]
	v_add_co_u32 v0, vcc_lo, s50, v0
	s_delay_alu instid0(VALU_DEP_2)
	v_add_co_ci_u32_e32 v1, vcc_lo, s51, v1, vcc_lo
	global_store_b64 v[0:1], v[22:23], off
	s_nop 0
	s_sendmsg sendmsg(MSG_DEALLOC_VGPRS)
	s_endpgm
	.section	.rodata,"a",@progbits
	.p2align	6, 0x0
	.amdhsa_kernel _ZL15flash_attn_tileILi128ELi128ELi32ELi2ELb0EEvPKcS1_S1_S1_S1_PKiPfP15HIP_vector_typeIfLj2EEffffjfiS5_IjLj3EEiiiiiiiiiiiliiliiiiil
		.amdhsa_group_segment_fixed_size 33792
		.amdhsa_private_segment_fixed_size 48
		.amdhsa_kernarg_size 464
		.amdhsa_user_sgpr_count 13
		.amdhsa_user_sgpr_dispatch_ptr 0
		.amdhsa_user_sgpr_queue_ptr 0
		.amdhsa_user_sgpr_kernarg_segment_ptr 1
		.amdhsa_user_sgpr_dispatch_id 0
		.amdhsa_user_sgpr_private_segment_size 0
		.amdhsa_wavefront_size32 1
		.amdhsa_uses_dynamic_stack 0
		.amdhsa_enable_private_segment 1
		.amdhsa_system_sgpr_workgroup_id_x 1
		.amdhsa_system_sgpr_workgroup_id_y 1
		.amdhsa_system_sgpr_workgroup_id_z 1
		.amdhsa_system_sgpr_workgroup_info 0
		.amdhsa_system_vgpr_workitem_id 1
		.amdhsa_next_free_vgpr 256
		.amdhsa_next_free_sgpr 52
		.amdhsa_reserve_vcc 1
		.amdhsa_float_round_mode_32 0
		.amdhsa_float_round_mode_16_64 0
		.amdhsa_float_denorm_mode_32 3
		.amdhsa_float_denorm_mode_16_64 3
		.amdhsa_dx10_clamp 1
		.amdhsa_ieee_mode 1
		.amdhsa_fp16_overflow 0
		.amdhsa_workgroup_processor_mode 1
		.amdhsa_memory_ordered 1
		.amdhsa_forward_progress 0
		.amdhsa_shared_vgpr_count 0
		.amdhsa_exception_fp_ieee_invalid_op 0
		.amdhsa_exception_fp_denorm_src 0
		.amdhsa_exception_fp_ieee_div_zero 0
		.amdhsa_exception_fp_ieee_overflow 0
		.amdhsa_exception_fp_ieee_underflow 0
		.amdhsa_exception_fp_ieee_inexact 0
		.amdhsa_exception_int_div_zero 0
	.end_amdhsa_kernel
	.section	.text._ZL15flash_attn_tileILi128ELi128ELi32ELi2ELb0EEvPKcS1_S1_S1_S1_PKiPfP15HIP_vector_typeIfLj2EEffffjfiS5_IjLj3EEiiiiiiiiiiiliiliiiiil,"axG",@progbits,_ZL15flash_attn_tileILi128ELi128ELi32ELi2ELb0EEvPKcS1_S1_S1_S1_PKiPfP15HIP_vector_typeIfLj2EEffffjfiS5_IjLj3EEiiiiiiiiiiiliiliiiiil,comdat
.Lfunc_end33:
	.size	_ZL15flash_attn_tileILi128ELi128ELi32ELi2ELb0EEvPKcS1_S1_S1_S1_PKiPfP15HIP_vector_typeIfLj2EEffffjfiS5_IjLj3EEiiiiiiiiiiiliiliiiiil, .Lfunc_end33-_ZL15flash_attn_tileILi128ELi128ELi32ELi2ELb0EEvPKcS1_S1_S1_S1_PKiPfP15HIP_vector_typeIfLj2EEffffjfiS5_IjLj3EEiiiiiiiiiiiliiliiiiil
                                        ; -- End function
	.section	.AMDGPU.csdata,"",@progbits
; Kernel info:
; codeLenInByte = 44368
; NumSgprs: 54
; NumVgprs: 256
; ScratchSize: 48
; MemoryBound: 0
; FloatMode: 240
; IeeeMode: 1
; LDSByteSize: 33792 bytes/workgroup (compile time only)
; SGPRBlocks: 6
; VGPRBlocks: 31
; NumSGPRsForWavesPerEU: 54
; NumVGPRsForWavesPerEU: 256
; Occupancy: 5
; WaveLimiterHint : 1
; COMPUTE_PGM_RSRC2:SCRATCH_EN: 1
; COMPUTE_PGM_RSRC2:USER_SGPR: 13
; COMPUTE_PGM_RSRC2:TRAP_HANDLER: 0
; COMPUTE_PGM_RSRC2:TGID_X_EN: 1
; COMPUTE_PGM_RSRC2:TGID_Y_EN: 1
; COMPUTE_PGM_RSRC2:TGID_Z_EN: 1
; COMPUTE_PGM_RSRC2:TIDIG_COMP_CNT: 1
	.section	.text._ZL25flash_attn_mask_to_KV_maxILi32EEvPK7__half2Piiii,"axG",@progbits,_ZL25flash_attn_mask_to_KV_maxILi32EEvPK7__half2Piiii,comdat
	.globl	_ZL25flash_attn_mask_to_KV_maxILi32EEvPK7__half2Piiii ; -- Begin function _ZL25flash_attn_mask_to_KV_maxILi32EEvPK7__half2Piiii
	.p2align	8
	.type	_ZL25flash_attn_mask_to_KV_maxILi32EEvPK7__half2Piiii,@function
_ZL25flash_attn_mask_to_KV_maxILi32EEvPK7__half2Piiii: ; @_ZL25flash_attn_mask_to_KV_maxILi32EEvPK7__half2Piiii
; %bb.0:
	s_load_b128 s[4:7], s[0:1], 0x0
	s_mov_b32 s2, exec_lo
	v_cmpx_gt_u32_e32 32, v0
	s_cbranch_execz .LBB34_2
; %bb.1:
	v_dual_mov_b32 v2, 1 :: v_dual_lshlrev_b32 v1, 2, v0
	ds_store_b32 v1, v2
.LBB34_2:
	s_or_b32 exec_lo, exec_lo, s2
	s_clause 0x1
	s_load_b128 s[8:11], s[0:1], 0x10
	s_load_b32 s1, s[0:1], 0x20
	v_dual_mov_b32 v2, 0 :: v_dual_and_b32 v1, 31, v0
	v_lshrrev_b32_e32 v5, 3, v0
	s_waitcnt lgkmcnt(0)
	s_barrier
	s_delay_alu instid0(VALU_DEP_2) | instskip(SKIP_4) | instid1(SALU_CYCLE_1)
	v_lshlrev_b32_e32 v6, 2, v1
	buffer_gl0_inv
	s_mul_i32 s0, s14, s9
	s_mul_i32 s2, s15, s10
	s_lshl_b32 s0, s0, 5
	s_add_i32 s2, s2, s0
	v_cmp_eq_u32_e64 s0, 0, v1
	s_ashr_i32 s3, s2, 31
	s_delay_alu instid0(SALU_CYCLE_1) | instskip(NEXT) | instid1(SALU_CYCLE_1)
	s_lshl_b64 s[10:11], s[2:3], 2
	s_add_u32 s3, s4, s10
	s_addc_u32 s4, s5, s11
	s_lshl_b32 s5, s8, 8
	s_branch .LBB34_4
.LBB34_3:                               ;   in Loop: Header=BB34_4 Depth=1
	s_or_b32 exec_lo, exec_lo, s10
	s_waitcnt lgkmcnt(0)
	s_barrier
	buffer_gl0_inv
	ds_load_b32 v1, v6
	s_waitcnt lgkmcnt(0)
	s_barrier
	buffer_gl0_inv
	;;#ASMSTART
	;;#ASMEND
	v_cmp_ne_u32_e32 vcc_lo, 0, v1
	s_cmp_lg_u32 vcc_lo, exec_lo
	s_cselect_b32 s8, -1, 0
	s_delay_alu instid0(SALU_CYCLE_1)
	s_and_b32 vcc_lo, exec_lo, s8
	s_cbranch_vccnz .LBB34_132
.LBB34_4:                               ; =>This Inner Loop Header: Depth=1
	s_mov_b32 s2, s5
	s_addk_i32 s5, 0xff00
	s_delay_alu instid0(SALU_CYCLE_1)
	s_cmp_lt_i32 s5, 0
	s_cbranch_scc1 .LBB34_131
; %bb.5:                                ;   in Loop: Header=BB34_4 Depth=1
	s_lshr_b32 s8, s5, 1
	s_mov_b32 s10, 0
	v_add_nc_u32_e32 v1, s8, v0
	s_delay_alu instid0(VALU_DEP_1) | instskip(NEXT) | instid1(VALU_DEP_1)
	v_lshlrev_b64 v[3:4], 2, v[1:2]
	v_add_co_u32 v3, vcc_lo, s3, v3
	s_delay_alu instid0(VALU_DEP_2) | instskip(SKIP_4) | instid1(VALU_DEP_2)
	v_add_co_ci_u32_e32 v4, vcc_lo, s4, v4, vcc_lo
	global_load_b32 v3, v[3:4], off
	s_waitcnt vmcnt(0)
	v_lshrrev_b32_e32 v4, 16, v3
	v_cmp_class_f16_e64 s8, v3, 0x204
	v_and_b32_e32 v4, 0x7fff, v4
	s_delay_alu instid0(VALU_DEP_1) | instskip(NEXT) | instid1(VALU_DEP_3)
	v_cmp_eq_f16_e32 vcc_lo, 0x7c00, v4
	s_and_b32 s11, s8, vcc_lo
	s_delay_alu instid0(SALU_CYCLE_1)
	s_and_saveexec_b32 s8, s11
	s_cbranch_execz .LBB34_129
; %bb.6:                                ;   in Loop: Header=BB34_4 Depth=1
	v_add_nc_u32_e32 v3, s9, v1
	s_mov_b32 s11, 0
	s_delay_alu instid0(VALU_DEP_1) | instskip(NEXT) | instid1(VALU_DEP_1)
	v_ashrrev_i32_e32 v4, 31, v3
	v_lshlrev_b64 v[7:8], 2, v[3:4]
	s_delay_alu instid0(VALU_DEP_1) | instskip(NEXT) | instid1(VALU_DEP_2)
	v_add_co_u32 v7, vcc_lo, s3, v7
	v_add_co_ci_u32_e32 v8, vcc_lo, s4, v8, vcc_lo
	global_load_b32 v1, v[7:8], off
	s_waitcnt vmcnt(0)
	v_cmp_class_f16_e64 s12, v1, 0x204
	s_delay_alu instid0(VALU_DEP_1)
	s_and_saveexec_b32 s10, s12
	s_cbranch_execz .LBB34_128
; %bb.7:                                ;   in Loop: Header=BB34_4 Depth=1
	v_lshrrev_b32_e32 v1, 16, v1
	s_mov_b32 s12, 0
	s_delay_alu instid0(VALU_DEP_1) | instskip(NEXT) | instid1(VALU_DEP_1)
	v_cmp_class_f16_e64 s13, v1, 0x204
	s_and_saveexec_b32 s11, s13
	s_cbranch_execz .LBB34_127
; %bb.8:                                ;   in Loop: Header=BB34_4 Depth=1
	v_add_nc_u32_e32 v3, s9, v3
	s_mov_b32 s13, 0
	s_delay_alu instid0(VALU_DEP_1) | instskip(NEXT) | instid1(VALU_DEP_1)
	v_ashrrev_i32_e32 v4, 31, v3
	v_lshlrev_b64 v[7:8], 2, v[3:4]
	s_delay_alu instid0(VALU_DEP_1) | instskip(NEXT) | instid1(VALU_DEP_2)
	v_add_co_u32 v7, vcc_lo, s3, v7
	v_add_co_ci_u32_e32 v8, vcc_lo, s4, v8, vcc_lo
	global_load_b32 v1, v[7:8], off
	s_waitcnt vmcnt(0)
	v_cmp_class_f16_e64 s16, v1, 0x204
	s_delay_alu instid0(VALU_DEP_1)
	s_and_saveexec_b32 s12, s16
	s_cbranch_execz .LBB34_126
; %bb.9:                                ;   in Loop: Header=BB34_4 Depth=1
	v_lshrrev_b32_e32 v1, 16, v1
	s_mov_b32 s16, 0
	s_delay_alu instid0(VALU_DEP_1) | instskip(NEXT) | instid1(VALU_DEP_1)
	v_cmp_class_f16_e64 s17, v1, 0x204
	s_and_saveexec_b32 s13, s17
	s_cbranch_execz .LBB34_125
; %bb.10:                               ;   in Loop: Header=BB34_4 Depth=1
	v_add_nc_u32_e32 v3, s9, v3
	s_mov_b32 s17, 0
	s_delay_alu instid0(VALU_DEP_1) | instskip(NEXT) | instid1(VALU_DEP_1)
	v_ashrrev_i32_e32 v4, 31, v3
	v_lshlrev_b64 v[7:8], 2, v[3:4]
	s_delay_alu instid0(VALU_DEP_1) | instskip(NEXT) | instid1(VALU_DEP_2)
	v_add_co_u32 v7, vcc_lo, s3, v7
	v_add_co_ci_u32_e32 v8, vcc_lo, s4, v8, vcc_lo
	global_load_b32 v1, v[7:8], off
	s_waitcnt vmcnt(0)
	v_cmp_class_f16_e64 s18, v1, 0x204
	s_delay_alu instid0(VALU_DEP_1)
	s_and_saveexec_b32 s16, s18
	s_cbranch_execz .LBB34_124
; %bb.11:                               ;   in Loop: Header=BB34_4 Depth=1
	v_lshrrev_b32_e32 v1, 16, v1
	s_mov_b32 s18, 0
	s_delay_alu instid0(VALU_DEP_1) | instskip(NEXT) | instid1(VALU_DEP_1)
	v_cmp_class_f16_e64 s19, v1, 0x204
	s_and_saveexec_b32 s17, s19
	s_cbranch_execz .LBB34_123
; %bb.12:                               ;   in Loop: Header=BB34_4 Depth=1
	v_add_nc_u32_e32 v3, s9, v3
	s_mov_b32 s19, 0
	s_delay_alu instid0(VALU_DEP_1) | instskip(NEXT) | instid1(VALU_DEP_1)
	v_ashrrev_i32_e32 v4, 31, v3
	v_lshlrev_b64 v[7:8], 2, v[3:4]
	s_delay_alu instid0(VALU_DEP_1) | instskip(NEXT) | instid1(VALU_DEP_2)
	v_add_co_u32 v7, vcc_lo, s3, v7
	v_add_co_ci_u32_e32 v8, vcc_lo, s4, v8, vcc_lo
	global_load_b32 v1, v[7:8], off
	s_waitcnt vmcnt(0)
	v_cmp_class_f16_e64 s20, v1, 0x204
	s_delay_alu instid0(VALU_DEP_1)
	s_and_saveexec_b32 s18, s20
	s_cbranch_execz .LBB34_122
; %bb.13:                               ;   in Loop: Header=BB34_4 Depth=1
	v_lshrrev_b32_e32 v1, 16, v1
	s_mov_b32 s20, 0
	s_delay_alu instid0(VALU_DEP_1) | instskip(NEXT) | instid1(VALU_DEP_1)
	v_cmp_class_f16_e64 s21, v1, 0x204
	s_and_saveexec_b32 s19, s21
	s_cbranch_execz .LBB34_121
; %bb.14:                               ;   in Loop: Header=BB34_4 Depth=1
	v_add_nc_u32_e32 v3, s9, v3
	s_mov_b32 s21, 0
	s_delay_alu instid0(VALU_DEP_1) | instskip(NEXT) | instid1(VALU_DEP_1)
	v_ashrrev_i32_e32 v4, 31, v3
	v_lshlrev_b64 v[7:8], 2, v[3:4]
	s_delay_alu instid0(VALU_DEP_1) | instskip(NEXT) | instid1(VALU_DEP_2)
	v_add_co_u32 v7, vcc_lo, s3, v7
	v_add_co_ci_u32_e32 v8, vcc_lo, s4, v8, vcc_lo
	global_load_b32 v1, v[7:8], off
	s_waitcnt vmcnt(0)
	v_cmp_class_f16_e64 s22, v1, 0x204
	s_delay_alu instid0(VALU_DEP_1)
	s_and_saveexec_b32 s20, s22
	s_cbranch_execz .LBB34_120
; %bb.15:                               ;   in Loop: Header=BB34_4 Depth=1
	v_lshrrev_b32_e32 v1, 16, v1
	s_mov_b32 s22, 0
	s_delay_alu instid0(VALU_DEP_1) | instskip(NEXT) | instid1(VALU_DEP_1)
	v_cmp_class_f16_e64 s23, v1, 0x204
	s_and_saveexec_b32 s21, s23
	s_cbranch_execz .LBB34_119
; %bb.16:                               ;   in Loop: Header=BB34_4 Depth=1
	v_add_nc_u32_e32 v3, s9, v3
	s_mov_b32 s23, 0
	s_delay_alu instid0(VALU_DEP_1) | instskip(NEXT) | instid1(VALU_DEP_1)
	v_ashrrev_i32_e32 v4, 31, v3
	v_lshlrev_b64 v[7:8], 2, v[3:4]
	s_delay_alu instid0(VALU_DEP_1) | instskip(NEXT) | instid1(VALU_DEP_2)
	v_add_co_u32 v7, vcc_lo, s3, v7
	v_add_co_ci_u32_e32 v8, vcc_lo, s4, v8, vcc_lo
	global_load_b32 v1, v[7:8], off
	s_waitcnt vmcnt(0)
	v_cmp_class_f16_e64 s24, v1, 0x204
	s_delay_alu instid0(VALU_DEP_1)
	s_and_saveexec_b32 s22, s24
	s_cbranch_execz .LBB34_118
; %bb.17:                               ;   in Loop: Header=BB34_4 Depth=1
	v_lshrrev_b32_e32 v1, 16, v1
	s_mov_b32 s24, 0
	s_delay_alu instid0(VALU_DEP_1) | instskip(NEXT) | instid1(VALU_DEP_1)
	v_cmp_class_f16_e64 s25, v1, 0x204
	s_and_saveexec_b32 s23, s25
	s_cbranch_execz .LBB34_117
; %bb.18:                               ;   in Loop: Header=BB34_4 Depth=1
	v_add_nc_u32_e32 v3, s9, v3
	s_mov_b32 s25, 0
	s_delay_alu instid0(VALU_DEP_1) | instskip(NEXT) | instid1(VALU_DEP_1)
	v_ashrrev_i32_e32 v4, 31, v3
	v_lshlrev_b64 v[7:8], 2, v[3:4]
	s_delay_alu instid0(VALU_DEP_1) | instskip(NEXT) | instid1(VALU_DEP_2)
	v_add_co_u32 v7, vcc_lo, s3, v7
	v_add_co_ci_u32_e32 v8, vcc_lo, s4, v8, vcc_lo
	global_load_b32 v1, v[7:8], off
	s_waitcnt vmcnt(0)
	v_cmp_class_f16_e64 s26, v1, 0x204
	s_delay_alu instid0(VALU_DEP_1)
	s_and_saveexec_b32 s24, s26
	s_cbranch_execz .LBB34_116
; %bb.19:                               ;   in Loop: Header=BB34_4 Depth=1
	v_lshrrev_b32_e32 v1, 16, v1
	s_mov_b32 s26, 0
	s_delay_alu instid0(VALU_DEP_1) | instskip(NEXT) | instid1(VALU_DEP_1)
	v_cmp_class_f16_e64 s27, v1, 0x204
	s_and_saveexec_b32 s25, s27
	s_cbranch_execz .LBB34_115
; %bb.20:                               ;   in Loop: Header=BB34_4 Depth=1
	v_add_nc_u32_e32 v3, s9, v3
	s_mov_b32 s27, 0
	s_delay_alu instid0(VALU_DEP_1) | instskip(NEXT) | instid1(VALU_DEP_1)
	v_ashrrev_i32_e32 v4, 31, v3
	v_lshlrev_b64 v[7:8], 2, v[3:4]
	s_delay_alu instid0(VALU_DEP_1) | instskip(NEXT) | instid1(VALU_DEP_2)
	v_add_co_u32 v7, vcc_lo, s3, v7
	v_add_co_ci_u32_e32 v8, vcc_lo, s4, v8, vcc_lo
	global_load_b32 v1, v[7:8], off
	s_waitcnt vmcnt(0)
	v_cmp_class_f16_e64 s28, v1, 0x204
	s_delay_alu instid0(VALU_DEP_1)
	s_and_saveexec_b32 s26, s28
	s_cbranch_execz .LBB34_114
; %bb.21:                               ;   in Loop: Header=BB34_4 Depth=1
	v_lshrrev_b32_e32 v1, 16, v1
	s_mov_b32 s28, 0
	s_delay_alu instid0(VALU_DEP_1) | instskip(NEXT) | instid1(VALU_DEP_1)
	v_cmp_class_f16_e64 s29, v1, 0x204
	s_and_saveexec_b32 s27, s29
	s_cbranch_execz .LBB34_113
; %bb.22:                               ;   in Loop: Header=BB34_4 Depth=1
	v_add_nc_u32_e32 v3, s9, v3
	s_mov_b32 s29, 0
	s_delay_alu instid0(VALU_DEP_1) | instskip(NEXT) | instid1(VALU_DEP_1)
	v_ashrrev_i32_e32 v4, 31, v3
	v_lshlrev_b64 v[7:8], 2, v[3:4]
	s_delay_alu instid0(VALU_DEP_1) | instskip(NEXT) | instid1(VALU_DEP_2)
	v_add_co_u32 v7, vcc_lo, s3, v7
	v_add_co_ci_u32_e32 v8, vcc_lo, s4, v8, vcc_lo
	global_load_b32 v1, v[7:8], off
	s_waitcnt vmcnt(0)
	v_cmp_class_f16_e64 s30, v1, 0x204
	s_delay_alu instid0(VALU_DEP_1)
	s_and_saveexec_b32 s28, s30
	s_cbranch_execz .LBB34_112
; %bb.23:                               ;   in Loop: Header=BB34_4 Depth=1
	v_lshrrev_b32_e32 v1, 16, v1
	s_mov_b32 s30, 0
	s_delay_alu instid0(VALU_DEP_1) | instskip(NEXT) | instid1(VALU_DEP_1)
	v_cmp_class_f16_e64 s31, v1, 0x204
	s_and_saveexec_b32 s29, s31
	s_cbranch_execz .LBB34_111
; %bb.24:                               ;   in Loop: Header=BB34_4 Depth=1
	v_add_nc_u32_e32 v3, s9, v3
	s_mov_b32 s31, 0
	s_delay_alu instid0(VALU_DEP_1) | instskip(NEXT) | instid1(VALU_DEP_1)
	v_ashrrev_i32_e32 v4, 31, v3
	v_lshlrev_b64 v[7:8], 2, v[3:4]
	s_delay_alu instid0(VALU_DEP_1) | instskip(NEXT) | instid1(VALU_DEP_2)
	v_add_co_u32 v7, vcc_lo, s3, v7
	v_add_co_ci_u32_e32 v8, vcc_lo, s4, v8, vcc_lo
	global_load_b32 v1, v[7:8], off
	s_waitcnt vmcnt(0)
	v_cmp_class_f16_e64 s33, v1, 0x204
	s_delay_alu instid0(VALU_DEP_1)
	s_and_saveexec_b32 s30, s33
	s_cbranch_execz .LBB34_110
; %bb.25:                               ;   in Loop: Header=BB34_4 Depth=1
	v_lshrrev_b32_e32 v1, 16, v1
	s_mov_b32 s33, 0
	s_delay_alu instid0(VALU_DEP_1) | instskip(NEXT) | instid1(VALU_DEP_1)
	v_cmp_class_f16_e64 s34, v1, 0x204
	s_and_saveexec_b32 s31, s34
	s_cbranch_execz .LBB34_109
; %bb.26:                               ;   in Loop: Header=BB34_4 Depth=1
	v_add_nc_u32_e32 v3, s9, v3
	s_mov_b32 s34, 0
	s_delay_alu instid0(VALU_DEP_1) | instskip(NEXT) | instid1(VALU_DEP_1)
	v_ashrrev_i32_e32 v4, 31, v3
	v_lshlrev_b64 v[7:8], 2, v[3:4]
	s_delay_alu instid0(VALU_DEP_1) | instskip(NEXT) | instid1(VALU_DEP_2)
	v_add_co_u32 v7, vcc_lo, s3, v7
	v_add_co_ci_u32_e32 v8, vcc_lo, s4, v8, vcc_lo
	global_load_b32 v1, v[7:8], off
	s_waitcnt vmcnt(0)
	v_cmp_class_f16_e64 s35, v1, 0x204
	s_delay_alu instid0(VALU_DEP_1)
	s_and_saveexec_b32 s33, s35
	s_cbranch_execz .LBB34_108
; %bb.27:                               ;   in Loop: Header=BB34_4 Depth=1
	v_lshrrev_b32_e32 v1, 16, v1
	s_mov_b32 s35, 0
	s_delay_alu instid0(VALU_DEP_1) | instskip(NEXT) | instid1(VALU_DEP_1)
	v_cmp_class_f16_e64 s36, v1, 0x204
	s_and_saveexec_b32 s34, s36
	s_cbranch_execz .LBB34_107
; %bb.28:                               ;   in Loop: Header=BB34_4 Depth=1
	v_add_nc_u32_e32 v3, s9, v3
	s_mov_b32 s36, 0
	s_delay_alu instid0(VALU_DEP_1) | instskip(NEXT) | instid1(VALU_DEP_1)
	v_ashrrev_i32_e32 v4, 31, v3
	v_lshlrev_b64 v[7:8], 2, v[3:4]
	s_delay_alu instid0(VALU_DEP_1) | instskip(NEXT) | instid1(VALU_DEP_2)
	v_add_co_u32 v7, vcc_lo, s3, v7
	v_add_co_ci_u32_e32 v8, vcc_lo, s4, v8, vcc_lo
	global_load_b32 v1, v[7:8], off
	s_waitcnt vmcnt(0)
	v_cmp_class_f16_e64 s37, v1, 0x204
	s_delay_alu instid0(VALU_DEP_1)
	s_and_saveexec_b32 s35, s37
	s_cbranch_execz .LBB34_106
; %bb.29:                               ;   in Loop: Header=BB34_4 Depth=1
	v_lshrrev_b32_e32 v1, 16, v1
	s_mov_b32 s37, 0
	s_delay_alu instid0(VALU_DEP_1) | instskip(NEXT) | instid1(VALU_DEP_1)
	v_cmp_class_f16_e64 s38, v1, 0x204
	s_and_saveexec_b32 s36, s38
	s_cbranch_execz .LBB34_105
; %bb.30:                               ;   in Loop: Header=BB34_4 Depth=1
	v_add_nc_u32_e32 v3, s9, v3
	s_mov_b32 s38, 0
	s_delay_alu instid0(VALU_DEP_1) | instskip(NEXT) | instid1(VALU_DEP_1)
	v_ashrrev_i32_e32 v4, 31, v3
	v_lshlrev_b64 v[7:8], 2, v[3:4]
	s_delay_alu instid0(VALU_DEP_1) | instskip(NEXT) | instid1(VALU_DEP_2)
	v_add_co_u32 v7, vcc_lo, s3, v7
	v_add_co_ci_u32_e32 v8, vcc_lo, s4, v8, vcc_lo
	global_load_b32 v1, v[7:8], off
	s_waitcnt vmcnt(0)
	v_cmp_class_f16_e64 s39, v1, 0x204
	s_delay_alu instid0(VALU_DEP_1)
	s_and_saveexec_b32 s37, s39
	s_cbranch_execz .LBB34_104
; %bb.31:                               ;   in Loop: Header=BB34_4 Depth=1
	v_lshrrev_b32_e32 v1, 16, v1
	s_mov_b32 s39, 0
	s_delay_alu instid0(VALU_DEP_1) | instskip(NEXT) | instid1(VALU_DEP_1)
	v_cmp_class_f16_e64 s40, v1, 0x204
	s_and_saveexec_b32 s38, s40
	s_cbranch_execz .LBB34_103
; %bb.32:                               ;   in Loop: Header=BB34_4 Depth=1
	v_add_nc_u32_e32 v3, s9, v3
	s_mov_b32 s40, 0
	s_delay_alu instid0(VALU_DEP_1) | instskip(NEXT) | instid1(VALU_DEP_1)
	v_ashrrev_i32_e32 v4, 31, v3
	v_lshlrev_b64 v[7:8], 2, v[3:4]
	s_delay_alu instid0(VALU_DEP_1) | instskip(NEXT) | instid1(VALU_DEP_2)
	v_add_co_u32 v7, vcc_lo, s3, v7
	v_add_co_ci_u32_e32 v8, vcc_lo, s4, v8, vcc_lo
	global_load_b32 v1, v[7:8], off
	s_waitcnt vmcnt(0)
	v_cmp_class_f16_e64 s41, v1, 0x204
	s_delay_alu instid0(VALU_DEP_1)
	s_and_saveexec_b32 s39, s41
	s_cbranch_execz .LBB34_102
; %bb.33:                               ;   in Loop: Header=BB34_4 Depth=1
	v_lshrrev_b32_e32 v1, 16, v1
	s_mov_b32 s41, 0
	s_delay_alu instid0(VALU_DEP_1) | instskip(NEXT) | instid1(VALU_DEP_1)
	v_cmp_class_f16_e64 s42, v1, 0x204
	s_and_saveexec_b32 s40, s42
	s_cbranch_execz .LBB34_101
; %bb.34:                               ;   in Loop: Header=BB34_4 Depth=1
	v_add_nc_u32_e32 v3, s9, v3
	s_mov_b32 s42, 0
	s_delay_alu instid0(VALU_DEP_1) | instskip(NEXT) | instid1(VALU_DEP_1)
	v_ashrrev_i32_e32 v4, 31, v3
	v_lshlrev_b64 v[7:8], 2, v[3:4]
	s_delay_alu instid0(VALU_DEP_1) | instskip(NEXT) | instid1(VALU_DEP_2)
	v_add_co_u32 v7, vcc_lo, s3, v7
	v_add_co_ci_u32_e32 v8, vcc_lo, s4, v8, vcc_lo
	global_load_b32 v1, v[7:8], off
	s_waitcnt vmcnt(0)
	v_cmp_class_f16_e64 s43, v1, 0x204
	s_delay_alu instid0(VALU_DEP_1)
	s_and_saveexec_b32 s41, s43
	s_cbranch_execz .LBB34_100
; %bb.35:                               ;   in Loop: Header=BB34_4 Depth=1
	v_lshrrev_b32_e32 v1, 16, v1
	s_mov_b32 s43, 0
	s_delay_alu instid0(VALU_DEP_1) | instskip(NEXT) | instid1(VALU_DEP_1)
	v_cmp_class_f16_e64 s44, v1, 0x204
	s_and_saveexec_b32 s42, s44
	s_cbranch_execz .LBB34_99
; %bb.36:                               ;   in Loop: Header=BB34_4 Depth=1
	v_add_nc_u32_e32 v3, s9, v3
	s_mov_b32 s44, 0
	s_delay_alu instid0(VALU_DEP_1) | instskip(NEXT) | instid1(VALU_DEP_1)
	v_ashrrev_i32_e32 v4, 31, v3
	v_lshlrev_b64 v[7:8], 2, v[3:4]
	s_delay_alu instid0(VALU_DEP_1) | instskip(NEXT) | instid1(VALU_DEP_2)
	v_add_co_u32 v7, vcc_lo, s3, v7
	v_add_co_ci_u32_e32 v8, vcc_lo, s4, v8, vcc_lo
	global_load_b32 v1, v[7:8], off
	s_waitcnt vmcnt(0)
	v_cmp_class_f16_e64 s45, v1, 0x204
	s_delay_alu instid0(VALU_DEP_1)
	s_and_saveexec_b32 s43, s45
	s_cbranch_execz .LBB34_98
; %bb.37:                               ;   in Loop: Header=BB34_4 Depth=1
	v_lshrrev_b32_e32 v1, 16, v1
	s_mov_b32 s45, 0
	s_delay_alu instid0(VALU_DEP_1) | instskip(NEXT) | instid1(VALU_DEP_1)
	v_cmp_class_f16_e64 s46, v1, 0x204
	s_and_saveexec_b32 s44, s46
	s_cbranch_execz .LBB34_97
; %bb.38:                               ;   in Loop: Header=BB34_4 Depth=1
	v_add_nc_u32_e32 v3, s9, v3
	s_mov_b32 s46, 0
	s_delay_alu instid0(VALU_DEP_1) | instskip(NEXT) | instid1(VALU_DEP_1)
	v_ashrrev_i32_e32 v4, 31, v3
	v_lshlrev_b64 v[7:8], 2, v[3:4]
	s_delay_alu instid0(VALU_DEP_1) | instskip(NEXT) | instid1(VALU_DEP_2)
	v_add_co_u32 v7, vcc_lo, s3, v7
	v_add_co_ci_u32_e32 v8, vcc_lo, s4, v8, vcc_lo
	global_load_b32 v1, v[7:8], off
	s_waitcnt vmcnt(0)
	v_cmp_class_f16_e64 s47, v1, 0x204
	s_delay_alu instid0(VALU_DEP_1)
	s_and_saveexec_b32 s45, s47
	s_cbranch_execz .LBB34_96
; %bb.39:                               ;   in Loop: Header=BB34_4 Depth=1
	v_lshrrev_b32_e32 v1, 16, v1
	s_mov_b32 s47, 0
	s_delay_alu instid0(VALU_DEP_1) | instskip(NEXT) | instid1(VALU_DEP_1)
	v_cmp_class_f16_e64 s48, v1, 0x204
	s_and_saveexec_b32 s46, s48
	s_cbranch_execz .LBB34_95
; %bb.40:                               ;   in Loop: Header=BB34_4 Depth=1
	v_add_nc_u32_e32 v3, s9, v3
	s_mov_b32 s48, 0
	s_delay_alu instid0(VALU_DEP_1) | instskip(NEXT) | instid1(VALU_DEP_1)
	v_ashrrev_i32_e32 v4, 31, v3
	v_lshlrev_b64 v[7:8], 2, v[3:4]
	s_delay_alu instid0(VALU_DEP_1) | instskip(NEXT) | instid1(VALU_DEP_2)
	v_add_co_u32 v7, vcc_lo, s3, v7
	v_add_co_ci_u32_e32 v8, vcc_lo, s4, v8, vcc_lo
	global_load_b32 v1, v[7:8], off
	s_waitcnt vmcnt(0)
	v_cmp_class_f16_e64 s49, v1, 0x204
	s_delay_alu instid0(VALU_DEP_1)
	s_and_saveexec_b32 s47, s49
	s_cbranch_execz .LBB34_94
; %bb.41:                               ;   in Loop: Header=BB34_4 Depth=1
	v_lshrrev_b32_e32 v1, 16, v1
	s_mov_b32 s49, 0
	s_delay_alu instid0(VALU_DEP_1) | instskip(NEXT) | instid1(VALU_DEP_1)
	v_cmp_class_f16_e64 s50, v1, 0x204
	s_and_saveexec_b32 s48, s50
	s_cbranch_execz .LBB34_93
; %bb.42:                               ;   in Loop: Header=BB34_4 Depth=1
	v_add_nc_u32_e32 v3, s9, v3
	s_mov_b32 s50, 0
	s_delay_alu instid0(VALU_DEP_1) | instskip(NEXT) | instid1(VALU_DEP_1)
	v_ashrrev_i32_e32 v4, 31, v3
	v_lshlrev_b64 v[7:8], 2, v[3:4]
	s_delay_alu instid0(VALU_DEP_1) | instskip(NEXT) | instid1(VALU_DEP_2)
	v_add_co_u32 v7, vcc_lo, s3, v7
	v_add_co_ci_u32_e32 v8, vcc_lo, s4, v8, vcc_lo
	global_load_b32 v1, v[7:8], off
	s_waitcnt vmcnt(0)
	v_cmp_class_f16_e64 s51, v1, 0x204
	s_delay_alu instid0(VALU_DEP_1)
	s_and_saveexec_b32 s49, s51
	s_cbranch_execz .LBB34_92
; %bb.43:                               ;   in Loop: Header=BB34_4 Depth=1
	v_lshrrev_b32_e32 v1, 16, v1
	s_mov_b32 s51, 0
	s_delay_alu instid0(VALU_DEP_1) | instskip(NEXT) | instid1(VALU_DEP_1)
	v_cmp_class_f16_e64 s52, v1, 0x204
	s_and_saveexec_b32 s50, s52
	s_cbranch_execz .LBB34_91
; %bb.44:                               ;   in Loop: Header=BB34_4 Depth=1
	v_add_nc_u32_e32 v3, s9, v3
	s_mov_b32 s52, 0
	s_delay_alu instid0(VALU_DEP_1) | instskip(NEXT) | instid1(VALU_DEP_1)
	v_ashrrev_i32_e32 v4, 31, v3
	v_lshlrev_b64 v[7:8], 2, v[3:4]
	s_delay_alu instid0(VALU_DEP_1) | instskip(NEXT) | instid1(VALU_DEP_2)
	v_add_co_u32 v7, vcc_lo, s3, v7
	v_add_co_ci_u32_e32 v8, vcc_lo, s4, v8, vcc_lo
	global_load_b32 v1, v[7:8], off
	s_waitcnt vmcnt(0)
	v_cmp_class_f16_e64 s53, v1, 0x204
	s_delay_alu instid0(VALU_DEP_1)
	s_and_saveexec_b32 s51, s53
	s_cbranch_execz .LBB34_90
; %bb.45:                               ;   in Loop: Header=BB34_4 Depth=1
	v_lshrrev_b32_e32 v1, 16, v1
	s_mov_b32 s53, 0
	s_delay_alu instid0(VALU_DEP_1) | instskip(NEXT) | instid1(VALU_DEP_1)
	v_cmp_class_f16_e64 s54, v1, 0x204
	s_and_saveexec_b32 s52, s54
	s_cbranch_execz .LBB34_89
; %bb.46:                               ;   in Loop: Header=BB34_4 Depth=1
	v_add_nc_u32_e32 v3, s9, v3
	s_mov_b32 s54, 0
	s_delay_alu instid0(VALU_DEP_1) | instskip(NEXT) | instid1(VALU_DEP_1)
	v_ashrrev_i32_e32 v4, 31, v3
	v_lshlrev_b64 v[7:8], 2, v[3:4]
	s_delay_alu instid0(VALU_DEP_1) | instskip(NEXT) | instid1(VALU_DEP_2)
	v_add_co_u32 v7, vcc_lo, s3, v7
	v_add_co_ci_u32_e32 v8, vcc_lo, s4, v8, vcc_lo
	global_load_b32 v1, v[7:8], off
	s_waitcnt vmcnt(0)
	v_cmp_class_f16_e64 s55, v1, 0x204
	s_delay_alu instid0(VALU_DEP_1)
	s_and_saveexec_b32 s53, s55
	s_cbranch_execz .LBB34_88
; %bb.47:                               ;   in Loop: Header=BB34_4 Depth=1
	v_lshrrev_b32_e32 v1, 16, v1
	s_mov_b32 s55, 0
	s_delay_alu instid0(VALU_DEP_1) | instskip(NEXT) | instid1(VALU_DEP_1)
	v_cmp_class_f16_e64 s56, v1, 0x204
	s_and_saveexec_b32 s54, s56
	s_cbranch_execz .LBB34_87
; %bb.48:                               ;   in Loop: Header=BB34_4 Depth=1
	v_add_nc_u32_e32 v3, s9, v3
	s_mov_b32 s56, 0
	s_delay_alu instid0(VALU_DEP_1) | instskip(NEXT) | instid1(VALU_DEP_1)
	v_ashrrev_i32_e32 v4, 31, v3
	v_lshlrev_b64 v[7:8], 2, v[3:4]
	s_delay_alu instid0(VALU_DEP_1) | instskip(NEXT) | instid1(VALU_DEP_2)
	v_add_co_u32 v7, vcc_lo, s3, v7
	v_add_co_ci_u32_e32 v8, vcc_lo, s4, v8, vcc_lo
	global_load_b32 v1, v[7:8], off
	s_waitcnt vmcnt(0)
	v_cmp_class_f16_e64 s57, v1, 0x204
	s_delay_alu instid0(VALU_DEP_1)
	s_and_saveexec_b32 s55, s57
	s_cbranch_execz .LBB34_86
; %bb.49:                               ;   in Loop: Header=BB34_4 Depth=1
	v_lshrrev_b32_e32 v1, 16, v1
	s_mov_b32 s57, 0
	s_delay_alu instid0(VALU_DEP_1) | instskip(NEXT) | instid1(VALU_DEP_1)
	v_cmp_class_f16_e64 s58, v1, 0x204
	s_and_saveexec_b32 s56, s58
	s_cbranch_execz .LBB34_85
; %bb.50:                               ;   in Loop: Header=BB34_4 Depth=1
	v_add_nc_u32_e32 v3, s9, v3
	s_mov_b32 s58, 0
	s_delay_alu instid0(VALU_DEP_1) | instskip(NEXT) | instid1(VALU_DEP_1)
	v_ashrrev_i32_e32 v4, 31, v3
	v_lshlrev_b64 v[7:8], 2, v[3:4]
	s_delay_alu instid0(VALU_DEP_1) | instskip(NEXT) | instid1(VALU_DEP_2)
	v_add_co_u32 v7, vcc_lo, s3, v7
	v_add_co_ci_u32_e32 v8, vcc_lo, s4, v8, vcc_lo
	global_load_b32 v1, v[7:8], off
	s_waitcnt vmcnt(0)
	v_cmp_class_f16_e64 s59, v1, 0x204
	s_delay_alu instid0(VALU_DEP_1)
	s_and_saveexec_b32 s57, s59
	s_cbranch_execz .LBB34_84
; %bb.51:                               ;   in Loop: Header=BB34_4 Depth=1
	v_lshrrev_b32_e32 v1, 16, v1
	s_mov_b32 s59, 0
	s_delay_alu instid0(VALU_DEP_1) | instskip(NEXT) | instid1(VALU_DEP_1)
	v_cmp_class_f16_e64 s60, v1, 0x204
	s_and_saveexec_b32 s58, s60
	s_cbranch_execz .LBB34_83
; %bb.52:                               ;   in Loop: Header=BB34_4 Depth=1
	v_add_nc_u32_e32 v3, s9, v3
	s_mov_b32 s60, 0
	s_delay_alu instid0(VALU_DEP_1) | instskip(NEXT) | instid1(VALU_DEP_1)
	v_ashrrev_i32_e32 v4, 31, v3
	v_lshlrev_b64 v[7:8], 2, v[3:4]
	s_delay_alu instid0(VALU_DEP_1) | instskip(NEXT) | instid1(VALU_DEP_2)
	v_add_co_u32 v7, vcc_lo, s3, v7
	v_add_co_ci_u32_e32 v8, vcc_lo, s4, v8, vcc_lo
	global_load_b32 v1, v[7:8], off
	s_waitcnt vmcnt(0)
	v_cmp_class_f16_e64 s61, v1, 0x204
	s_delay_alu instid0(VALU_DEP_1)
	s_and_saveexec_b32 s59, s61
	s_cbranch_execz .LBB34_82
; %bb.53:                               ;   in Loop: Header=BB34_4 Depth=1
	v_lshrrev_b32_e32 v1, 16, v1
	s_mov_b32 s61, 0
	s_delay_alu instid0(VALU_DEP_1) | instskip(NEXT) | instid1(VALU_DEP_1)
	v_cmp_class_f16_e64 s62, v1, 0x204
	s_and_saveexec_b32 s60, s62
	s_cbranch_execz .LBB34_81
; %bb.54:                               ;   in Loop: Header=BB34_4 Depth=1
	v_add_nc_u32_e32 v3, s9, v3
	s_mov_b32 s62, 0
	s_delay_alu instid0(VALU_DEP_1) | instskip(NEXT) | instid1(VALU_DEP_1)
	v_ashrrev_i32_e32 v4, 31, v3
	v_lshlrev_b64 v[7:8], 2, v[3:4]
	s_delay_alu instid0(VALU_DEP_1) | instskip(NEXT) | instid1(VALU_DEP_2)
	v_add_co_u32 v7, vcc_lo, s3, v7
	v_add_co_ci_u32_e32 v8, vcc_lo, s4, v8, vcc_lo
	global_load_b32 v1, v[7:8], off
	s_waitcnt vmcnt(0)
	v_cmp_class_f16_e64 s63, v1, 0x204
	s_delay_alu instid0(VALU_DEP_1)
	s_and_saveexec_b32 s61, s63
	s_cbranch_execz .LBB34_80
; %bb.55:                               ;   in Loop: Header=BB34_4 Depth=1
	v_lshrrev_b32_e32 v1, 16, v1
	s_mov_b32 s63, 0
	s_delay_alu instid0(VALU_DEP_1) | instskip(NEXT) | instid1(VALU_DEP_1)
	v_cmp_class_f16_e64 s64, v1, 0x204
	s_and_saveexec_b32 s62, s64
	s_cbranch_execz .LBB34_79
; %bb.56:                               ;   in Loop: Header=BB34_4 Depth=1
	v_add_nc_u32_e32 v3, s9, v3
	s_mov_b32 s64, 0
	s_delay_alu instid0(VALU_DEP_1) | instskip(NEXT) | instid1(VALU_DEP_1)
	v_ashrrev_i32_e32 v4, 31, v3
	v_lshlrev_b64 v[7:8], 2, v[3:4]
	s_delay_alu instid0(VALU_DEP_1) | instskip(NEXT) | instid1(VALU_DEP_2)
	v_add_co_u32 v7, vcc_lo, s3, v7
	v_add_co_ci_u32_e32 v8, vcc_lo, s4, v8, vcc_lo
	global_load_b32 v1, v[7:8], off
	s_waitcnt vmcnt(0)
	v_cmp_class_f16_e64 s65, v1, 0x204
	s_delay_alu instid0(VALU_DEP_1)
	s_and_saveexec_b32 s63, s65
	s_cbranch_execz .LBB34_78
; %bb.57:                               ;   in Loop: Header=BB34_4 Depth=1
	v_lshrrev_b32_e32 v1, 16, v1
	s_mov_b32 s65, 0
	s_delay_alu instid0(VALU_DEP_1) | instskip(NEXT) | instid1(VALU_DEP_1)
	v_cmp_class_f16_e64 s66, v1, 0x204
	s_and_saveexec_b32 s64, s66
	s_cbranch_execz .LBB34_77
; %bb.58:                               ;   in Loop: Header=BB34_4 Depth=1
	v_add_nc_u32_e32 v3, s9, v3
	s_mov_b32 s66, 0
	s_delay_alu instid0(VALU_DEP_1) | instskip(NEXT) | instid1(VALU_DEP_1)
	v_ashrrev_i32_e32 v4, 31, v3
	v_lshlrev_b64 v[7:8], 2, v[3:4]
	s_delay_alu instid0(VALU_DEP_1) | instskip(NEXT) | instid1(VALU_DEP_2)
	v_add_co_u32 v7, vcc_lo, s3, v7
	v_add_co_ci_u32_e32 v8, vcc_lo, s4, v8, vcc_lo
	global_load_b32 v1, v[7:8], off
	s_waitcnt vmcnt(0)
	v_cmp_class_f16_e64 s67, v1, 0x204
	s_delay_alu instid0(VALU_DEP_1)
	s_and_saveexec_b32 s65, s67
	s_cbranch_execz .LBB34_76
; %bb.59:                               ;   in Loop: Header=BB34_4 Depth=1
	v_lshrrev_b32_e32 v1, 16, v1
	s_mov_b32 s67, 0
	s_delay_alu instid0(VALU_DEP_1) | instskip(NEXT) | instid1(VALU_DEP_1)
	v_cmp_class_f16_e64 s68, v1, 0x204
	s_and_saveexec_b32 s66, s68
	s_cbranch_execz .LBB34_75
; %bb.60:                               ;   in Loop: Header=BB34_4 Depth=1
	v_add_nc_u32_e32 v3, s9, v3
	s_mov_b32 s68, 0
	s_delay_alu instid0(VALU_DEP_1) | instskip(NEXT) | instid1(VALU_DEP_1)
	v_ashrrev_i32_e32 v4, 31, v3
	v_lshlrev_b64 v[7:8], 2, v[3:4]
	s_delay_alu instid0(VALU_DEP_1) | instskip(NEXT) | instid1(VALU_DEP_2)
	v_add_co_u32 v7, vcc_lo, s3, v7
	v_add_co_ci_u32_e32 v8, vcc_lo, s4, v8, vcc_lo
	global_load_b32 v1, v[7:8], off
	s_waitcnt vmcnt(0)
	v_cmp_class_f16_e64 s69, v1, 0x204
	s_delay_alu instid0(VALU_DEP_1)
	s_and_saveexec_b32 s67, s69
	s_cbranch_execz .LBB34_74
; %bb.61:                               ;   in Loop: Header=BB34_4 Depth=1
	v_lshrrev_b32_e32 v1, 16, v1
	s_mov_b32 s69, 0
	s_delay_alu instid0(VALU_DEP_1) | instskip(NEXT) | instid1(VALU_DEP_1)
	v_cmp_class_f16_e64 s70, v1, 0x204
	s_and_saveexec_b32 s68, s70
	s_cbranch_execz .LBB34_73
; %bb.62:                               ;   in Loop: Header=BB34_4 Depth=1
	v_add_nc_u32_e32 v3, s9, v3
	s_mov_b32 s70, 0
	s_delay_alu instid0(VALU_DEP_1) | instskip(NEXT) | instid1(VALU_DEP_1)
	v_ashrrev_i32_e32 v4, 31, v3
	v_lshlrev_b64 v[7:8], 2, v[3:4]
	s_delay_alu instid0(VALU_DEP_1) | instskip(NEXT) | instid1(VALU_DEP_2)
	v_add_co_u32 v7, vcc_lo, s3, v7
	v_add_co_ci_u32_e32 v8, vcc_lo, s4, v8, vcc_lo
	global_load_b32 v1, v[7:8], off
	s_waitcnt vmcnt(0)
	v_cmp_class_f16_e64 s71, v1, 0x204
	s_delay_alu instid0(VALU_DEP_1)
	s_and_saveexec_b32 s69, s71
	s_cbranch_execz .LBB34_72
; %bb.63:                               ;   in Loop: Header=BB34_4 Depth=1
	v_lshrrev_b32_e32 v1, 16, v1
	s_mov_b32 s71, 0
	s_delay_alu instid0(VALU_DEP_1) | instskip(NEXT) | instid1(VALU_DEP_1)
	v_cmp_class_f16_e64 s72, v1, 0x204
	s_and_saveexec_b32 s70, s72
	s_cbranch_execz .LBB34_71
; %bb.64:                               ;   in Loop: Header=BB34_4 Depth=1
	v_add_nc_u32_e32 v3, s9, v3
	s_mov_b32 s72, 0
	s_delay_alu instid0(VALU_DEP_1) | instskip(NEXT) | instid1(VALU_DEP_1)
	v_ashrrev_i32_e32 v4, 31, v3
	v_lshlrev_b64 v[7:8], 2, v[3:4]
	s_delay_alu instid0(VALU_DEP_1) | instskip(NEXT) | instid1(VALU_DEP_2)
	v_add_co_u32 v7, vcc_lo, s3, v7
	v_add_co_ci_u32_e32 v8, vcc_lo, s4, v8, vcc_lo
	global_load_b32 v1, v[7:8], off
	s_waitcnt vmcnt(0)
	v_cmp_class_f16_e64 s73, v1, 0x204
	s_delay_alu instid0(VALU_DEP_1)
	s_and_saveexec_b32 s71, s73
	s_cbranch_execz .LBB34_70
; %bb.65:                               ;   in Loop: Header=BB34_4 Depth=1
	v_lshrrev_b32_e32 v1, 16, v1
	s_mov_b32 s73, 0
	s_delay_alu instid0(VALU_DEP_1) | instskip(NEXT) | instid1(VALU_DEP_1)
	v_cmp_class_f16_e64 s74, v1, 0x204
	s_and_saveexec_b32 s72, s74
	s_cbranch_execz .LBB34_69
; %bb.66:                               ;   in Loop: Header=BB34_4 Depth=1
	v_add_nc_u32_e32 v3, s9, v3
	s_delay_alu instid0(VALU_DEP_1) | instskip(NEXT) | instid1(VALU_DEP_1)
	v_ashrrev_i32_e32 v4, 31, v3
	v_lshlrev_b64 v[3:4], 2, v[3:4]
	s_delay_alu instid0(VALU_DEP_1) | instskip(NEXT) | instid1(VALU_DEP_2)
	v_add_co_u32 v3, vcc_lo, s3, v3
	v_add_co_ci_u32_e32 v4, vcc_lo, s4, v4, vcc_lo
	global_load_b32 v1, v[3:4], off
	s_waitcnt vmcnt(0)
	v_cmp_class_f16_e64 s75, v1, 0x204
	s_delay_alu instid0(VALU_DEP_1)
	s_and_saveexec_b32 s74, s75
; %bb.67:                               ;   in Loop: Header=BB34_4 Depth=1
	v_lshrrev_b32_e32 v1, 16, v1
	s_delay_alu instid0(VALU_DEP_1) | instskip(NEXT) | instid1(VALU_DEP_1)
	v_cmp_class_f16_e64 s73, v1, 0x204
	s_and_b32 s73, s73, exec_lo
; %bb.68:                               ;   in Loop: Header=BB34_4 Depth=1
	s_or_b32 exec_lo, exec_lo, s74
	s_delay_alu instid0(SALU_CYCLE_1)
	s_and_b32 s73, s73, exec_lo
.LBB34_69:                              ;   in Loop: Header=BB34_4 Depth=1
	s_or_b32 exec_lo, exec_lo, s72
	s_delay_alu instid0(SALU_CYCLE_1)
	s_and_b32 s72, s73, exec_lo
.LBB34_70:                              ;   in Loop: Header=BB34_4 Depth=1
	s_or_b32 exec_lo, exec_lo, s71
	s_delay_alu instid0(SALU_CYCLE_1)
	s_and_b32 s71, s72, exec_lo
.LBB34_71:                              ;   in Loop: Header=BB34_4 Depth=1
	s_or_b32 exec_lo, exec_lo, s70
	s_delay_alu instid0(SALU_CYCLE_1)
	s_and_b32 s70, s71, exec_lo
.LBB34_72:                              ;   in Loop: Header=BB34_4 Depth=1
	s_or_b32 exec_lo, exec_lo, s69
	s_delay_alu instid0(SALU_CYCLE_1)
	s_and_b32 s69, s70, exec_lo
.LBB34_73:                              ;   in Loop: Header=BB34_4 Depth=1
	s_or_b32 exec_lo, exec_lo, s68
	s_delay_alu instid0(SALU_CYCLE_1)
	s_and_b32 s68, s69, exec_lo
.LBB34_74:                              ;   in Loop: Header=BB34_4 Depth=1
	s_or_b32 exec_lo, exec_lo, s67
	s_delay_alu instid0(SALU_CYCLE_1)
	s_and_b32 s67, s68, exec_lo
.LBB34_75:                              ;   in Loop: Header=BB34_4 Depth=1
	s_or_b32 exec_lo, exec_lo, s66
	s_delay_alu instid0(SALU_CYCLE_1)
	s_and_b32 s66, s67, exec_lo
.LBB34_76:                              ;   in Loop: Header=BB34_4 Depth=1
	s_or_b32 exec_lo, exec_lo, s65
	s_delay_alu instid0(SALU_CYCLE_1)
	s_and_b32 s65, s66, exec_lo
.LBB34_77:                              ;   in Loop: Header=BB34_4 Depth=1
	s_or_b32 exec_lo, exec_lo, s64
	s_delay_alu instid0(SALU_CYCLE_1)
	s_and_b32 s64, s65, exec_lo
.LBB34_78:                              ;   in Loop: Header=BB34_4 Depth=1
	s_or_b32 exec_lo, exec_lo, s63
	s_delay_alu instid0(SALU_CYCLE_1)
	s_and_b32 s63, s64, exec_lo
.LBB34_79:                              ;   in Loop: Header=BB34_4 Depth=1
	s_or_b32 exec_lo, exec_lo, s62
	s_delay_alu instid0(SALU_CYCLE_1)
	s_and_b32 s62, s63, exec_lo
.LBB34_80:                              ;   in Loop: Header=BB34_4 Depth=1
	s_or_b32 exec_lo, exec_lo, s61
	s_delay_alu instid0(SALU_CYCLE_1)
	s_and_b32 s61, s62, exec_lo
.LBB34_81:                              ;   in Loop: Header=BB34_4 Depth=1
	s_or_b32 exec_lo, exec_lo, s60
	s_delay_alu instid0(SALU_CYCLE_1)
	s_and_b32 s60, s61, exec_lo
.LBB34_82:                              ;   in Loop: Header=BB34_4 Depth=1
	s_or_b32 exec_lo, exec_lo, s59
	s_delay_alu instid0(SALU_CYCLE_1)
	s_and_b32 s59, s60, exec_lo
.LBB34_83:                              ;   in Loop: Header=BB34_4 Depth=1
	s_or_b32 exec_lo, exec_lo, s58
	s_delay_alu instid0(SALU_CYCLE_1)
	s_and_b32 s58, s59, exec_lo
.LBB34_84:                              ;   in Loop: Header=BB34_4 Depth=1
	s_or_b32 exec_lo, exec_lo, s57
	s_delay_alu instid0(SALU_CYCLE_1)
	s_and_b32 s57, s58, exec_lo
.LBB34_85:                              ;   in Loop: Header=BB34_4 Depth=1
	s_or_b32 exec_lo, exec_lo, s56
	s_delay_alu instid0(SALU_CYCLE_1)
	s_and_b32 s56, s57, exec_lo
.LBB34_86:                              ;   in Loop: Header=BB34_4 Depth=1
	s_or_b32 exec_lo, exec_lo, s55
	s_delay_alu instid0(SALU_CYCLE_1)
	s_and_b32 s55, s56, exec_lo
.LBB34_87:                              ;   in Loop: Header=BB34_4 Depth=1
	s_or_b32 exec_lo, exec_lo, s54
	s_delay_alu instid0(SALU_CYCLE_1)
	s_and_b32 s54, s55, exec_lo
.LBB34_88:                              ;   in Loop: Header=BB34_4 Depth=1
	s_or_b32 exec_lo, exec_lo, s53
	s_delay_alu instid0(SALU_CYCLE_1)
	s_and_b32 s53, s54, exec_lo
.LBB34_89:                              ;   in Loop: Header=BB34_4 Depth=1
	s_or_b32 exec_lo, exec_lo, s52
	s_delay_alu instid0(SALU_CYCLE_1)
	s_and_b32 s52, s53, exec_lo
.LBB34_90:                              ;   in Loop: Header=BB34_4 Depth=1
	s_or_b32 exec_lo, exec_lo, s51
	s_delay_alu instid0(SALU_CYCLE_1)
	s_and_b32 s51, s52, exec_lo
.LBB34_91:                              ;   in Loop: Header=BB34_4 Depth=1
	s_or_b32 exec_lo, exec_lo, s50
	s_delay_alu instid0(SALU_CYCLE_1)
	s_and_b32 s50, s51, exec_lo
.LBB34_92:                              ;   in Loop: Header=BB34_4 Depth=1
	s_or_b32 exec_lo, exec_lo, s49
	s_delay_alu instid0(SALU_CYCLE_1)
	s_and_b32 s49, s50, exec_lo
.LBB34_93:                              ;   in Loop: Header=BB34_4 Depth=1
	s_or_b32 exec_lo, exec_lo, s48
	s_delay_alu instid0(SALU_CYCLE_1)
	s_and_b32 s48, s49, exec_lo
.LBB34_94:                              ;   in Loop: Header=BB34_4 Depth=1
	s_or_b32 exec_lo, exec_lo, s47
	s_delay_alu instid0(SALU_CYCLE_1)
	s_and_b32 s47, s48, exec_lo
.LBB34_95:                              ;   in Loop: Header=BB34_4 Depth=1
	s_or_b32 exec_lo, exec_lo, s46
	s_delay_alu instid0(SALU_CYCLE_1)
	s_and_b32 s46, s47, exec_lo
.LBB34_96:                              ;   in Loop: Header=BB34_4 Depth=1
	s_or_b32 exec_lo, exec_lo, s45
	s_delay_alu instid0(SALU_CYCLE_1)
	s_and_b32 s45, s46, exec_lo
.LBB34_97:                              ;   in Loop: Header=BB34_4 Depth=1
	s_or_b32 exec_lo, exec_lo, s44
	s_delay_alu instid0(SALU_CYCLE_1)
	s_and_b32 s44, s45, exec_lo
.LBB34_98:                              ;   in Loop: Header=BB34_4 Depth=1
	s_or_b32 exec_lo, exec_lo, s43
	s_delay_alu instid0(SALU_CYCLE_1)
	s_and_b32 s43, s44, exec_lo
.LBB34_99:                              ;   in Loop: Header=BB34_4 Depth=1
	s_or_b32 exec_lo, exec_lo, s42
	s_delay_alu instid0(SALU_CYCLE_1)
	s_and_b32 s42, s43, exec_lo
.LBB34_100:                             ;   in Loop: Header=BB34_4 Depth=1
	s_or_b32 exec_lo, exec_lo, s41
	s_delay_alu instid0(SALU_CYCLE_1)
	s_and_b32 s41, s42, exec_lo
.LBB34_101:                             ;   in Loop: Header=BB34_4 Depth=1
	s_or_b32 exec_lo, exec_lo, s40
	s_delay_alu instid0(SALU_CYCLE_1)
	s_and_b32 s40, s41, exec_lo
.LBB34_102:                             ;   in Loop: Header=BB34_4 Depth=1
	s_or_b32 exec_lo, exec_lo, s39
	s_delay_alu instid0(SALU_CYCLE_1)
	s_and_b32 s39, s40, exec_lo
.LBB34_103:                             ;   in Loop: Header=BB34_4 Depth=1
	s_or_b32 exec_lo, exec_lo, s38
	s_delay_alu instid0(SALU_CYCLE_1)
	s_and_b32 s38, s39, exec_lo
.LBB34_104:                             ;   in Loop: Header=BB34_4 Depth=1
	s_or_b32 exec_lo, exec_lo, s37
	s_delay_alu instid0(SALU_CYCLE_1)
	s_and_b32 s37, s38, exec_lo
.LBB34_105:                             ;   in Loop: Header=BB34_4 Depth=1
	s_or_b32 exec_lo, exec_lo, s36
	s_delay_alu instid0(SALU_CYCLE_1)
	s_and_b32 s36, s37, exec_lo
.LBB34_106:                             ;   in Loop: Header=BB34_4 Depth=1
	s_or_b32 exec_lo, exec_lo, s35
	s_delay_alu instid0(SALU_CYCLE_1)
	s_and_b32 s35, s36, exec_lo
.LBB34_107:                             ;   in Loop: Header=BB34_4 Depth=1
	s_or_b32 exec_lo, exec_lo, s34
	s_delay_alu instid0(SALU_CYCLE_1)
	s_and_b32 s34, s35, exec_lo
.LBB34_108:                             ;   in Loop: Header=BB34_4 Depth=1
	s_or_b32 exec_lo, exec_lo, s33
	s_delay_alu instid0(SALU_CYCLE_1)
	s_and_b32 s33, s34, exec_lo
.LBB34_109:                             ;   in Loop: Header=BB34_4 Depth=1
	s_or_b32 exec_lo, exec_lo, s31
	s_delay_alu instid0(SALU_CYCLE_1)
	s_and_b32 s31, s33, exec_lo
.LBB34_110:                             ;   in Loop: Header=BB34_4 Depth=1
	s_or_b32 exec_lo, exec_lo, s30
	s_delay_alu instid0(SALU_CYCLE_1)
	s_and_b32 s30, s31, exec_lo
.LBB34_111:                             ;   in Loop: Header=BB34_4 Depth=1
	s_or_b32 exec_lo, exec_lo, s29
	s_delay_alu instid0(SALU_CYCLE_1)
	s_and_b32 s29, s30, exec_lo
.LBB34_112:                             ;   in Loop: Header=BB34_4 Depth=1
	s_or_b32 exec_lo, exec_lo, s28
	s_delay_alu instid0(SALU_CYCLE_1)
	s_and_b32 s28, s29, exec_lo
.LBB34_113:                             ;   in Loop: Header=BB34_4 Depth=1
	s_or_b32 exec_lo, exec_lo, s27
	s_delay_alu instid0(SALU_CYCLE_1)
	s_and_b32 s27, s28, exec_lo
.LBB34_114:                             ;   in Loop: Header=BB34_4 Depth=1
	s_or_b32 exec_lo, exec_lo, s26
	s_delay_alu instid0(SALU_CYCLE_1)
	s_and_b32 s26, s27, exec_lo
.LBB34_115:                             ;   in Loop: Header=BB34_4 Depth=1
	s_or_b32 exec_lo, exec_lo, s25
	s_delay_alu instid0(SALU_CYCLE_1)
	s_and_b32 s25, s26, exec_lo
.LBB34_116:                             ;   in Loop: Header=BB34_4 Depth=1
	s_or_b32 exec_lo, exec_lo, s24
	s_delay_alu instid0(SALU_CYCLE_1)
	s_and_b32 s24, s25, exec_lo
.LBB34_117:                             ;   in Loop: Header=BB34_4 Depth=1
	s_or_b32 exec_lo, exec_lo, s23
	s_delay_alu instid0(SALU_CYCLE_1)
	s_and_b32 s23, s24, exec_lo
.LBB34_118:                             ;   in Loop: Header=BB34_4 Depth=1
	s_or_b32 exec_lo, exec_lo, s22
	s_delay_alu instid0(SALU_CYCLE_1)
	s_and_b32 s22, s23, exec_lo
.LBB34_119:                             ;   in Loop: Header=BB34_4 Depth=1
	s_or_b32 exec_lo, exec_lo, s21
	s_delay_alu instid0(SALU_CYCLE_1)
	s_and_b32 s21, s22, exec_lo
.LBB34_120:                             ;   in Loop: Header=BB34_4 Depth=1
	s_or_b32 exec_lo, exec_lo, s20
	s_delay_alu instid0(SALU_CYCLE_1)
	s_and_b32 s20, s21, exec_lo
.LBB34_121:                             ;   in Loop: Header=BB34_4 Depth=1
	s_or_b32 exec_lo, exec_lo, s19
	s_delay_alu instid0(SALU_CYCLE_1)
	s_and_b32 s19, s20, exec_lo
.LBB34_122:                             ;   in Loop: Header=BB34_4 Depth=1
	s_or_b32 exec_lo, exec_lo, s18
	s_delay_alu instid0(SALU_CYCLE_1)
	s_and_b32 s18, s19, exec_lo
.LBB34_123:                             ;   in Loop: Header=BB34_4 Depth=1
	s_or_b32 exec_lo, exec_lo, s17
	s_delay_alu instid0(SALU_CYCLE_1)
	s_and_b32 s17, s18, exec_lo
.LBB34_124:                             ;   in Loop: Header=BB34_4 Depth=1
	s_or_b32 exec_lo, exec_lo, s16
	s_delay_alu instid0(SALU_CYCLE_1)
	s_and_b32 s16, s17, exec_lo
.LBB34_125:                             ;   in Loop: Header=BB34_4 Depth=1
	s_or_b32 exec_lo, exec_lo, s13
	s_delay_alu instid0(SALU_CYCLE_1)
	s_and_b32 s13, s16, exec_lo
.LBB34_126:                             ;   in Loop: Header=BB34_4 Depth=1
	s_or_b32 exec_lo, exec_lo, s12
	s_delay_alu instid0(SALU_CYCLE_1)
	s_and_b32 s12, s13, exec_lo
.LBB34_127:                             ;   in Loop: Header=BB34_4 Depth=1
	s_or_b32 exec_lo, exec_lo, s11
	s_delay_alu instid0(SALU_CYCLE_1)
	s_and_b32 s11, s12, exec_lo
.LBB34_128:                             ;   in Loop: Header=BB34_4 Depth=1
	s_or_b32 exec_lo, exec_lo, s10
	s_delay_alu instid0(SALU_CYCLE_1)
	s_and_b32 s10, s11, exec_lo
.LBB34_129:                             ;   in Loop: Header=BB34_4 Depth=1
	s_or_b32 exec_lo, exec_lo, s8
	v_cndmask_b32_e64 v1, 0, 1, s10
	;;#ASMSTART
	;;#ASMEND
	s_delay_alu instid0(VALU_DEP_1)
	v_cmp_ne_u32_e32 vcc_lo, 0, v1
	s_mov_b32 s8, exec_lo
	s_and_saveexec_b32 s10, s0
	s_cbranch_execz .LBB34_3
; %bb.130:                              ;   in Loop: Header=BB34_4 Depth=1
	s_cmp_eq_u32 vcc_lo, s8
	s_cselect_b32 s8, -1, 0
	s_delay_alu instid0(SALU_CYCLE_1)
	v_cndmask_b32_e64 v1, 0, 1, s8
	ds_store_b32 v5, v1
	s_branch .LBB34_3
.LBB34_131:                             ;   in Loop: Header=BB34_4 Depth=1
                                        ; implicit-def: $sgpr5
	s_cbranch_execz .LBB34_4
.LBB34_132:
	s_mov_b32 s0, exec_lo
	v_cmpx_eq_u32_e32 0, v0
	s_cbranch_execz .LBB34_134
; %bb.133:
	s_mul_i32 s0, s1, s15
	v_dual_mov_b32 v0, 0 :: v_dual_mov_b32 v1, s2
	s_add_i32 s0, s0, s14
	s_delay_alu instid0(SALU_CYCLE_1) | instskip(NEXT) | instid1(SALU_CYCLE_1)
	s_ashr_i32 s1, s0, 31
	s_lshl_b64 s[0:1], s[0:1], 2
	s_delay_alu instid0(SALU_CYCLE_1)
	s_add_u32 s0, s6, s0
	s_addc_u32 s1, s7, s1
	global_store_b32 v0, v1, s[0:1]
.LBB34_134:
	s_nop 0
	s_sendmsg sendmsg(MSG_DEALLOC_VGPRS)
	s_endpgm
	.section	.rodata,"a",@progbits
	.p2align	6, 0x0
	.amdhsa_kernel _ZL25flash_attn_mask_to_KV_maxILi32EEvPK7__half2Piiii
		.amdhsa_group_segment_fixed_size 128
		.amdhsa_private_segment_fixed_size 0
		.amdhsa_kernarg_size 288
		.amdhsa_user_sgpr_count 14
		.amdhsa_user_sgpr_dispatch_ptr 0
		.amdhsa_user_sgpr_queue_ptr 0
		.amdhsa_user_sgpr_kernarg_segment_ptr 1
		.amdhsa_user_sgpr_dispatch_id 0
		.amdhsa_user_sgpr_private_segment_size 0
		.amdhsa_wavefront_size32 1
		.amdhsa_uses_dynamic_stack 0
		.amdhsa_enable_private_segment 0
		.amdhsa_system_sgpr_workgroup_id_x 1
		.amdhsa_system_sgpr_workgroup_id_y 1
		.amdhsa_system_sgpr_workgroup_id_z 0
		.amdhsa_system_sgpr_workgroup_info 0
		.amdhsa_system_vgpr_workitem_id 0
		.amdhsa_next_free_vgpr 9
		.amdhsa_next_free_sgpr 76
		.amdhsa_reserve_vcc 1
		.amdhsa_float_round_mode_32 0
		.amdhsa_float_round_mode_16_64 0
		.amdhsa_float_denorm_mode_32 3
		.amdhsa_float_denorm_mode_16_64 3
		.amdhsa_dx10_clamp 1
		.amdhsa_ieee_mode 1
		.amdhsa_fp16_overflow 0
		.amdhsa_workgroup_processor_mode 1
		.amdhsa_memory_ordered 1
		.amdhsa_forward_progress 0
		.amdhsa_shared_vgpr_count 0
		.amdhsa_exception_fp_ieee_invalid_op 0
		.amdhsa_exception_fp_denorm_src 0
		.amdhsa_exception_fp_ieee_div_zero 0
		.amdhsa_exception_fp_ieee_overflow 0
		.amdhsa_exception_fp_ieee_underflow 0
		.amdhsa_exception_fp_ieee_inexact 0
		.amdhsa_exception_int_div_zero 0
	.end_amdhsa_kernel
	.section	.text._ZL25flash_attn_mask_to_KV_maxILi32EEvPK7__half2Piiii,"axG",@progbits,_ZL25flash_attn_mask_to_KV_maxILi32EEvPK7__half2Piiii,comdat
.Lfunc_end34:
	.size	_ZL25flash_attn_mask_to_KV_maxILi32EEvPK7__half2Piiii, .Lfunc_end34-_ZL25flash_attn_mask_to_KV_maxILi32EEvPK7__half2Piiii
                                        ; -- End function
	.section	.AMDGPU.csdata,"",@progbits
; Kernel info:
; codeLenInByte = 4544
; NumSgprs: 78
; NumVgprs: 9
; ScratchSize: 0
; MemoryBound: 0
; FloatMode: 240
; IeeeMode: 1
; LDSByteSize: 128 bytes/workgroup (compile time only)
; SGPRBlocks: 9
; VGPRBlocks: 1
; NumSGPRsForWavesPerEU: 78
; NumVGPRsForWavesPerEU: 9
; Occupancy: 16
; WaveLimiterHint : 0
; COMPUTE_PGM_RSRC2:SCRATCH_EN: 0
; COMPUTE_PGM_RSRC2:USER_SGPR: 14
; COMPUTE_PGM_RSRC2:TRAP_HANDLER: 0
; COMPUTE_PGM_RSRC2:TGID_X_EN: 1
; COMPUTE_PGM_RSRC2:TGID_Y_EN: 1
; COMPUTE_PGM_RSRC2:TGID_Z_EN: 0
; COMPUTE_PGM_RSRC2:TIDIG_COMP_CNT: 0
	.section	.text._ZL33flash_attn_stream_k_fixup_uniformILi128ELi32ELi2EEvPfPK15HIP_vector_typeIfLj2EEiiiiiiS1_IjLj3EES5_S5_,"axG",@progbits,_ZL33flash_attn_stream_k_fixup_uniformILi128ELi32ELi2EEvPfPK15HIP_vector_typeIfLj2EEiiiiiiS1_IjLj3EES5_S5_,comdat
	.globl	_ZL33flash_attn_stream_k_fixup_uniformILi128ELi32ELi2EEvPfPK15HIP_vector_typeIfLj2EEiiiiiiS1_IjLj3EES5_S5_ ; -- Begin function _ZL33flash_attn_stream_k_fixup_uniformILi128ELi32ELi2EEvPfPK15HIP_vector_typeIfLj2EEiiiiiiS1_IjLj3EES5_S5_
	.p2align	8
	.type	_ZL33flash_attn_stream_k_fixup_uniformILi128ELi32ELi2EEvPfPK15HIP_vector_typeIfLj2EEiiiiiiS1_IjLj3EES5_S5_,@function
_ZL33flash_attn_stream_k_fixup_uniformILi128ELi32ELi2EEvPfPK15HIP_vector_typeIfLj2EEiiiiiiS1_IjLj3EES5_S5_: ; @_ZL33flash_attn_stream_k_fixup_uniformILi128ELi32ELi2EEvPfPK15HIP_vector_typeIfLj2EEiiiiiiS1_IjLj3EES5_S5_
; %bb.0:
	s_clause 0x1
	s_load_b256 s[4:11], s[0:1], 0x1c
	s_load_b128 s[16:19], s[0:1], 0x3c
	s_waitcnt lgkmcnt(0)
	s_mul_hi_u32 s2, s7, s13
	s_delay_alu instid0(SALU_CYCLE_1) | instskip(NEXT) | instid1(SALU_CYCLE_1)
	s_add_i32 s2, s13, s2
	s_lshr_b32 s2, s2, s8
	s_delay_alu instid0(SALU_CYCLE_1) | instskip(SKIP_2) | instid1(SALU_CYCLE_1)
	s_mul_i32 s3, s2, s9
	s_load_b64 s[8:9], s[0:1], 0x10
	s_sub_i32 s7, s13, s3
	s_mul_hi_u32 s3, s7, s10
	s_delay_alu instid0(SALU_CYCLE_1) | instskip(NEXT) | instid1(SALU_CYCLE_1)
	s_add_i32 s3, s7, s3
	s_lshr_b32 s3, s3, s11
	s_delay_alu instid0(SALU_CYCLE_1) | instskip(NEXT) | instid1(SALU_CYCLE_1)
	s_mul_i32 s10, s3, s16
	s_sub_i32 s7, s7, s10
	s_delay_alu instid0(SALU_CYCLE_1) | instskip(NEXT) | instid1(SALU_CYCLE_1)
	s_mul_hi_u32 s10, s7, s17
	s_add_i32 s10, s7, s10
	s_delay_alu instid0(SALU_CYCLE_1) | instskip(NEXT) | instid1(SALU_CYCLE_1)
	s_lshr_b32 s10, s10, s18
	s_mul_i32 s11, s10, s19
	s_lshl_b32 s10, s10, 1
	s_sub_i32 s7, s7, s11
	s_delay_alu instid0(SALU_CYCLE_1) | instskip(NEXT) | instid1(SALU_CYCLE_1)
	s_lshl_b32 s11, s7, 5
	s_add_i32 s11, s11, s14
	s_waitcnt lgkmcnt(0)
	s_cmp_lt_i32 s11, s8
	s_cselect_b32 s11, -1, 0
	s_add_i32 s12, s10, s15
	s_delay_alu instid0(SALU_CYCLE_1) | instskip(SKIP_1) | instid1(SALU_CYCLE_1)
	s_cmp_lt_i32 s12, s5
	s_cselect_b32 s12, -1, 0
	s_and_b32 s11, s11, s12
	s_delay_alu instid0(SALU_CYCLE_1)
	s_and_not1_b32 vcc_lo, exec_lo, s11
	s_cbranch_vccnz .LBB35_6
; %bb.1:
	s_mul_i32 s2, s2, s8
	s_mul_i32 s5, s3, s5
	s_add_i32 s2, s2, s14
	s_mul_i32 s7, s9, s7
	s_mul_i32 s2, s2, s9
	s_lshl_b32 s7, s7, 12
	s_add_i32 s8, s2, s15
	s_load_b128 s[0:3], s[0:1], 0x0
	s_add_i32 s5, s8, s5
	s_lshl_b32 s9, s14, 1
	s_add_i32 s5, s5, s10
	s_delay_alu instid0(SALU_CYCLE_1) | instskip(NEXT) | instid1(SALU_CYCLE_1)
	s_lshl_b32 s5, s5, 7
	s_add_i32 s7, s7, s5
	s_mul_i32 s5, s13, s6
	v_or_b32_e32 v1, s7, v0
	s_add_i32 s10, s5, s6
	s_delay_alu instid0(VALU_DEP_1) | instskip(NEXT) | instid1(VALU_DEP_1)
	v_ashrrev_i32_e32 v2, 31, v1
	v_lshlrev_b64 v[1:2], 2, v[1:2]
	s_waitcnt lgkmcnt(0)
	s_delay_alu instid0(VALU_DEP_1) | instskip(NEXT) | instid1(VALU_DEP_2)
	v_add_co_u32 v1, vcc_lo, s0, v1
	v_add_co_ci_u32_e32 v2, vcc_lo, s1, v2, vcc_lo
	s_add_i32 s0, s9, s15
	s_lshl_b32 s1, s10, 6
	s_delay_alu instid0(SALU_CYCLE_1) | instskip(SKIP_2) | instid1(SALU_CYCLE_1)
	s_add_i32 s0, s0, s1
	global_load_b32 v5, v[1:2], off
	s_sub_i32 s0, s0, 64
	s_ashr_i32 s1, s0, 31
	s_delay_alu instid0(SALU_CYCLE_1) | instskip(NEXT) | instid1(SALU_CYCLE_1)
	s_lshl_b64 s[0:1], s[0:1], 3
	s_add_u32 s0, s2, s0
	s_addc_u32 s1, s3, s1
	s_add_i32 s7, s10, -2
	s_load_b32 s11, s[0:1], 0x4
	s_cmp_lt_i32 s7, s5
	s_cbranch_scc1 .LBB35_4
; %bb.2:
	s_lshl_b32 s16, s4, 8
	s_load_b32 s12, s[0:1], 0x0
	s_ashr_i32 s17, s16, 31
	s_delay_alu instid0(SALU_CYCLE_1) | instskip(NEXT) | instid1(SALU_CYCLE_1)
	s_lshl_b64 s[0:1], s[16:17], 2
	s_add_u32 s7, s2, s0
	s_addc_u32 s8, s3, s1
	s_add_i32 s13, s13, 1
	s_lshl_b32 s0, s14, 8
	s_lshl_b32 s1, s15, 7
	s_mul_i32 s6, s6, s13
	s_add_i32 s0, s1, s0
	s_lshl_b32 s1, s6, 13
	s_delay_alu instid0(SALU_CYCLE_1)
	s_add_i32 s0, s0, s1
	s_lshl_b32 s1, s6, 6
	v_or_b32_e32 v0, s0, v0
	s_lshl_b32 s0, s4, 6
	s_add_i32 s1, s15, s1
	s_waitcnt lgkmcnt(0)
	v_mov_b32_e32 v6, s11
	s_add_i32 s0, s1, s0
	v_dual_mov_b32 v0, s12 :: v_dual_add_nc_u32 v3, 0xffffc000, v0
	s_add_i32 s0, s0, s9
	s_add_i32 s4, s10, -1
	s_addk_i32 s0, 0xff80
.LBB35_3:                               ; =>This Inner Loop Header: Depth=1
	s_delay_alu instid0(VALU_DEP_1) | instskip(SKIP_1) | instid1(SALU_CYCLE_1)
	v_ashrrev_i32_e32 v4, 31, v3
	s_ashr_i32 s1, s0, 31
	s_lshl_b64 s[10:11], s[0:1], 3
	s_delay_alu instid0(SALU_CYCLE_1) | instskip(NEXT) | instid1(VALU_DEP_1)
	s_add_u32 s10, s2, s10
	v_lshlrev_b64 v[7:8], 2, v[3:4]
	s_addc_u32 s11, s3, s11
	s_add_i32 s4, s4, -1
	s_sub_i32 s0, s0, 64
	s_cmp_le_i32 s4, s5
	s_load_b64 s[10:11], s[10:11], 0x0
	v_add_co_u32 v7, vcc_lo, s7, v7
	v_add_co_ci_u32_e32 v8, vcc_lo, s8, v8, vcc_lo
	global_load_b32 v4, v[7:8], off
	v_max_f32_e32 v7, v0, v0
	s_waitcnt lgkmcnt(0)
	v_max_f32_e64 v8, s10, s10
	s_delay_alu instid0(VALU_DEP_1) | instskip(NEXT) | instid1(VALU_DEP_1)
	v_max_f32_e32 v7, v7, v8
	v_sub_f32_e32 v8, s10, v7
	s_delay_alu instid0(VALU_DEP_1) | instskip(NEXT) | instid1(VALU_DEP_1)
	v_dual_sub_f32 v0, v0, v7 :: v_dual_mul_f32 v9, 0x3fb8aa3b, v8
	v_fma_f32 v10, 0x3fb8aa3b, v8, -v9
	v_rndne_f32_e32 v11, v9
	s_delay_alu instid0(VALU_DEP_3) | instskip(NEXT) | instid1(VALU_DEP_2)
	v_mul_f32_e32 v12, 0x3fb8aa3b, v0
	v_dual_fmac_f32 v10, 0x32a5705f, v8 :: v_dual_sub_f32 v9, v9, v11
	v_cvt_i32_f32_e32 v11, v11
	s_delay_alu instid0(VALU_DEP_3) | instskip(SKIP_1) | instid1(VALU_DEP_4)
	v_fma_f32 v13, 0x3fb8aa3b, v0, -v12
	v_rndne_f32_e32 v14, v12
	v_add_f32_e32 v9, v9, v10
	v_cmp_ngt_f32_e32 vcc_lo, 0xc2ce8ed0, v8
	s_delay_alu instid0(VALU_DEP_3) | instskip(NEXT) | instid1(VALU_DEP_3)
	v_sub_f32_e32 v10, v12, v14
	v_exp_f32_e32 v9, v9
	s_waitcnt_depctr 0xfff
	v_ldexp_f32 v9, v9, v11
	v_cvt_i32_f32_e32 v11, v14
	s_delay_alu instid0(VALU_DEP_2) | instskip(SKIP_1) | instid1(VALU_DEP_2)
	v_cndmask_b32_e32 v9, 0, v9, vcc_lo
	v_cmp_nlt_f32_e32 vcc_lo, 0x42b17218, v8
	v_cndmask_b32_e32 v9, 0x7f800000, v9, vcc_lo
	v_cmp_ngt_f32_e32 vcc_lo, 0xc2ce8ed0, v0
	v_fmac_f32_e32 v13, 0x32a5705f, v0
	s_delay_alu instid0(VALU_DEP_1) | instskip(NEXT) | instid1(VALU_DEP_1)
	v_add_f32_e32 v10, v10, v13
	v_exp_f32_e32 v10, v10
	s_waitcnt_depctr 0xfff
	v_ldexp_f32 v10, v10, v11
	s_delay_alu instid0(VALU_DEP_1)
	v_dual_mov_b32 v11, v6 :: v_dual_cndmask_b32 v10, 0, v10
	v_cmp_le_f32_e32 vcc_lo, 0xc1a00000, v8
	s_waitcnt vmcnt(1)
	v_dual_cndmask_b32 v8, 0, v9 :: v_dual_mov_b32 v9, v5
	v_cmp_nlt_f32_e32 vcc_lo, 0x42b17218, v0
	v_cndmask_b32_e32 v5, 0x7f800000, v10, vcc_lo
	s_delay_alu instid0(VALU_DEP_3) | instskip(SKIP_2) | instid1(VALU_DEP_3)
	v_mul_f32_e32 v10, s11, v8
	v_cmp_le_f32_e32 vcc_lo, 0xc1a00000, v0
	v_mov_b32_e32 v0, v7
	v_mov_b32_e32 v6, v10
	s_waitcnt vmcnt(0)
	v_dual_cndmask_b32 v12, 0, v5 :: v_dual_mul_f32 v5, v4, v8
	s_delay_alu instid0(VALU_DEP_1) | instskip(NEXT) | instid1(VALU_DEP_2)
	v_dual_fmac_f32 v6, v11, v12 :: v_dual_add_nc_u32 v3, 0xffffe000, v3
	v_fmac_f32_e32 v5, v9, v12
	s_cbranch_scc0 .LBB35_3
	s_branch .LBB35_5
.LBB35_4:
	s_waitcnt lgkmcnt(0)
	v_mov_b32_e32 v6, s11
.LBB35_5:
	s_waitcnt vmcnt(0)
	s_delay_alu instid0(VALU_DEP_1) | instskip(NEXT) | instid1(VALU_DEP_1)
	v_div_scale_f32 v0, null, v6, v6, v5
	v_rcp_f32_e32 v3, v0
	s_waitcnt_depctr 0xfff
	v_fma_f32 v4, -v0, v3, 1.0
	s_delay_alu instid0(VALU_DEP_1) | instskip(SKIP_1) | instid1(VALU_DEP_1)
	v_fmac_f32_e32 v3, v4, v3
	v_div_scale_f32 v4, vcc_lo, v5, v6, v5
	v_mul_f32_e32 v7, v4, v3
	s_delay_alu instid0(VALU_DEP_1) | instskip(NEXT) | instid1(VALU_DEP_1)
	v_fma_f32 v8, -v0, v7, v4
	v_fmac_f32_e32 v7, v8, v3
	s_delay_alu instid0(VALU_DEP_1) | instskip(NEXT) | instid1(VALU_DEP_1)
	v_fma_f32 v0, -v0, v7, v4
	v_div_fmas_f32 v0, v0, v3, v7
	s_delay_alu instid0(VALU_DEP_1)
	v_div_fixup_f32 v0, v0, v6, v5
	global_store_b32 v[1:2], v0, off
.LBB35_6:
	s_nop 0
	s_sendmsg sendmsg(MSG_DEALLOC_VGPRS)
	s_endpgm
	.section	.rodata,"a",@progbits
	.p2align	6, 0x0
	.amdhsa_kernel _ZL33flash_attn_stream_k_fixup_uniformILi128ELi32ELi2EEvPfPK15HIP_vector_typeIfLj2EEiiiiiiS1_IjLj3EES5_S5_
		.amdhsa_group_segment_fixed_size 0
		.amdhsa_private_segment_fixed_size 0
		.amdhsa_kernarg_size 76
		.amdhsa_user_sgpr_count 13
		.amdhsa_user_sgpr_dispatch_ptr 0
		.amdhsa_user_sgpr_queue_ptr 0
		.amdhsa_user_sgpr_kernarg_segment_ptr 1
		.amdhsa_user_sgpr_dispatch_id 0
		.amdhsa_user_sgpr_private_segment_size 0
		.amdhsa_wavefront_size32 1
		.amdhsa_uses_dynamic_stack 0
		.amdhsa_enable_private_segment 0
		.amdhsa_system_sgpr_workgroup_id_x 1
		.amdhsa_system_sgpr_workgroup_id_y 1
		.amdhsa_system_sgpr_workgroup_id_z 1
		.amdhsa_system_sgpr_workgroup_info 0
		.amdhsa_system_vgpr_workitem_id 0
		.amdhsa_next_free_vgpr 15
		.amdhsa_next_free_sgpr 20
		.amdhsa_reserve_vcc 1
		.amdhsa_float_round_mode_32 0
		.amdhsa_float_round_mode_16_64 0
		.amdhsa_float_denorm_mode_32 3
		.amdhsa_float_denorm_mode_16_64 3
		.amdhsa_dx10_clamp 1
		.amdhsa_ieee_mode 1
		.amdhsa_fp16_overflow 0
		.amdhsa_workgroup_processor_mode 1
		.amdhsa_memory_ordered 1
		.amdhsa_forward_progress 0
		.amdhsa_shared_vgpr_count 0
		.amdhsa_exception_fp_ieee_invalid_op 0
		.amdhsa_exception_fp_denorm_src 0
		.amdhsa_exception_fp_ieee_div_zero 0
		.amdhsa_exception_fp_ieee_overflow 0
		.amdhsa_exception_fp_ieee_underflow 0
		.amdhsa_exception_fp_ieee_inexact 0
		.amdhsa_exception_int_div_zero 0
	.end_amdhsa_kernel
	.section	.text._ZL33flash_attn_stream_k_fixup_uniformILi128ELi32ELi2EEvPfPK15HIP_vector_typeIfLj2EEiiiiiiS1_IjLj3EES5_S5_,"axG",@progbits,_ZL33flash_attn_stream_k_fixup_uniformILi128ELi32ELi2EEvPfPK15HIP_vector_typeIfLj2EEiiiiiiS1_IjLj3EES5_S5_,comdat
.Lfunc_end35:
	.size	_ZL33flash_attn_stream_k_fixup_uniformILi128ELi32ELi2EEvPfPK15HIP_vector_typeIfLj2EEiiiiiiS1_IjLj3EES5_S5_, .Lfunc_end35-_ZL33flash_attn_stream_k_fixup_uniformILi128ELi32ELi2EEvPfPK15HIP_vector_typeIfLj2EEiiiiiiS1_IjLj3EES5_S5_
                                        ; -- End function
	.section	.AMDGPU.csdata,"",@progbits
; Kernel info:
; codeLenInByte = 996
; NumSgprs: 22
; NumVgprs: 15
; ScratchSize: 0
; MemoryBound: 0
; FloatMode: 240
; IeeeMode: 1
; LDSByteSize: 0 bytes/workgroup (compile time only)
; SGPRBlocks: 2
; VGPRBlocks: 1
; NumSGPRsForWavesPerEU: 22
; NumVGPRsForWavesPerEU: 15
; Occupancy: 16
; WaveLimiterHint : 0
; COMPUTE_PGM_RSRC2:SCRATCH_EN: 0
; COMPUTE_PGM_RSRC2:USER_SGPR: 13
; COMPUTE_PGM_RSRC2:TRAP_HANDLER: 0
; COMPUTE_PGM_RSRC2:TGID_X_EN: 1
; COMPUTE_PGM_RSRC2:TGID_Y_EN: 1
; COMPUTE_PGM_RSRC2:TGID_Z_EN: 1
; COMPUTE_PGM_RSRC2:TIDIG_COMP_CNT: 0
	.section	.text._ZL33flash_attn_stream_k_fixup_generalILi128ELi32ELi2EEvPfPK15HIP_vector_typeIfLj2EEiiiiS1_IjLj3EES5_S5_S5_,"axG",@progbits,_ZL33flash_attn_stream_k_fixup_generalILi128ELi32ELi2EEvPfPK15HIP_vector_typeIfLj2EEiiiiS1_IjLj3EES5_S5_S5_,comdat
	.globl	_ZL33flash_attn_stream_k_fixup_generalILi128ELi32ELi2EEvPfPK15HIP_vector_typeIfLj2EEiiiiS1_IjLj3EES5_S5_S5_ ; -- Begin function _ZL33flash_attn_stream_k_fixup_generalILi128ELi32ELi2EEvPfPK15HIP_vector_typeIfLj2EEiiiiS1_IjLj3EES5_S5_S5_
	.p2align	8
	.type	_ZL33flash_attn_stream_k_fixup_generalILi128ELi32ELi2EEvPfPK15HIP_vector_typeIfLj2EEiiiiS1_IjLj3EES5_S5_S5_,@function
_ZL33flash_attn_stream_k_fixup_generalILi128ELi32ELi2EEvPfPK15HIP_vector_typeIfLj2EEiiiiS1_IjLj3EES5_S5_S5_: ; @_ZL33flash_attn_stream_k_fixup_generalILi128ELi32ELi2EEvPfPK15HIP_vector_typeIfLj2EEiiiiS1_IjLj3EES5_S5_S5_
; %bb.0:
	s_clause 0x1
	s_load_b128 s[4:7], s[0:1], 0x10
	s_load_b32 s20, s[0:1], 0x50
	s_mov_b32 s2, 0
	s_waitcnt lgkmcnt(0)
	s_mul_hi_i32 s3, s7, s13
	s_mul_i32 s12, s7, s13
	s_cmp_lg_u64 s[2:3], 0
	s_cbranch_scc0 .LBB36_21
; %bb.1:
	v_cvt_f32_ubyte0_e32 v1, 0
	v_cvt_f32_u32_e32 v2, s20
	s_sub_u32 s10, 0, s20
	s_subb_u32 s11, 0, 0
	s_delay_alu instid0(VALU_DEP_1) | instskip(NEXT) | instid1(VALU_DEP_1)
	v_fmamk_f32 v1, v1, 0x4f800000, v2
	v_rcp_f32_e32 v1, v1
	s_waitcnt_depctr 0xfff
	v_mul_f32_e32 v1, 0x5f7ffffc, v1
	s_delay_alu instid0(VALU_DEP_1) | instskip(NEXT) | instid1(VALU_DEP_1)
	v_mul_f32_e32 v2, 0x2f800000, v1
	v_trunc_f32_e32 v2, v2
	s_delay_alu instid0(VALU_DEP_1) | instskip(SKIP_1) | instid1(VALU_DEP_2)
	v_fmamk_f32 v1, v2, 0xcf800000, v1
	v_cvt_u32_f32_e32 v2, v2
	v_cvt_u32_f32_e32 v1, v1
	s_delay_alu instid0(VALU_DEP_2) | instskip(NEXT) | instid1(VALU_DEP_2)
	v_readfirstlane_b32 s8, v2
	v_readfirstlane_b32 s9, v1
	s_delay_alu instid0(VALU_DEP_2) | instskip(NEXT) | instid1(VALU_DEP_1)
	s_mul_i32 s16, s10, s8
	s_mul_hi_u32 s18, s10, s9
	s_mul_i32 s17, s11, s9
	s_add_i32 s16, s18, s16
	s_mul_i32 s19, s10, s9
	s_add_i32 s16, s16, s17
	s_mul_hi_u32 s18, s9, s19
	s_mul_hi_u32 s21, s8, s19
	s_mul_i32 s17, s8, s19
	s_mul_hi_u32 s19, s9, s16
	s_mul_i32 s9, s9, s16
	s_mul_hi_u32 s22, s8, s16
	s_add_u32 s9, s18, s9
	s_addc_u32 s18, 0, s19
	s_add_u32 s9, s9, s17
	s_mul_i32 s16, s8, s16
	s_addc_u32 s9, s18, s21
	s_addc_u32 s17, s22, 0
	s_add_u32 s9, s9, s16
	s_addc_u32 s16, 0, s17
	v_add_co_u32 v1, s9, v1, s9
	s_delay_alu instid0(VALU_DEP_1) | instskip(SKIP_1) | instid1(VALU_DEP_1)
	s_cmp_lg_u32 s9, 0
	s_addc_u32 s8, s8, s16
	v_readfirstlane_b32 s9, v1
	s_mul_i32 s16, s10, s8
	s_delay_alu instid0(VALU_DEP_1)
	s_mul_hi_u32 s17, s10, s9
	s_mul_i32 s11, s11, s9
	s_add_i32 s16, s17, s16
	s_mul_i32 s10, s10, s9
	s_add_i32 s16, s16, s11
	s_mul_hi_u32 s17, s8, s10
	s_mul_i32 s18, s8, s10
	s_mul_hi_u32 s10, s9, s10
	s_mul_hi_u32 s19, s9, s16
	s_mul_i32 s9, s9, s16
	s_mul_hi_u32 s11, s8, s16
	s_add_u32 s9, s10, s9
	s_addc_u32 s10, 0, s19
	s_add_u32 s9, s9, s18
	s_mul_i32 s16, s8, s16
	s_addc_u32 s9, s10, s17
	s_addc_u32 s10, s11, 0
	s_add_u32 s9, s9, s16
	s_addc_u32 s10, 0, s10
	v_add_co_u32 v1, s9, v1, s9
	s_delay_alu instid0(VALU_DEP_1) | instskip(SKIP_2) | instid1(SALU_CYCLE_1)
	s_cmp_lg_u32 s9, 0
	s_addc_u32 s16, s8, s10
	s_ashr_i32 s8, s3, 31
	s_add_u32 s10, s12, s8
	s_addc_u32 s11, s3, s8
	v_readfirstlane_b32 s3, v1
	s_mov_b32 s9, s8
	s_delay_alu instid0(SALU_CYCLE_1) | instskip(NEXT) | instid1(SALU_CYCLE_1)
	s_xor_b64 s[10:11], s[10:11], s[8:9]
	s_mul_i32 s18, s10, s16
	s_delay_alu instid0(VALU_DEP_1)
	s_mul_hi_u32 s19, s10, s3
	s_mul_hi_u32 s17, s10, s16
	;; [unrolled: 1-line block ×3, first 2 shown]
	s_mul_i32 s3, s11, s3
	s_add_u32 s18, s19, s18
	s_addc_u32 s17, 0, s17
	s_mul_hi_u32 s21, s11, s16
	s_add_u32 s3, s18, s3
	s_mul_i32 s16, s11, s16
	s_addc_u32 s3, s17, s22
	s_addc_u32 s17, s21, 0
	s_add_u32 s3, s3, s16
	s_addc_u32 s16, 0, s17
	s_mul_i32 s18, s20, s3
	s_add_u32 s17, s3, 1
	v_sub_co_u32 v1, s10, s10, s18
	s_mul_hi_u32 s18, s20, s3
	s_addc_u32 s19, s16, 0
	s_mul_i32 s21, s20, s16
	s_delay_alu instid0(VALU_DEP_1)
	v_sub_co_u32 v2, s22, v1, s20
	s_add_u32 s23, s3, 2
	s_addc_u32 s24, s16, 0
	s_add_i32 s18, s18, s21
	s_cmp_lg_u32 s10, 0
	v_readfirstlane_b32 s10, v2
	s_subb_u32 s11, s11, s18
	s_cmp_lg_u32 s22, 0
	s_subb_u32 s18, s11, 0
	s_delay_alu instid0(VALU_DEP_1) | instskip(SKIP_4) | instid1(SALU_CYCLE_1)
	s_cmp_ge_u32 s10, s20
	s_cselect_b32 s10, -1, 0
	s_cmp_eq_u32 s18, 0
	v_readfirstlane_b32 s18, v1
	s_cselect_b32 s10, s10, -1
	s_cmp_lg_u32 s10, 0
	s_cselect_b32 s10, s23, s17
	s_cselect_b32 s17, s24, s19
	s_cmp_ge_u32 s18, s20
	s_cselect_b32 s18, -1, 0
	s_cmp_eq_u32 s11, 0
	s_cselect_b32 s11, s18, -1
	s_delay_alu instid0(SALU_CYCLE_1) | instskip(SKIP_2) | instid1(SALU_CYCLE_1)
	s_cmp_lg_u32 s11, 0
	s_cselect_b32 s11, s17, s16
	s_cselect_b32 s10, s10, s3
	s_xor_b64 s[10:11], s[10:11], s[8:9]
	s_delay_alu instid0(SALU_CYCLE_1)
	s_sub_u32 s16, s10, s8
	s_load_b128 s[8:11], s[0:1], 0x44
	s_and_not1_b32 vcc_lo, exec_lo, s2
	s_cbranch_vccnz .LBB36_3
.LBB36_2:
	v_cvt_f32_u32_e32 v1, s20
	s_sub_i32 s3, 0, s20
	s_delay_alu instid0(VALU_DEP_1) | instskip(SKIP_2) | instid1(VALU_DEP_1)
	v_rcp_iflag_f32_e32 v1, v1
	s_waitcnt_depctr 0xfff
	v_mul_f32_e32 v1, 0x4f7ffffe, v1
	v_cvt_u32_f32_e32 v1, v1
	s_delay_alu instid0(VALU_DEP_1) | instskip(NEXT) | instid1(VALU_DEP_1)
	v_readfirstlane_b32 s2, v1
	s_mul_i32 s3, s3, s2
	s_delay_alu instid0(SALU_CYCLE_1) | instskip(NEXT) | instid1(SALU_CYCLE_1)
	s_mul_hi_u32 s3, s2, s3
	s_add_i32 s2, s2, s3
	s_delay_alu instid0(SALU_CYCLE_1) | instskip(NEXT) | instid1(SALU_CYCLE_1)
	s_mul_hi_u32 s2, s12, s2
	s_mul_i32 s3, s2, s20
	s_waitcnt lgkmcnt(0)
	s_add_i32 s11, s2, 1
	s_sub_i32 s3, s12, s3
	s_delay_alu instid0(SALU_CYCLE_1)
	s_sub_i32 s12, s3, s20
	s_cmp_ge_u32 s3, s20
	s_cselect_b32 s2, s11, s2
	s_cselect_b32 s3, s12, s3
	s_add_i32 s11, s2, 1
	s_cmp_ge_u32 s3, s20
	s_cselect_b32 s16, s11, s2
.LBB36_3:
	s_waitcnt lgkmcnt(0)
	s_add_i32 s11, s13, 1
	s_mov_b32 s2, 0
	s_mul_hi_i32 s3, s7, s11
	s_mul_i32 s11, s7, s11
	s_cmp_lg_u64 s[2:3], 0
	s_cbranch_scc0 .LBB36_22
; %bb.4:
	v_cvt_f32_ubyte0_e32 v1, 0
	v_cvt_f32_u32_e32 v2, s20
	s_sub_u32 s18, 0, s20
	s_subb_u32 s19, 0, 0
	s_delay_alu instid0(VALU_DEP_1) | instskip(NEXT) | instid1(VALU_DEP_1)
	v_fmamk_f32 v1, v1, 0x4f800000, v2
	v_rcp_f32_e32 v1, v1
	s_waitcnt_depctr 0xfff
	v_mul_f32_e32 v1, 0x5f7ffffc, v1
	s_delay_alu instid0(VALU_DEP_1) | instskip(NEXT) | instid1(VALU_DEP_1)
	v_mul_f32_e32 v2, 0x2f800000, v1
	v_trunc_f32_e32 v2, v2
	s_delay_alu instid0(VALU_DEP_1) | instskip(SKIP_1) | instid1(VALU_DEP_2)
	v_fmamk_f32 v1, v2, 0xcf800000, v1
	v_cvt_u32_f32_e32 v2, v2
	v_cvt_u32_f32_e32 v1, v1
	s_delay_alu instid0(VALU_DEP_2) | instskip(NEXT) | instid1(VALU_DEP_2)
	v_readfirstlane_b32 s12, v2
	v_readfirstlane_b32 s17, v1
	s_delay_alu instid0(VALU_DEP_2) | instskip(NEXT) | instid1(VALU_DEP_1)
	s_mul_i32 s21, s18, s12
	s_mul_hi_u32 s23, s18, s17
	s_mul_i32 s22, s19, s17
	s_add_i32 s21, s23, s21
	s_mul_i32 s24, s18, s17
	s_add_i32 s21, s21, s22
	s_mul_hi_u32 s23, s17, s24
	s_mul_hi_u32 s25, s12, s24
	s_mul_i32 s22, s12, s24
	s_mul_hi_u32 s24, s17, s21
	s_mul_i32 s17, s17, s21
	s_mul_hi_u32 s26, s12, s21
	s_add_u32 s17, s23, s17
	s_addc_u32 s23, 0, s24
	s_add_u32 s17, s17, s22
	s_mul_i32 s21, s12, s21
	s_addc_u32 s17, s23, s25
	s_addc_u32 s22, s26, 0
	s_add_u32 s17, s17, s21
	s_addc_u32 s21, 0, s22
	v_add_co_u32 v1, s17, v1, s17
	s_delay_alu instid0(VALU_DEP_1) | instskip(SKIP_1) | instid1(VALU_DEP_1)
	s_cmp_lg_u32 s17, 0
	s_addc_u32 s12, s12, s21
	v_readfirstlane_b32 s17, v1
	s_mul_i32 s21, s18, s12
	s_delay_alu instid0(VALU_DEP_1)
	s_mul_hi_u32 s22, s18, s17
	s_mul_i32 s19, s19, s17
	s_add_i32 s21, s22, s21
	s_mul_i32 s18, s18, s17
	s_add_i32 s21, s21, s19
	s_mul_hi_u32 s22, s12, s18
	s_mul_i32 s23, s12, s18
	s_mul_hi_u32 s18, s17, s18
	s_mul_hi_u32 s24, s17, s21
	s_mul_i32 s17, s17, s21
	s_mul_hi_u32 s19, s12, s21
	s_add_u32 s17, s18, s17
	s_addc_u32 s18, 0, s24
	s_add_u32 s17, s17, s23
	s_mul_i32 s21, s12, s21
	s_addc_u32 s17, s18, s22
	s_addc_u32 s18, s19, 0
	s_add_u32 s17, s17, s21
	s_addc_u32 s18, 0, s18
	v_add_co_u32 v1, s17, v1, s17
	s_delay_alu instid0(VALU_DEP_1) | instskip(SKIP_2) | instid1(SALU_CYCLE_1)
	s_cmp_lg_u32 s17, 0
	s_addc_u32 s12, s12, s18
	s_ashr_i32 s18, s3, 31
	s_add_u32 s22, s11, s18
	s_addc_u32 s23, s3, s18
	v_readfirstlane_b32 s3, v1
	s_mov_b32 s19, s18
	s_delay_alu instid0(SALU_CYCLE_1) | instskip(NEXT) | instid1(SALU_CYCLE_1)
	s_xor_b64 s[22:23], s[22:23], s[18:19]
	s_mul_i32 s21, s22, s12
	s_delay_alu instid0(VALU_DEP_1)
	s_mul_hi_u32 s24, s22, s3
	s_mul_hi_u32 s17, s22, s12
	;; [unrolled: 1-line block ×3, first 2 shown]
	s_mul_i32 s3, s23, s3
	s_add_u32 s21, s24, s21
	s_addc_u32 s17, 0, s17
	s_mul_hi_u32 s25, s23, s12
	s_add_u32 s3, s21, s3
	s_mul_i32 s12, s23, s12
	s_addc_u32 s3, s17, s26
	s_addc_u32 s17, s25, 0
	s_add_u32 s3, s3, s12
	s_addc_u32 s12, 0, s17
	s_mul_i32 s21, s20, s3
	s_add_u32 s17, s3, 1
	v_sub_co_u32 v1, s21, s22, s21
	s_mul_hi_u32 s22, s20, s3
	s_addc_u32 s24, s12, 0
	s_mul_i32 s25, s20, s12
	s_delay_alu instid0(VALU_DEP_1)
	v_sub_co_u32 v2, s26, v1, s20
	s_add_u32 s27, s3, 2
	s_addc_u32 s28, s12, 0
	s_add_i32 s22, s22, s25
	s_cmp_lg_u32 s21, 0
	v_readfirstlane_b32 s21, v2
	s_subb_u32 s22, s23, s22
	s_cmp_lg_u32 s26, 0
	s_subb_u32 s23, s22, 0
	s_delay_alu instid0(VALU_DEP_1) | instskip(SKIP_4) | instid1(SALU_CYCLE_1)
	s_cmp_ge_u32 s21, s20
	s_cselect_b32 s21, -1, 0
	s_cmp_eq_u32 s23, 0
	v_readfirstlane_b32 s23, v1
	s_cselect_b32 s21, s21, -1
	s_cmp_lg_u32 s21, 0
	s_cselect_b32 s17, s27, s17
	s_cselect_b32 s21, s28, s24
	s_cmp_ge_u32 s23, s20
	s_cselect_b32 s23, -1, 0
	s_cmp_eq_u32 s22, 0
	s_cselect_b32 s22, s23, -1
	s_delay_alu instid0(SALU_CYCLE_1) | instskip(SKIP_2) | instid1(SALU_CYCLE_1)
	s_cmp_lg_u32 s22, 0
	s_cselect_b32 s23, s21, s12
	s_cselect_b32 s22, s17, s3
	s_xor_b64 s[22:23], s[22:23], s[18:19]
	s_delay_alu instid0(SALU_CYCLE_1)
	s_sub_u32 s18, s22, s18
	s_and_not1_b32 vcc_lo, exec_lo, s2
	s_cbranch_vccnz .LBB36_6
.LBB36_5:
	v_cvt_f32_u32_e32 v1, s20
	s_sub_i32 s3, 0, s20
	s_delay_alu instid0(VALU_DEP_1) | instskip(SKIP_2) | instid1(VALU_DEP_1)
	v_rcp_iflag_f32_e32 v1, v1
	s_waitcnt_depctr 0xfff
	v_mul_f32_e32 v1, 0x4f7ffffe, v1
	v_cvt_u32_f32_e32 v1, v1
	s_delay_alu instid0(VALU_DEP_1) | instskip(NEXT) | instid1(VALU_DEP_1)
	v_readfirstlane_b32 s2, v1
	s_mul_i32 s3, s3, s2
	s_delay_alu instid0(SALU_CYCLE_1) | instskip(NEXT) | instid1(SALU_CYCLE_1)
	s_mul_hi_u32 s3, s2, s3
	s_add_i32 s2, s2, s3
	s_delay_alu instid0(SALU_CYCLE_1) | instskip(NEXT) | instid1(SALU_CYCLE_1)
	s_mul_hi_u32 s2, s11, s2
	s_mul_i32 s3, s2, s20
	s_delay_alu instid0(SALU_CYCLE_1)
	s_sub_i32 s3, s11, s3
	s_add_i32 s11, s2, 1
	s_sub_i32 s12, s3, s20
	s_cmp_ge_u32 s3, s20
	s_cselect_b32 s2, s11, s2
	s_cselect_b32 s3, s12, s3
	s_add_i32 s11, s2, 1
	s_cmp_ge_u32 s3, s20
	s_cselect_b32 s18, s11, s2
.LBB36_6:
	s_delay_alu instid0(SALU_CYCLE_1) | instskip(SKIP_3) | instid1(SALU_CYCLE_1)
	s_cmp_eq_u32 s16, s18
	s_mul_hi_u32 s2, s16, s8
	s_cselect_b32 s3, -1, 0
	s_add_i32 s2, s2, s16
	s_lshr_b32 s11, s2, s9
	s_delay_alu instid0(SALU_CYCLE_1) | instskip(NEXT) | instid1(SALU_CYCLE_1)
	s_mul_i32 s2, s11, s10
	s_cmp_eq_u32 s2, s16
	s_mul_hi_u32 s2, s18, s8
	s_cselect_b32 s12, -1, 0
	s_add_i32 s2, s2, s18
	s_delay_alu instid0(SALU_CYCLE_1) | instskip(NEXT) | instid1(SALU_CYCLE_1)
	s_lshr_b32 s2, s2, s9
	s_cmp_eq_u32 s11, s2
	s_mul_i32 s2, s2, s10
	s_cselect_b32 s17, -1, 0
	s_cmp_lg_u32 s2, s18
	s_cselect_b32 s2, -1, 0
	s_or_b32 s3, s3, s12
	s_and_b32 s2, s17, s2
	s_delay_alu instid0(SALU_CYCLE_1) | instskip(NEXT) | instid1(SALU_CYCLE_1)
	s_or_b32 s2, s3, s2
	s_and_b32 vcc_lo, exec_lo, s2
	s_cbranch_vccnz .LBB36_24
; %bb.7:
	s_load_b256 s[24:31], s[0:1], 0x20
	s_waitcnt lgkmcnt(0)
	s_mul_hi_u32 s2, s16, s24
	s_delay_alu instid0(SALU_CYCLE_1) | instskip(NEXT) | instid1(SALU_CYCLE_1)
	s_add_i32 s2, s2, s16
	s_lshr_b32 s17, s2, s25
	s_load_b32 s2, s[0:1], 0x40
	s_mul_i32 s3, s17, s26
	s_delay_alu instid0(SALU_CYCLE_1) | instskip(NEXT) | instid1(SALU_CYCLE_1)
	s_sub_i32 s3, s16, s3
	s_mul_hi_u32 s12, s3, s27
	s_delay_alu instid0(SALU_CYCLE_1) | instskip(NEXT) | instid1(SALU_CYCLE_1)
	s_add_i32 s12, s3, s12
	s_lshr_b32 s21, s12, s28
	s_delay_alu instid0(SALU_CYCLE_1) | instskip(NEXT) | instid1(SALU_CYCLE_1)
	s_mul_i32 s12, s21, s29
	s_sub_i32 s3, s3, s12
	s_delay_alu instid0(SALU_CYCLE_1) | instskip(NEXT) | instid1(SALU_CYCLE_1)
	s_mul_hi_u32 s12, s3, s30
	s_add_i32 s12, s3, s12
	s_delay_alu instid0(SALU_CYCLE_1)
	s_lshr_b32 s12, s12, s31
	s_waitcnt lgkmcnt(0)
	s_mul_i32 s2, s12, s2
	s_lshl_b32 s23, s12, 1
	s_sub_i32 s2, s3, s2
	s_mov_b32 s12, 0
	s_mul_hi_u32 s3, s2, s8
	s_delay_alu instid0(SALU_CYCLE_1) | instskip(NEXT) | instid1(SALU_CYCLE_1)
	s_add_i32 s2, s2, s3
	s_lshr_b32 s22, s2, s9
	s_delay_alu instid0(SALU_CYCLE_1) | instskip(NEXT) | instid1(SALU_CYCLE_1)
	s_lshl_b32 s2, s22, 5
	s_add_i32 s2, s2, s14
	s_delay_alu instid0(SALU_CYCLE_1) | instskip(SKIP_2) | instid1(SALU_CYCLE_1)
	s_cmp_lt_i32 s2, s4
	s_cselect_b32 s2, -1, 0
	s_add_i32 s3, s23, s15
	s_cmp_lt_i32 s3, s6
	s_cselect_b32 s3, -1, 0
	s_delay_alu instid0(SALU_CYCLE_1) | instskip(NEXT) | instid1(SALU_CYCLE_1)
	s_and_b32 s2, s2, s3
	s_and_not1_b32 vcc_lo, exec_lo, s2
	s_cbranch_vccnz .LBB36_24
; %bb.8:
	s_load_b128 s[0:3], s[0:1], 0x0
	s_lshl_b32 s18, s20, 8
	s_mov_b32 s19, s12
	s_lshl_b32 s24, s14, 1
	s_lshl_b64 s[18:19], s[18:19], 2
	s_mul_i32 s4, s17, s4
	s_add_i32 s17, s24, s15
	s_mul_i32 s21, s21, s6
	v_cvt_f32_ubyte0_e32 v4, 0
	v_cvt_f32_u32_e32 v5, s20
	s_waitcnt lgkmcnt(0)
	s_add_u32 s18, s2, s18
	s_addc_u32 s19, s3, s19
	s_add_i32 s4, s4, s14
	s_delay_alu instid0(SALU_CYCLE_1) | instskip(SKIP_4) | instid1(SALU_CYCLE_1)
	s_mul_i32 s4, s4, s5
	s_mul_i32 s5, s5, s22
	s_add_i32 s4, s4, s15
	s_lshl_b32 s5, s5, 12
	s_add_i32 s4, s4, s21
	s_add_i32 s4, s4, s23
	s_delay_alu instid0(SALU_CYCLE_1) | instskip(NEXT) | instid1(SALU_CYCLE_1)
	s_lshl_b32 s4, s4, 7
	s_add_i32 s5, s5, s4
	s_delay_alu instid0(SALU_CYCLE_1) | instskip(SKIP_1) | instid1(VALU_DEP_2)
	v_or_b32_e32 v1, s5, v0
	v_lshl_or_b32 v0, s17, 7, v0
	v_ashrrev_i32_e32 v2, 31, v1
	s_delay_alu instid0(VALU_DEP_1) | instskip(NEXT) | instid1(VALU_DEP_1)
	v_lshlrev_b64 v[1:2], 2, v[1:2]
	v_add_co_u32 v1, vcc_lo, s0, v1
	s_delay_alu instid0(VALU_DEP_2) | instskip(SKIP_1) | instid1(SALU_CYCLE_1)
	v_add_co_ci_u32_e32 v2, vcc_lo, s1, v2, vcc_lo
	s_lshl_b32 s0, s13, 6
	s_add_i32 s0, s17, s0
	global_load_b32 v3, v[1:2], off
	s_ashr_i32 s1, s0, 31
	s_delay_alu instid0(SALU_CYCLE_1) | instskip(NEXT) | instid1(SALU_CYCLE_1)
	s_lshl_b64 s[0:1], s[0:1], 3
	s_add_u32 s0, s2, s0
	s_addc_u32 s1, s3, s1
	s_add_i32 s14, s13, -1
	s_load_b64 s[0:1], s[0:1], 0x0
	v_fmac_f32_e32 v5, 0x4f800000, v4
	s_sub_i32 s6, 0, s20
	s_waitcnt lgkmcnt(0)
	v_mov_b32_e32 v8, s0
	s_delay_alu instid0(VALU_DEP_2) | instskip(SKIP_2) | instid1(VALU_DEP_2)
	v_rcp_f32_e32 v4, v5
	v_cvt_f32_u32_e32 v5, s20
	v_mov_b32_e32 v7, s1
	v_rcp_iflag_f32_e32 v5, v5
	s_waitcnt_depctr 0xfff
	v_mul_f32_e32 v4, 0x5f7ffffc, v4
	s_delay_alu instid0(VALU_DEP_1) | instskip(SKIP_1) | instid1(VALU_DEP_2)
	v_mul_f32_e32 v6, 0x2f800000, v4
	v_mul_f32_e32 v9, 0x4f7ffffe, v5
	v_trunc_f32_e32 v6, v6
	s_delay_alu instid0(VALU_DEP_1) | instskip(SKIP_1) | instid1(VALU_DEP_4)
	v_fmac_f32_e32 v4, 0xcf800000, v6
	v_cvt_u32_f32_e32 v5, v6
	v_cvt_u32_f32_e32 v6, v9
	s_delay_alu instid0(VALU_DEP_3)
	v_cvt_u32_f32_e32 v4, v4
.LBB36_9:                               ; =>This Inner Loop Header: Depth=1
	s_mul_hi_i32 s13, s14, s7
	s_mul_i32 s4, s14, s7
	s_cmp_lg_u64 s[12:13], 0
	s_mov_b32 s5, -1
                                        ; implicit-def: $sgpr0_sgpr1
	s_cbranch_scc0 .LBB36_11
; %bb.10:                               ;   in Loop: Header=BB36_9 Depth=1
	v_readfirstlane_b32 s0, v4
	v_readfirstlane_b32 s1, v5
	s_sub_u32 s5, 0, s20
	s_subb_u32 s15, 0, 0
	s_delay_alu instid0(VALU_DEP_2) | instskip(NEXT) | instid1(VALU_DEP_1)
	s_mul_hi_u32 s21, s5, s0
	s_mul_i32 s22, s5, s1
	s_mul_i32 s23, s15, s0
	s_add_i32 s21, s21, s22
	s_mul_i32 s22, s5, s0
	s_add_i32 s21, s21, s23
	s_mul_hi_u32 s23, s0, s22
	s_mul_i32 s24, s0, s21
	s_mul_hi_u32 s0, s0, s21
	s_add_u32 s23, s23, s24
	s_mul_i32 s25, s1, s22
	s_addc_u32 s0, 0, s0
	s_mul_hi_u32 s22, s1, s22
	s_mul_hi_u32 s24, s1, s21
	s_add_u32 s23, s23, s25
	s_addc_u32 s0, s0, s22
	s_mul_i32 s21, s1, s21
	s_addc_u32 s22, s24, 0
	s_add_u32 s0, s0, s21
	s_addc_u32 s21, 0, s22
	v_add_co_u32 v9, s0, v4, s0
	s_delay_alu instid0(VALU_DEP_1) | instskip(SKIP_1) | instid1(VALU_DEP_1)
	s_cmp_lg_u32 s0, 0
	s_addc_u32 s1, s1, s21
	v_readfirstlane_b32 s0, v9
	s_mul_i32 s21, s5, s1
	s_delay_alu instid0(VALU_DEP_1)
	s_mul_hi_u32 s22, s5, s0
	s_mul_i32 s15, s15, s0
	s_add_i32 s21, s22, s21
	s_mul_i32 s5, s5, s0
	s_add_i32 s21, s21, s15
	s_mul_hi_u32 s15, s1, s5
	s_mul_i32 s23, s1, s5
	s_mul_i32 s24, s0, s21
	s_mul_hi_u32 s5, s0, s5
	s_mul_hi_u32 s0, s0, s21
	s_add_u32 s5, s5, s24
	s_addc_u32 s0, 0, s0
	s_mul_hi_u32 s22, s1, s21
	s_add_u32 s5, s5, s23
	s_addc_u32 s0, s0, s15
	s_mul_i32 s5, s1, s21
	s_addc_u32 s15, s22, 0
	s_add_u32 s0, s0, s5
	s_addc_u32 s5, 0, s15
	v_add_co_u32 v9, s0, v9, s0
	s_delay_alu instid0(VALU_DEP_1) | instskip(SKIP_2) | instid1(SALU_CYCLE_1)
	s_cmp_lg_u32 s0, 0
	s_addc_u32 s5, s1, s5
	s_ashr_i32 s0, s13, 31
	s_add_u32 s22, s4, s0
	s_addc_u32 s23, s13, s0
	v_readfirstlane_b32 s13, v9
	s_mov_b32 s1, s0
	s_delay_alu instid0(SALU_CYCLE_1) | instskip(NEXT) | instid1(SALU_CYCLE_1)
	s_xor_b64 s[22:23], s[22:23], s[0:1]
	s_mul_i32 s15, s22, s5
	s_delay_alu instid0(VALU_DEP_1)
	s_mul_hi_u32 s21, s22, s13
	s_mul_hi_u32 s24, s22, s5
	s_add_u32 s15, s21, s15
	s_mul_i32 s25, s23, s13
	s_addc_u32 s21, 0, s24
	s_mul_hi_u32 s13, s23, s13
	s_mul_hi_u32 s24, s23, s5
	s_add_u32 s15, s15, s25
	s_addc_u32 s13, s21, s13
	s_mul_i32 s5, s23, s5
	s_addc_u32 s15, s24, 0
	s_add_u32 s5, s13, s5
	s_addc_u32 s13, 0, s15
	s_mul_i32 s21, s20, s5
	s_add_u32 s15, s5, 1
	v_sub_co_u32 v9, s21, s22, s21
	s_addc_u32 s22, s13, 0
	s_mul_i32 s25, s20, s13
	s_mul_hi_u32 s27, s20, s5
	s_delay_alu instid0(VALU_DEP_1)
	v_sub_co_u32 v10, s26, v9, s20
	s_add_u32 s24, s5, 2
	s_addc_u32 s28, s13, 0
	s_add_i32 s27, s27, s25
	s_cmp_lg_u32 s21, 0
	v_readfirstlane_b32 s21, v10
	s_subb_u32 s23, s23, s27
	s_cmp_lg_u32 s26, 0
	s_subb_u32 s25, s23, 0
	s_delay_alu instid0(VALU_DEP_1) | instskip(SKIP_4) | instid1(SALU_CYCLE_1)
	s_cmp_ge_u32 s21, s20
	s_cselect_b32 s21, -1, 0
	s_cmp_eq_u32 s25, 0
	v_readfirstlane_b32 s25, v9
	s_cselect_b32 s21, s21, -1
	s_cmp_lg_u32 s21, 0
	s_cselect_b32 s15, s24, s15
	s_cselect_b32 s21, s28, s22
	s_cmp_ge_u32 s25, s20
	s_cselect_b32 s22, -1, 0
	s_cmp_eq_u32 s23, 0
	s_cselect_b32 s22, s22, -1
	s_delay_alu instid0(SALU_CYCLE_1) | instskip(SKIP_4) | instid1(SALU_CYCLE_1)
	s_cmp_lg_u32 s22, 0
	s_cselect_b32 s23, s21, s13
	s_cselect_b32 s22, s15, s5
	s_mov_b32 s5, 0
	s_xor_b64 s[22:23], s[22:23], s[0:1]
	s_sub_u32 s0, s22, s0
.LBB36_11:                              ;   in Loop: Header=BB36_9 Depth=1
	s_and_not1_b32 vcc_lo, exec_lo, s5
	s_cbranch_vccnz .LBB36_13
; %bb.12:                               ;   in Loop: Header=BB36_9 Depth=1
	v_readfirstlane_b32 s0, v6
	s_delay_alu instid0(VALU_DEP_1) | instskip(NEXT) | instid1(SALU_CYCLE_1)
	s_mul_i32 s1, s6, s0
	s_mul_hi_u32 s1, s0, s1
	s_delay_alu instid0(SALU_CYCLE_1) | instskip(NEXT) | instid1(SALU_CYCLE_1)
	s_add_i32 s0, s0, s1
	s_mul_hi_u32 s0, s4, s0
	s_delay_alu instid0(SALU_CYCLE_1) | instskip(NEXT) | instid1(SALU_CYCLE_1)
	s_mul_i32 s1, s0, s20
	s_sub_i32 s1, s4, s1
	s_add_i32 s4, s0, 1
	s_sub_i32 s5, s1, s20
	s_cmp_ge_u32 s1, s20
	s_cselect_b32 s0, s4, s0
	s_cselect_b32 s1, s5, s1
	s_add_i32 s4, s0, 1
	s_cmp_ge_u32 s1, s20
	s_cselect_b32 s0, s4, s0
.LBB36_13:                              ;   in Loop: Header=BB36_9 Depth=1
	s_delay_alu instid0(SALU_CYCLE_1)
	s_cmp_lg_u32 s16, s0
	s_cbranch_scc0 .LBB36_17
; %bb.14:                               ;   in Loop: Header=BB36_9 Depth=1
	s_add_i32 s1, s14, s20
	s_mov_b32 s5, s12
	s_lshl_b32 s1, s1, 6
	s_mov_b32 s15, s16
	s_add_i32 s4, s1, s17
	s_mul_hi_u32 s1, s0, s8
	s_lshl_b64 s[4:5], s[4:5], 3
	s_delay_alu instid0(SALU_CYCLE_1) | instskip(SKIP_2) | instid1(SALU_CYCLE_1)
	s_add_u32 s4, s2, s4
	s_addc_u32 s5, s3, s5
	s_add_i32 s1, s1, s0
	s_lshr_b32 s1, s1, s9
	s_delay_alu instid0(SALU_CYCLE_1) | instskip(NEXT) | instid1(SALU_CYCLE_1)
	s_mul_i32 s13, s1, s10
	s_cmp_eq_u32 s13, s0
	s_cselect_b32 s13, -1, 0
	s_cmp_lt_u32 s1, s11
	s_cselect_b32 s1, -1, 0
	s_delay_alu instid0(SALU_CYCLE_1)
	s_or_b32 s1, s1, s13
	s_mov_b32 s13, -1
	s_and_b32 vcc_lo, exec_lo, s1
	s_mov_b32 s1, s14
	s_cbranch_vccnz .LBB36_16
; %bb.15:                               ;   in Loop: Header=BB36_9 Depth=1
	s_add_i32 s1, s14, -1
	s_mov_b32 s13, 0
	s_mov_b32 s15, s0
.LBB36_16:                              ;   in Loop: Header=BB36_9 Depth=1
	v_lshl_add_u32 v9, s14, 13, v0
	s_load_b64 s[4:5], s[4:5], 0x0
	s_delay_alu instid0(VALU_DEP_1) | instskip(NEXT) | instid1(VALU_DEP_1)
	v_ashrrev_i32_e32 v10, 31, v9
	v_lshlrev_b64 v[9:10], 2, v[9:10]
	s_delay_alu instid0(VALU_DEP_1) | instskip(NEXT) | instid1(VALU_DEP_2)
	v_add_co_u32 v9, vcc_lo, s18, v9
	v_add_co_ci_u32_e32 v10, vcc_lo, s19, v10, vcc_lo
	s_waitcnt lgkmcnt(0)
	v_max_f32_e64 v11, s4, s4
	global_load_b32 v10, v[9:10], off
	v_max_f32_e32 v9, v8, v8
	s_delay_alu instid0(VALU_DEP_1) | instskip(NEXT) | instid1(VALU_DEP_1)
	v_max_f32_e32 v9, v9, v11
	v_sub_f32_e32 v12, v8, v9
	s_delay_alu instid0(VALU_DEP_1) | instskip(NEXT) | instid1(VALU_DEP_1)
	v_dual_mul_f32 v14, 0x3fb8aa3b, v12 :: v_dual_sub_f32 v11, s4, v9
	v_rndne_f32_e32 v18, v14
	s_delay_alu instid0(VALU_DEP_2) | instskip(SKIP_2) | instid1(VALU_DEP_4)
	v_mul_f32_e32 v13, 0x3fb8aa3b, v11
	v_fma_f32 v17, 0x3fb8aa3b, v12, -v14
	v_cmp_ngt_f32_e32 vcc_lo, 0xc2ce8ed0, v11
	v_sub_f32_e32 v14, v14, v18
	s_delay_alu instid0(VALU_DEP_4) | instskip(SKIP_2) | instid1(VALU_DEP_3)
	v_fma_f32 v15, 0x3fb8aa3b, v11, -v13
	v_rndne_f32_e32 v16, v13
	v_fmac_f32_e32 v17, 0x32a5705f, v12
	v_fmac_f32_e32 v15, 0x32a5705f, v11
	s_delay_alu instid0(VALU_DEP_2) | instskip(NEXT) | instid1(VALU_DEP_1)
	v_dual_sub_f32 v13, v13, v16 :: v_dual_add_f32 v14, v14, v17
	v_add_f32_e32 v13, v13, v15
	s_delay_alu instid0(VALU_DEP_2) | instskip(SKIP_2) | instid1(VALU_DEP_3)
	v_exp_f32_e32 v14, v14
	v_cvt_i32_f32_e32 v15, v16
	v_cvt_i32_f32_e32 v16, v18
	v_exp_f32_e32 v13, v13
	s_waitcnt_depctr 0xfff
	v_ldexp_f32 v14, v14, v16
	v_ldexp_f32 v13, v13, v15
	s_delay_alu instid0(VALU_DEP_1) | instskip(SKIP_1) | instid1(VALU_DEP_4)
	v_cndmask_b32_e32 v13, 0, v13, vcc_lo
	v_cmp_ngt_f32_e32 vcc_lo, 0xc2ce8ed0, v12
	v_cndmask_b32_e32 v14, 0, v14, vcc_lo
	v_cmp_nlt_f32_e32 vcc_lo, 0x42b17218, v11
	s_delay_alu instid0(VALU_DEP_4) | instskip(SKIP_1) | instid1(VALU_DEP_4)
	v_cndmask_b32_e32 v13, 0x7f800000, v13, vcc_lo
	v_cmp_nlt_f32_e32 vcc_lo, 0x42b17218, v12
	v_cndmask_b32_e32 v14, 0x7f800000, v14, vcc_lo
	v_cmp_le_f32_e32 vcc_lo, 0xc1a00000, v11
	s_delay_alu instid0(VALU_DEP_4) | instskip(SKIP_1) | instid1(VALU_DEP_4)
	v_cndmask_b32_e32 v11, 0, v13, vcc_lo
	v_cmp_le_f32_e32 vcc_lo, 0xc1a00000, v12
	v_cndmask_b32_e32 v12, 0, v14, vcc_lo
	s_waitcnt vmcnt(0)
	s_delay_alu instid0(VALU_DEP_3) | instskip(NEXT) | instid1(VALU_DEP_1)
	v_mul_f32_e32 v10, v10, v11
	v_dual_mul_f32 v11, s5, v11 :: v_dual_fmac_f32 v10, v3, v12
	s_delay_alu instid0(VALU_DEP_1)
	v_fmac_f32_e32 v11, v7, v12
	s_cbranch_execz .LBB36_18
	s_branch .LBB36_19
.LBB36_17:                              ;   in Loop: Header=BB36_9 Depth=1
                                        ; implicit-def: $sgpr13
                                        ; implicit-def: $vgpr10
                                        ; implicit-def: $vgpr9
                                        ; implicit-def: $vgpr11
                                        ; implicit-def: $sgpr1
                                        ; implicit-def: $sgpr15
.LBB36_18:                              ;   in Loop: Header=BB36_9 Depth=1
	v_mov_b32_e32 v11, v7
	s_waitcnt vmcnt(0)
	v_dual_mov_b32 v9, v8 :: v_dual_mov_b32 v10, v3
	s_add_i32 s1, s14, -1
	s_mov_b32 s13, 0
	s_mov_b32 s15, s16
.LBB36_19:                              ;   in Loop: Header=BB36_9 Depth=1
	s_and_not1_b32 vcc_lo, exec_lo, s13
	s_cbranch_vccz .LBB36_23
; %bb.20:                               ;   in Loop: Header=BB36_9 Depth=1
	v_dual_mov_b32 v7, v11 :: v_dual_mov_b32 v8, v9
	s_waitcnt vmcnt(0)
	v_mov_b32_e32 v3, v10
	s_mov_b32 s16, s15
	s_mov_b32 s14, s1
	s_branch .LBB36_9
.LBB36_21:
                                        ; implicit-def: $sgpr16_sgpr17
	s_load_b128 s[8:11], s[0:1], 0x44
	s_branch .LBB36_2
.LBB36_22:
                                        ; implicit-def: $sgpr18_sgpr19
	s_branch .LBB36_5
.LBB36_23:
	v_div_scale_f32 v0, null, v11, v11, v10
	s_waitcnt vmcnt(0)
	s_delay_alu instid0(VALU_DEP_1) | instskip(SKIP_2) | instid1(VALU_DEP_1)
	v_rcp_f32_e32 v3, v0
	s_waitcnt_depctr 0xfff
	v_fma_f32 v4, -v0, v3, 1.0
	v_fmac_f32_e32 v3, v4, v3
	v_div_scale_f32 v4, vcc_lo, v10, v11, v10
	s_delay_alu instid0(VALU_DEP_1) | instskip(NEXT) | instid1(VALU_DEP_1)
	v_mul_f32_e32 v5, v4, v3
	v_fma_f32 v6, -v0, v5, v4
	s_delay_alu instid0(VALU_DEP_1) | instskip(NEXT) | instid1(VALU_DEP_1)
	v_fmac_f32_e32 v5, v6, v3
	v_fma_f32 v0, -v0, v5, v4
	s_delay_alu instid0(VALU_DEP_1) | instskip(NEXT) | instid1(VALU_DEP_1)
	v_div_fmas_f32 v0, v0, v3, v5
	v_div_fixup_f32 v0, v0, v11, v10
	global_store_b32 v[1:2], v0, off
.LBB36_24:
	s_nop 0
	s_sendmsg sendmsg(MSG_DEALLOC_VGPRS)
	s_endpgm
	.section	.rodata,"a",@progbits
	.p2align	6, 0x0
	.amdhsa_kernel _ZL33flash_attn_stream_k_fixup_generalILi128ELi32ELi2EEvPfPK15HIP_vector_typeIfLj2EEiiiiS1_IjLj3EES5_S5_S5_
		.amdhsa_group_segment_fixed_size 0
		.amdhsa_private_segment_fixed_size 0
		.amdhsa_kernarg_size 336
		.amdhsa_user_sgpr_count 13
		.amdhsa_user_sgpr_dispatch_ptr 0
		.amdhsa_user_sgpr_queue_ptr 0
		.amdhsa_user_sgpr_kernarg_segment_ptr 1
		.amdhsa_user_sgpr_dispatch_id 0
		.amdhsa_user_sgpr_private_segment_size 0
		.amdhsa_wavefront_size32 1
		.amdhsa_uses_dynamic_stack 0
		.amdhsa_enable_private_segment 0
		.amdhsa_system_sgpr_workgroup_id_x 1
		.amdhsa_system_sgpr_workgroup_id_y 1
		.amdhsa_system_sgpr_workgroup_id_z 1
		.amdhsa_system_sgpr_workgroup_info 0
		.amdhsa_system_vgpr_workitem_id 0
		.amdhsa_next_free_vgpr 19
		.amdhsa_next_free_sgpr 32
		.amdhsa_reserve_vcc 1
		.amdhsa_float_round_mode_32 0
		.amdhsa_float_round_mode_16_64 0
		.amdhsa_float_denorm_mode_32 3
		.amdhsa_float_denorm_mode_16_64 3
		.amdhsa_dx10_clamp 1
		.amdhsa_ieee_mode 1
		.amdhsa_fp16_overflow 0
		.amdhsa_workgroup_processor_mode 1
		.amdhsa_memory_ordered 1
		.amdhsa_forward_progress 0
		.amdhsa_shared_vgpr_count 0
		.amdhsa_exception_fp_ieee_invalid_op 0
		.amdhsa_exception_fp_denorm_src 0
		.amdhsa_exception_fp_ieee_div_zero 0
		.amdhsa_exception_fp_ieee_overflow 0
		.amdhsa_exception_fp_ieee_underflow 0
		.amdhsa_exception_fp_ieee_inexact 0
		.amdhsa_exception_int_div_zero 0
	.end_amdhsa_kernel
	.section	.text._ZL33flash_attn_stream_k_fixup_generalILi128ELi32ELi2EEvPfPK15HIP_vector_typeIfLj2EEiiiiS1_IjLj3EES5_S5_S5_,"axG",@progbits,_ZL33flash_attn_stream_k_fixup_generalILi128ELi32ELi2EEvPfPK15HIP_vector_typeIfLj2EEiiiiS1_IjLj3EES5_S5_S5_,comdat
.Lfunc_end36:
	.size	_ZL33flash_attn_stream_k_fixup_generalILi128ELi32ELi2EEvPfPK15HIP_vector_typeIfLj2EEiiiiS1_IjLj3EES5_S5_S5_, .Lfunc_end36-_ZL33flash_attn_stream_k_fixup_generalILi128ELi32ELi2EEvPfPK15HIP_vector_typeIfLj2EEiiiiS1_IjLj3EES5_S5_S5_
                                        ; -- End function
	.section	.AMDGPU.csdata,"",@progbits
; Kernel info:
; codeLenInByte = 3224
; NumSgprs: 34
; NumVgprs: 19
; ScratchSize: 0
; MemoryBound: 0
; FloatMode: 240
; IeeeMode: 1
; LDSByteSize: 0 bytes/workgroup (compile time only)
; SGPRBlocks: 4
; VGPRBlocks: 2
; NumSGPRsForWavesPerEU: 34
; NumVGPRsForWavesPerEU: 19
; Occupancy: 16
; WaveLimiterHint : 0
; COMPUTE_PGM_RSRC2:SCRATCH_EN: 0
; COMPUTE_PGM_RSRC2:USER_SGPR: 13
; COMPUTE_PGM_RSRC2:TRAP_HANDLER: 0
; COMPUTE_PGM_RSRC2:TGID_X_EN: 1
; COMPUTE_PGM_RSRC2:TGID_Y_EN: 1
; COMPUTE_PGM_RSRC2:TGID_Z_EN: 1
; COMPUTE_PGM_RSRC2:TIDIG_COMP_CNT: 0
	.section	.text._ZL15flash_attn_tileILi128ELi128ELi16ELi2ELb0EEvPKcS1_S1_S1_S1_PKiPfP15HIP_vector_typeIfLj2EEffffjfiS5_IjLj3EEiiiiiiiiiiiliiliiiiil,"axG",@progbits,_ZL15flash_attn_tileILi128ELi128ELi16ELi2ELb0EEvPKcS1_S1_S1_S1_PKiPfP15HIP_vector_typeIfLj2EEffffjfiS5_IjLj3EEiiiiiiiiiiiliiliiiiil,comdat
	.globl	_ZL15flash_attn_tileILi128ELi128ELi16ELi2ELb0EEvPKcS1_S1_S1_S1_PKiPfP15HIP_vector_typeIfLj2EEffffjfiS5_IjLj3EEiiiiiiiiiiiliiliiiiil ; -- Begin function _ZL15flash_attn_tileILi128ELi128ELi16ELi2ELb0EEvPKcS1_S1_S1_S1_PKiPfP15HIP_vector_typeIfLj2EEffffjfiS5_IjLj3EEiiiiiiiiiiiliiliiiiil
	.p2align	8
	.type	_ZL15flash_attn_tileILi128ELi128ELi16ELi2ELb0EEvPKcS1_S1_S1_S1_PKiPfP15HIP_vector_typeIfLj2EEffffjfiS5_IjLj3EEiiiiiiiiiiiliiliiiiil,@function
_ZL15flash_attn_tileILi128ELi128ELi16ELi2ELb0EEvPKcS1_S1_S1_S1_PKiPfP15HIP_vector_typeIfLj2EEffffjfiS5_IjLj3EEiiiiiiiiiiiliiliiiiil: ; @_ZL15flash_attn_tileILi128ELi128ELi16ELi2ELb0EEvPKcS1_S1_S1_S1_PKiPfP15HIP_vector_typeIfLj2EEffffjfiS5_IjLj3EEiiiiiiiiiiiliiliiiiil
; %bb.0:
	s_clause 0x1
	s_load_b128 s[52:55], s[0:1], 0x5c
	s_load_b64 s[58:59], s[0:1], 0x80
	s_mov_b64 s[60:61], 0
	s_waitcnt lgkmcnt(0)
	s_lshr_b32 s2, s55, 31
	s_delay_alu instid0(SALU_CYCLE_1) | instskip(NEXT) | instid1(SALU_CYCLE_1)
	s_add_i32 s2, s55, s2
	s_ashr_i32 s2, s2, 1
	s_delay_alu instid0(SALU_CYCLE_1) | instskip(SKIP_1) | instid1(VALU_DEP_1)
	v_cvt_f32_u32_e32 v1, s2
	s_sub_i32 s4, 0, s2
	v_rcp_iflag_f32_e32 v1, v1
	s_waitcnt_depctr 0xfff
	v_mul_f32_e32 v1, 0x4f7ffffe, v1
	s_delay_alu instid0(VALU_DEP_1) | instskip(NEXT) | instid1(VALU_DEP_1)
	v_cvt_u32_f32_e32 v1, v1
	v_readfirstlane_b32 s3, v1
	s_delay_alu instid0(VALU_DEP_1) | instskip(NEXT) | instid1(SALU_CYCLE_1)
	s_mul_i32 s4, s4, s3
	s_mul_hi_u32 s4, s3, s4
	s_delay_alu instid0(SALU_CYCLE_1) | instskip(NEXT) | instid1(SALU_CYCLE_1)
	s_add_i32 s3, s3, s4
	s_mul_hi_u32 s3, s15, s3
	s_delay_alu instid0(SALU_CYCLE_1) | instskip(SKIP_2) | instid1(SALU_CYCLE_1)
	s_mul_i32 s4, s3, s2
	s_add_i32 s5, s3, 1
	s_sub_i32 s4, s15, s4
	s_sub_i32 s6, s4, s2
	s_cmp_ge_u32 s4, s2
	s_cselect_b32 s3, s5, s3
	s_cselect_b32 s4, s6, s4
	s_add_i32 s5, s3, 1
	s_cmp_ge_u32 s4, s2
	s_cselect_b32 s62, s5, s3
	s_abs_i32 s2, s59
	s_abs_i32 s7, s55
	v_cvt_f32_u32_e32 v1, s2
	s_sub_i32 s4, 0, s2
	s_lshl_b32 s5, s15, 1
	s_mul_i32 s6, s62, s55
	s_delay_alu instid0(VALU_DEP_1) | instskip(SKIP_3) | instid1(VALU_DEP_1)
	v_rcp_iflag_f32_e32 v1, v1
	s_sub_i32 s56, s5, s6
	s_waitcnt_depctr 0xfff
	v_mul_f32_e32 v1, 0x4f7ffffe, v1
	v_cvt_u32_f32_e32 v1, v1
	s_delay_alu instid0(VALU_DEP_1) | instskip(NEXT) | instid1(VALU_DEP_1)
	v_readfirstlane_b32 s3, v1
	s_mul_i32 s4, s4, s3
	s_delay_alu instid0(SALU_CYCLE_1) | instskip(NEXT) | instid1(SALU_CYCLE_1)
	s_mul_hi_u32 s4, s3, s4
	s_add_i32 s3, s3, s4
	s_xor_b32 s4, s55, s59
	s_mul_hi_u32 s3, s7, s3
	s_ashr_i32 s4, s4, 31
	s_mul_i32 s5, s3, s2
	s_add_i32 s6, s3, 1
	s_sub_i32 s5, s7, s5
	s_delay_alu instid0(SALU_CYCLE_1)
	s_sub_i32 s7, s5, s2
	s_cmp_ge_u32 s5, s2
	s_cselect_b32 s3, s6, s3
	s_cselect_b32 s5, s7, s5
	s_add_i32 s6, s3, 1
	s_cmp_ge_u32 s5, s2
	s_cselect_b32 s2, s6, s3
	s_delay_alu instid0(SALU_CYCLE_1) | instskip(NEXT) | instid1(SALU_CYCLE_1)
	s_xor_b32 s2, s2, s4
	s_sub_i32 s9, s2, s4
	s_clause 0x1
	s_load_b512 s[36:51], s[0:1], 0x0
	s_load_b64 s[2:3], s[0:1], 0xb8
	s_abs_i32 s8, s9
	s_delay_alu instid0(SALU_CYCLE_1) | instskip(NEXT) | instid1(VALU_DEP_1)
	v_cvt_f32_u32_e32 v1, s8
	v_rcp_iflag_f32_e32 v1, v1
	s_waitcnt_depctr 0xfff
	v_mul_f32_e32 v1, 0x4f7ffffe, v1
	s_waitcnt lgkmcnt(0)
	s_cmp_eq_u64 s[42:43], 0
	s_delay_alu instid0(VALU_DEP_1) | instskip(NEXT) | instid1(VALU_DEP_1)
	v_cvt_u32_f32_e32 v1, v1
	v_readfirstlane_b32 s10, v1
	s_cbranch_scc1 .LBB37_2
; %bb.1:
	s_abs_i32 s2, s2
	s_abs_i32 s6, s62
	v_cvt_f32_u32_e32 v1, s2
	s_sub_i32 s5, 0, s2
	s_delay_alu instid0(VALU_DEP_1) | instskip(SKIP_2) | instid1(VALU_DEP_1)
	v_rcp_iflag_f32_e32 v1, v1
	s_waitcnt_depctr 0xfff
	v_mul_f32_e32 v1, 0x4f7ffffe, v1
	v_cvt_u32_f32_e32 v1, v1
	s_delay_alu instid0(VALU_DEP_1) | instskip(NEXT) | instid1(VALU_DEP_1)
	v_readfirstlane_b32 s4, v1
	s_mul_i32 s5, s5, s4
	s_delay_alu instid0(SALU_CYCLE_1) | instskip(NEXT) | instid1(SALU_CYCLE_1)
	s_mul_hi_u32 s5, s4, s5
	s_add_i32 s7, s4, s5
	s_load_b64 s[4:5], s[0:1], 0xc8
	s_mul_hi_u32 s7, s6, s7
	s_delay_alu instid0(SALU_CYCLE_1) | instskip(NEXT) | instid1(SALU_CYCLE_1)
	s_mul_i32 s7, s7, s2
	s_sub_i32 s6, s6, s7
	s_ashr_i32 s7, s62, 31
	s_sub_i32 s11, s6, s2
	s_cmp_ge_u32 s6, s2
	s_cselect_b32 s6, s11, s6
	s_delay_alu instid0(SALU_CYCLE_1) | instskip(SKIP_2) | instid1(SALU_CYCLE_1)
	s_sub_i32 s11, s6, s2
	s_cmp_ge_u32 s6, s2
	s_cselect_b32 s2, s11, s6
	s_xor_b32 s2, s2, s7
	s_delay_alu instid0(SALU_CYCLE_1)
	s_sub_i32 s2, s2, s7
	s_waitcnt lgkmcnt(0)
	s_mul_i32 s5, s2, s5
	s_mul_hi_u32 s6, s2, s4
	s_ashr_i32 s7, s2, 31
	s_add_i32 s5, s6, s5
	s_mul_i32 s7, s7, s4
	s_mul_i32 s2, s2, s4
	s_add_i32 s5, s5, s7
	s_add_u32 s60, s42, s2
	s_addc_u32 s61, s43, s5
.LBB37_2:
	v_bfe_u32 v4, v0, 10, 10
	s_lshl_b32 s43, s13, 4
	s_load_b128 s[4:7], s[0:1], 0x70
	v_and_b32_e32 v191, 0x3ff, v0
	s_delay_alu instid0(VALU_DEP_2) | instskip(SKIP_1) | instid1(VALU_DEP_3)
	v_lshlrev_b32_e32 v5, 2, v4
	v_lshlrev_b32_e32 v22, 8, v4
	;; [unrolled: 1-line block ×4, first 2 shown]
	s_delay_alu instid0(VALU_DEP_4) | instskip(SKIP_1) | instid1(VALU_DEP_3)
	v_or_b32_e32 v20, 3, v5
	v_or_b32_e32 v19, 2, v5
	v_add_lshl_u32 v22, v22, v21, 2
	s_delay_alu instid0(VALU_DEP_3) | instskip(NEXT) | instid1(VALU_DEP_3)
	v_lshrrev_b32_e32 v184, 1, v20
	v_lshrrev_b32_e32 v186, 1, v19
	v_lshlrev_b32_e32 v19, 6, v19
	v_lshlrev_b32_e32 v24, 6, v20
	v_add_nc_u32_e32 v23, 0x6800, v22
	v_add_nc_u32_e32 v185, s43, v184
	;; [unrolled: 1-line block ×3, first 2 shown]
	s_waitcnt lgkmcnt(0)
	s_mul_i32 s2, s62, s6
	s_mul_i32 s6, s56, s5
	s_ashr_i32 s7, s2, 31
	v_mul_hi_u32 v3, v185, s52
	v_mul_hi_u32 v2, v187, s52
	s_add_u32 s2, s36, s2
	s_addc_u32 s7, s37, s7
	s_ashr_i32 s11, s6, 31
	s_add_u32 s2, s2, s6
	s_addc_u32 s6, s7, s11
	s_ashr_i32 s7, s4, 31
	v_add_nc_u32_e32 v3, v185, v3
	v_add_nc_u32_e32 v2, v187, v2
	v_alignbit_b32 v11, s7, s4, 2
	s_lshr_b32 s4, s7, 2
	v_add_lshl_u32 v25, v19, v21, 2
	v_lshrrev_b32_e32 v3, s53, v3
	v_lshrrev_b32_e32 v2, s53, v2
	s_delay_alu instid0(VALU_DEP_2) | instskip(NEXT) | instid1(VALU_DEP_2)
	v_mul_lo_u32 v3, v3, s54
	v_mul_lo_u32 v7, v2, s54
	s_delay_alu instid0(VALU_DEP_2) | instskip(NEXT) | instid1(VALU_DEP_2)
	v_sub_nc_u32_e32 v14, v185, v3
	v_sub_nc_u32_e32 v13, v187, v7
	s_delay_alu instid0(VALU_DEP_2) | instskip(SKIP_1) | instid1(VALU_DEP_3)
	v_mad_u64_u32 v[9:10], null, v11, v14, 0
	v_lshlrev_b32_e32 v189, 1, v4
	v_mad_u64_u32 v[7:8], null, v11, v13, 0
	s_delay_alu instid0(VALU_DEP_3) | instskip(NEXT) | instid1(VALU_DEP_3)
	v_mov_b32_e32 v0, v10
	v_add_nc_u32_e32 v190, s43, v189
	s_delay_alu instid0(VALU_DEP_1) | instskip(NEXT) | instid1(VALU_DEP_1)
	v_mul_hi_u32 v1, v190, s52
	v_add_nc_u32_e32 v1, v190, v1
	s_delay_alu instid0(VALU_DEP_1) | instskip(NEXT) | instid1(VALU_DEP_1)
	v_lshrrev_b32_e32 v1, s53, v1
	v_mul_lo_u32 v1, v1, s54
	s_delay_alu instid0(VALU_DEP_1) | instskip(NEXT) | instid1(VALU_DEP_1)
	v_sub_nc_u32_e32 v6, v190, v1
	v_mad_u64_u32 v[1:2], null, v11, v6, 0
	s_delay_alu instid0(VALU_DEP_1) | instskip(NEXT) | instid1(VALU_DEP_1)
	v_mad_u64_u32 v[11:12], null, s4, v6, v[2:3]
	v_dual_mov_b32 v3, v8 :: v_dual_mov_b32 v2, v11
	s_delay_alu instid0(VALU_DEP_1) | instskip(NEXT) | instid1(VALU_DEP_4)
	v_mad_u64_u32 v[10:11], null, s4, v13, v[3:4]
	v_mad_u64_u32 v[11:12], null, s4, v14, v[0:1]
	s_delay_alu instid0(VALU_DEP_3) | instskip(SKIP_2) | instid1(SALU_CYCLE_1)
	v_lshlrev_b64 v[0:1], 2, v[1:2]
	s_ashr_i32 s4, s5, 31
	s_and_b32 s5, s5, -4
	s_add_u32 s5, s2, s5
	s_addc_u32 s4, s6, s4
	s_delay_alu instid0(VALU_DEP_1)
	v_add_co_u32 v2, vcc_lo, s2, v0
	v_add_co_ci_u32_e32 v3, vcc_lo, s6, v1, vcc_lo
	v_mov_b32_e32 v8, v10
	v_mov_b32_e32 v10, v11
	v_add_co_u32 v11, vcc_lo, s5, v0
	v_add_co_ci_u32_e32 v12, vcc_lo, s4, v1, vcc_lo
	v_add_co_u32 v0, vcc_lo, v2, v17
	v_add_co_ci_u32_e32 v1, vcc_lo, 0, v3, vcc_lo
	s_delay_alu instid0(VALU_DEP_4)
	v_add_co_u32 v11, vcc_lo, v11, v17
	v_lshlrev_b64 v[13:14], 2, v[7:8]
	v_add_co_ci_u32_e32 v12, vcc_lo, 0, v12, vcc_lo
	v_lshlrev_b64 v[15:16], 2, v[9:10]
	s_clause 0x1
	global_load_b128 v[0:3], v[0:1], off
	global_load_b128 v[7:10], v[11:12], off
	v_add_co_u32 v11, vcc_lo, s2, v13
	v_add_co_ci_u32_e32 v12, vcc_lo, s6, v14, vcc_lo
	v_add_co_u32 v13, vcc_lo, s5, v15
	v_add_co_ci_u32_e32 v14, vcc_lo, s4, v16, vcc_lo
	s_delay_alu instid0(VALU_DEP_4) | instskip(NEXT) | instid1(VALU_DEP_4)
	v_add_co_u32 v11, vcc_lo, v11, v17
	v_add_co_ci_u32_e32 v12, vcc_lo, 0, v12, vcc_lo
	s_delay_alu instid0(VALU_DEP_4) | instskip(NEXT) | instid1(VALU_DEP_4)
	v_add_co_u32 v15, vcc_lo, v13, v17
	v_add_co_ci_u32_e32 v16, vcc_lo, 0, v14, vcc_lo
	s_clause 0x1
	global_load_b128 v[11:14], v[11:12], off
	global_load_b128 v[15:18], v[15:16], off
	s_load_b32 s2, s[0:1], 0x40
	s_cmp_eq_u64 s[46:47], 0
	s_waitcnt vmcnt(3) lgkmcnt(0)
	v_fma_mixlo_f16 v19, v0, s2, 0
	v_fma_mixlo_f16 v20, v2, s2, 0
	s_waitcnt vmcnt(2)
	v_fma_mixlo_f16 v22, v9, s2, 0
	v_add_lshl_u32 v9, v24, v21, 2
	v_fma_mixlo_f16 v21, v7, s2, 0
	v_fma_mixhi_f16 v19, v1, s2, 0
	v_fma_mixhi_f16 v20, v3, s2, 0
	;; [unrolled: 1-line block ×3, first 2 shown]
	s_delay_alu instid0(VALU_DEP_4)
	v_fma_mixhi_f16 v21, v8, s2, 0
	s_waitcnt vmcnt(1)
	v_fma_mixlo_f16 v1, v13, s2, 0
	v_fma_mixlo_f16 v0, v11, s2, 0
	s_waitcnt vmcnt(0)
	v_fma_mixlo_f16 v3, v17, s2, 0
	v_fma_mixlo_f16 v2, v15, s2, 0
	v_fma_mixhi_f16 v1, v14, s2, 0
	v_fma_mixhi_f16 v0, v12, s2, 0
	s_delay_alu instid0(VALU_DEP_4) | instskip(NEXT) | instid1(VALU_DEP_4)
	v_fma_mixhi_f16 v3, v18, s2, 0
	v_fma_mixhi_f16 v2, v16, s2, 0
	ds_store_2addr_b64 v23, v[19:20], v[21:22] offset1:32
	ds_store_b64 v25, v[0:1] offset:26624
	ds_store_b64 v9, v[2:3] offset:26624
	s_waitcnt lgkmcnt(0)
	s_barrier
	buffer_gl0_inv
	s_cbranch_scc1 .LBB37_4
; %bb.3:
	s_load_b32 s2, s[0:1], 0xd0
	s_mov_b32 s5, 0
	s_waitcnt lgkmcnt(0)
	s_mul_i32 s2, s2, s62
	s_delay_alu instid0(SALU_CYCLE_1) | instskip(NEXT) | instid1(SALU_CYCLE_1)
	s_add_i32 s4, s2, s13
	s_lshl_b64 s[4:5], s[4:5], 2
	s_delay_alu instid0(SALU_CYCLE_1)
	s_add_u32 s4, s46, s4
	s_addc_u32 s5, s47, s5
	s_load_b32 s58, s[4:5], 0x0
.LBB37_4:
	v_mbcnt_lo_u32_b32 v192, -1, 0
	s_lshl_b32 s57, s14, 7
	s_waitcnt lgkmcnt(0)
	s_cmp_lt_i32 s57, s58
	s_cbranch_scc1 .LBB37_6
; %bb.5:
	v_mbcnt_lo_u32_b32 v7, -1, 0
	v_mov_b32_e32 v193, 32
	s_mov_b32 s2, 0
	s_mov_b32 s4, 0xfeffffff
	s_delay_alu instid0(VALU_DEP_2)
	v_xor_b32_e32 v198, 16, v7
	v_xor_b32_e32 v197, 8, v7
	;; [unrolled: 1-line block ×5, first 2 shown]
	s_branch .LBB37_7
.LBB37_6:
	s_mov_b32 s2, -1
                                        ; implicit-def: $sgpr4
                                        ; implicit-def: $vgpr7
                                        ; implicit-def: $vgpr193
                                        ; implicit-def: $vgpr198
                                        ; implicit-def: $vgpr197
                                        ; implicit-def: $vgpr196
                                        ; implicit-def: $vgpr195
                                        ; implicit-def: $vgpr194
.LBB37_7:
	s_delay_alu instid0(SALU_CYCLE_1) | instskip(SKIP_2) | instid1(VALU_DEP_3)
	v_cndmask_b32_e64 v0, 0, 1, s2
	v_dual_mov_b32 v3, s4 :: v_dual_lshlrev_b32 v188, 2, v191
	v_dual_mov_b32 v223, s2 :: v_dual_mov_b32 v34, s2
	v_cmp_ne_u32_e32 vcc_lo, 1, v0
	v_dual_mov_b32 v2, s4 :: v_dual_mov_b32 v1, s4
	v_dual_mov_b32 v0, s4 :: v_dual_mov_b32 v225, s2
	;; [unrolled: 1-line block ×6, first 2 shown]
	v_mov_b32_e32 v28, s2
	s_cbranch_vccnz .LBB37_11
; %bb.8:
	s_clause 0x1
	s_load_b128 s[4:7], s[0:1], 0x98
	s_load_b64 s[12:13], s[0:1], 0x8c
	s_sub_i32 s2, 0, s8
	s_abs_i32 s11, s56
	s_mul_i32 s2, s2, s10
	v_lshrrev_b32_e32 v0, 3, v191
	s_mul_hi_u32 s2, s10, s2
	s_ashr_i32 s15, s56, 31
	s_add_i32 s10, s10, s2
	s_ashr_i32 s2, s3, 1
	s_mul_hi_u32 s3, s11, s10
	s_ashr_i32 s10, s62, 31
	v_dual_mov_b32 v193, 32 :: v_dual_add_nc_u32 v0, v0, v5
	v_add3_u32 v5, s43, v189, 1
	s_ashr_i32 s9, s9, 31
	s_load_b64 s[16:17], s[0:1], 0xa8
	s_mul_i32 s18, s3, s8
	v_dual_mov_b32 v28, 0 :: v_dual_and_b32 v17, 28, v188
	s_waitcnt lgkmcnt(0)
	s_ashr_i32 s59, s6, 2
	s_mul_i32 s5, s62, s5
	s_mul_hi_u32 s6, s62, s4
	s_ashr_i32 s63, s12, 2
	s_mul_i32 s12, s10, s4
	s_add_i32 s5, s6, s5
	s_mul_i32 s4, s62, s4
	s_add_i32 s5, s5, s12
	s_add_u32 s4, s38, s4
	s_addc_u32 s5, s39, s5
	s_xor_b32 s6, s15, s9
	s_sub_i32 s9, s11, s18
	s_add_i32 s11, s3, 1
	s_sub_i32 s12, s9, s8
	v_mul_hi_u32 v3, s52, v5
	s_cmp_ge_u32 s9, s8
	v_dual_mov_b32 v29, 0 :: v_dual_lshlrev_b32 v2, 2, v17
	s_cselect_b32 s3, s11, s3
	s_cselect_b32 s9, s12, s9
	s_add_i32 s11, s3, 1
	s_cmp_ge_u32 s9, s8
	v_mul_lo_u32 v1, s63, v0
	s_cselect_b32 s3, s11, s3
	v_mad_u32_u24 v199, 0x90, v0, v2
	v_dual_mov_b32 v31, 0 :: v_dual_add_nc_u32 v0, v5, v3
	s_xor_b32 s3, s3, s6
	s_mul_i32 s8, s62, s17
	s_sub_i32 s3, s3, s6
	s_delay_alu instid0(VALU_DEP_1)
	v_lshrrev_b32_e32 v0, s53, v0
	s_mul_i32 s9, s3, s13
	s_mul_hi_u32 s6, s62, s16
	s_ashr_i32 s11, s9, 31
	s_add_u32 s64, s4, s9
	s_mul_i32 s10, s10, s16
	s_addc_u32 s65, s5, s11
	s_add_i32 s4, s6, s8
	v_mul_lo_u32 v0, v0, s54
	s_mul_i32 s5, s62, s16
	s_add_i32 s4, s4, s10
	s_mul_i32 s3, s3, s7
	v_lshrrev_b32_e32 v3, 4, v191
	s_add_u32 s5, s40, s5
	s_addc_u32 s4, s41, s4
	s_ashr_i32 s6, s3, 31
	s_add_u32 s52, s5, s3
	s_addc_u32 s66, s4, s6
	s_lshl_b32 s3, s63, 5
	v_dual_mov_b32 v34, 0 :: v_dual_add_nc_u32 v13, v3, v189
	v_add_nc_u32_e32 v7, s3, v1
	v_sub_nc_u32_e32 v0, v5, v0
	v_ashrrev_i32_e32 v2, 31, v1
	s_delay_alu instid0(VALU_DEP_4)
	v_mul_lo_u32 v3, s59, v13
	v_and_b32_e32 v18, 60, v188
	v_mov_b32_e32 v30, 0
	v_mul_lo_u32 v206, v0, s2
	v_dual_mov_b32 v0, 0xfeffffff :: v_dual_add_nc_u32 v9, s3, v7
	v_lshlrev_b64 v[168:169], 2, v[1:2]
	v_dual_mov_b32 v1, 0xfeffffff :: v_dual_lshlrev_b32 v14, 2, v18
	v_mov_b32_e32 v225, 0
	s_delay_alu instid0(VALU_DEP_4) | instskip(SKIP_1) | instid1(VALU_DEP_3)
	v_dual_mov_b32 v2, 0xfeffffff :: v_dual_add_nc_u32 v11, s3, v9
	s_lshl_b32 s3, s59, 4
	v_lshl_or_b32 v207, v13, 8, v14
	v_dual_mov_b32 v224, 0 :: v_dual_add_nc_u32 v5, s3, v3
	v_lshlrev_b32_e32 v4, 10, v4
	v_mov_b32_e32 v226, 0
	v_ashrrev_i32_e32 v8, 31, v7
	s_delay_alu instid0(VALU_DEP_4) | instskip(SKIP_3) | instid1(VALU_DEP_4)
	v_add_nc_u32_e32 v13, s3, v5
	v_ashrrev_i32_e32 v10, 31, v9
	v_ashrrev_i32_e32 v12, 31, v11
	v_dual_mov_b32 v223, 0 :: v_dual_add_nc_u32 v204, 0x6800, v4
	v_add_nc_u32_e32 v15, s3, v13
	v_mul_lo_u32 v205, v6, s2
	v_add_nc_u32_e32 v208, 0x4800, v4
	v_ashrrev_i32_e32 v4, 31, v3
	v_ashrrev_i32_e32 v6, 31, v5
	;; [unrolled: 1-line block ×4, first 2 shown]
	v_lshlrev_b32_e32 v209, 3, v191
	v_lshlrev_b64 v[170:171], 2, v[7:8]
	v_lshlrev_b64 v[172:173], 2, v[9:10]
	;; [unrolled: 1-line block ×7, first 2 shown]
	v_dual_mov_b32 v33, 0 :: v_dual_add_nc_u32 v200, 0x1200, v199
	v_dual_mov_b32 v32, 0 :: v_dual_add_nc_u32 v201, 0x2400, v199
	;; [unrolled: 1-line block ×3, first 2 shown]
	v_mul_u32_u24_e32 v203, 0x90, v191
	v_add_nc_u32_e32 v210, 0x1000, v207
	v_add_nc_u32_e32 v211, 0x2000, v207
	;; [unrolled: 1-line block ×3, first 2 shown]
	v_lshlrev_b32_e32 v213, 2, v17
	v_xor_b32_e32 v198, 16, v192
	v_xor_b32_e32 v197, 8, v192
	;; [unrolled: 1-line block ×5, first 2 shown]
	v_add_nc_u32_e32 v214, v208, v209
	v_lshlrev_b32_e32 v215, 2, v18
	v_add_nc_u32_e32 v216, 0x800, v209
	v_add_nc_u32_e32 v217, 0x1000, v209
	;; [unrolled: 1-line block ×7, first 2 shown]
	v_mov_b32_e32 v3, 0xfeffffff
	s_add_u32 s46, s0, 0xd0
	s_addc_u32 s47, s1, 0
.LBB37_9:                               ; =>This Inner Loop Header: Depth=1
	s_mul_hi_i32 s7, s57, s63
	s_mul_i32 s6, s57, s63
	v_cmp_gt_i32_e64 s5, 32, v194
	v_cmp_gt_i32_e64 s4, 32, v195
	v_cmp_gt_i32_e32 vcc_lo, 32, v198
	v_cmp_gt_i32_e64 s2, 32, v197
	v_cmp_gt_i32_e64 s3, 32, v196
	s_lshl_b64 s[6:7], s[6:7], 2
	v_dual_mov_b32 v42, v0 :: v_dual_mov_b32 v43, 0
	v_add_nc_u32_e32 v0, s57, v191
	s_mul_hi_i32 s9, s57, s59
	s_mul_i32 s8, s57, s59
	s_add_u32 s10, s64, s6
	v_cndmask_b32_e64 v14, v192, v194, s5
	s_addc_u32 s5, s65, s7
	s_lshl_b64 s[6:7], s[8:9], 2
	v_cndmask_b32_e64 v12, v192, v195, s4
	v_add_co_u32 v4, s4, s10, v168
	v_cndmask_b32_e64 v8, v192, v197, s2
	v_cndmask_b32_e32 v6, v192, v198, vcc_lo
	v_cndmask_b32_e64 v10, v192, v196, s3
	v_add_co_u32 v9, vcc_lo, s10, v170
	s_delay_alu instid0(VALU_DEP_4)
	v_lshlrev_b32_e32 v63, 2, v8
	v_add_co_u32 v11, s2, s10, v172
	v_add_co_u32 v13, s3, s10, v174
	s_add_u32 s6, s52, s6
	v_add_nc_u32_e32 v5, v0, v205
	v_add_nc_u32_e32 v7, v0, v206
	v_add_co_ci_u32_e64 v0, s4, s5, v169, s4
	v_dual_mov_b32 v38, v224 :: v_dual_mov_b32 v39, v3
	v_dual_mov_b32 v40, v2 :: v_dual_mov_b32 v41, v1
	v_add_co_ci_u32_e32 v1, vcc_lo, s5, v171, vcc_lo
	v_add_co_ci_u32_e64 v2, vcc_lo, s5, v173, s2
	v_add_co_ci_u32_e64 v3, vcc_lo, s5, v175, s3
	s_addc_u32 s5, s66, s7
	v_add_co_u32 v21, s4, s6, v176
	v_add_co_u32 v16, vcc_lo, s6, v178
	v_add_co_u32 v17, s2, s6, v180
	v_add_co_u32 v20, s3, s6, v182
	v_add_co_ci_u32_e64 v22, s4, s5, v177, s4
	v_add_co_ci_u32_e32 v23, vcc_lo, s5, v179, vcc_lo
	v_add_co_ci_u32_e64 v24, vcc_lo, s5, v181, s2
	v_add_co_ci_u32_e64 v25, vcc_lo, s5, v183, s3
	v_add_co_u32 v18, s4, v4, v213
	v_lshlrev_b32_e32 v62, 2, v10
	v_add_co_u32 v10, vcc_lo, v9, v213
	v_lshlrev_b32_e32 v61, 2, v12
	v_add_co_u32 v12, s2, v11, v213
	v_add_co_ci_u32_e64 v19, s4, 0, v0, s4
	v_lshlrev_b32_e32 v60, 2, v14
	v_add_co_u32 v14, s3, v13, v213
	v_add_co_ci_u32_e32 v11, vcc_lo, 0, v1, vcc_lo
	v_add_co_ci_u32_e64 v13, vcc_lo, 0, v2, s2
	v_add_co_ci_u32_e64 v15, vcc_lo, 0, v3, s3
	s_clause 0x3
	global_load_b128 v[65:68], v[18:19], off
	global_load_b128 v[69:72], v[10:11], off
	;; [unrolled: 1-line block ×4, first 2 shown]
	s_or_b32 s8, s57, 64
	v_lshlrev_b32_e32 v64, 2, v6
	v_ashrrev_i32_e32 v6, 31, v5
	s_mul_hi_i32 s7, s8, s59
	s_mul_i32 s6, s8, s59
	v_add_co_u32 v0, vcc_lo, v16, v215
	s_lshl_b64 s[6:7], s[6:7], 2
	v_add_co_u32 v2, s2, v17, v215
	v_add_co_u32 v16, s3, v20, v215
	;; [unrolled: 1-line block ×3, first 2 shown]
	s_add_u32 s5, s52, s6
	v_lshlrev_b64 v[20:21], 1, v[5:6]
	v_add_co_ci_u32_e64 v5, s4, 0, v22, s4
	v_add_co_ci_u32_e32 v1, vcc_lo, 0, v23, vcc_lo
	v_add_co_ci_u32_e64 v3, vcc_lo, 0, v24, s2
	v_add_co_ci_u32_e64 v17, vcc_lo, 0, v25, s3
	v_ashrrev_i32_e32 v8, 31, v7
	s_addc_u32 s6, s66, s7
	v_add_co_u32 v9, vcc_lo, s5, v176
	v_add_co_u32 v22, s2, s5, v178
	v_add_co_u32 v23, s3, s5, v180
	;; [unrolled: 1-line block ×3, first 2 shown]
	v_add_co_ci_u32_e32 v27, vcc_lo, s6, v177, vcc_lo
	v_add_co_ci_u32_e64 v81, vcc_lo, s6, v179, s2
	v_add_co_ci_u32_e64 v82, vcc_lo, s6, v181, s3
	;; [unrolled: 1-line block ×3, first 2 shown]
	v_lshlrev_b64 v[6:7], 1, v[7:8]
	v_add_co_u32 v8, vcc_lo, s60, v20
	v_add_co_u32 v24, s3, v22, v215
	v_add_co_u32 v22, s4, v23, v215
	;; [unrolled: 1-line block ×4, first 2 shown]
	v_add_co_ci_u32_e32 v9, vcc_lo, s61, v21, vcc_lo
	v_add_co_ci_u32_e64 v25, vcc_lo, 0, v81, s3
	v_add_co_ci_u32_e64 v23, vcc_lo, 0, v82, s4
	v_add_co_ci_u32_e64 v21, vcc_lo, 0, v83, s5
	v_dual_mov_b32 v44, 0 :: v_dual_mov_b32 v45, 0
	v_dual_mov_b32 v46, 0 :: v_dual_mov_b32 v47, 0
	;; [unrolled: 1-line block ×8, first 2 shown]
	v_add_co_u32 v6, s2, s60, v6
	s_delay_alu instid0(VALU_DEP_1)
	v_add_co_ci_u32_e64 v7, vcc_lo, s61, v7, s2
	v_add_co_ci_u32_e64 v27, vcc_lo, 0, v27, s6
	v_dual_mov_b32 v36, v226 :: v_dual_mov_b32 v37, v225
	s_waitcnt vmcnt(3)
	ds_store_b128 v199, v[65:68]
	s_waitcnt vmcnt(2)
	ds_store_b128 v200, v[69:72]
	;; [unrolled: 2-line block ×4, first 2 shown]
	s_waitcnt lgkmcnt(0)
	s_barrier
	buffer_gl0_inv
	ds_load_b128 v[65:68], v203
	ds_load_b128 v[69:72], v204
	ds_load_b128 v[73:76], v204 offset:256
	ds_load_b128 v[77:80], v204 offset:512
	;; [unrolled: 1-line block ×6, first 2 shown]
	s_waitcnt lgkmcnt(6)
	;;#ASMSTART
	v_dot2_f32_f16 v43, v65, v69, v43
	;;#ASMEND
	;;#ASMSTART
	v_dot2_f32_f16 v43, v66, v70, v43
	;;#ASMEND
	;;#ASMSTART
	v_dot2_f32_f16 v43, v67, v71, v43
	;;#ASMEND
	;;#ASMSTART
	v_dot2_f32_f16 v43, v68, v72, v43
	;;#ASMEND
	s_waitcnt lgkmcnt(5)
	;;#ASMSTART
	v_dot2_f32_f16 v44, v65, v73, v44
	;;#ASMEND
	;;#ASMSTART
	v_dot2_f32_f16 v44, v66, v74, v44
	;;#ASMEND
	;;#ASMSTART
	v_dot2_f32_f16 v44, v67, v75, v44
	;;#ASMEND
	;;#ASMSTART
	v_dot2_f32_f16 v44, v68, v76, v44
	;;#ASMEND
	;; [unrolled: 13-line block ×5, first 2 shown]
	;;#ASMSTART
	v_dot2_f32_f16 v48, v85, v73, v48
	;;#ASMEND
	;;#ASMSTART
	v_dot2_f32_f16 v48, v86, v74, v48
	;;#ASMEND
	;; [unrolled: 3-line block ×12, first 2 shown]
	s_waitcnt lgkmcnt(1)
	;;#ASMSTART
	v_dot2_f32_f16 v51, v89, v69, v51
	;;#ASMEND
	;;#ASMSTART
	v_dot2_f32_f16 v51, v90, v70, v51
	;;#ASMEND
	;; [unrolled: 3-line block ×16, first 2 shown]
	s_waitcnt lgkmcnt(0)
	;;#ASMSTART
	v_dot2_f32_f16 v55, v93, v69, v55
	;;#ASMEND
	;;#ASMSTART
	v_dot2_f32_f16 v55, v94, v70, v55
	;;#ASMEND
	;;#ASMSTART
	v_dot2_f32_f16 v55, v95, v71, v55
	;;#ASMEND
	;;#ASMSTART
	v_dot2_f32_f16 v55, v96, v72, v55
	;;#ASMEND
	;;#ASMSTART
	v_dot2_f32_f16 v56, v93, v73, v56
	;;#ASMEND
	;;#ASMSTART
	v_dot2_f32_f16 v56, v94, v74, v56
	;;#ASMEND
	;;#ASMSTART
	v_dot2_f32_f16 v56, v95, v75, v56
	;;#ASMEND
	;;#ASMSTART
	v_dot2_f32_f16 v56, v96, v76, v56
	;;#ASMEND
	;;#ASMSTART
	v_dot2_f32_f16 v57, v93, v77, v57
	;;#ASMEND
	;;#ASMSTART
	v_dot2_f32_f16 v57, v94, v78, v57
	;;#ASMEND
	;;#ASMSTART
	v_dot2_f32_f16 v57, v95, v79, v57
	;;#ASMEND
	;;#ASMSTART
	v_dot2_f32_f16 v57, v96, v80, v57
	;;#ASMEND
	;;#ASMSTART
	v_dot2_f32_f16 v58, v93, v81, v58
	;;#ASMEND
	;;#ASMSTART
	v_dot2_f32_f16 v58, v94, v82, v58
	;;#ASMEND
	;;#ASMSTART
	v_dot2_f32_f16 v58, v95, v83, v58
	;;#ASMEND
	;;#ASMSTART
	v_dot2_f32_f16 v58, v96, v84, v58
	;;#ASMEND
	ds_load_b128 v[65:68], v203 offset:16
	ds_load_b128 v[69:72], v204 offset:16
	;; [unrolled: 1-line block ×8, first 2 shown]
	s_waitcnt lgkmcnt(6)
	;;#ASMSTART
	v_dot2_f32_f16 v43, v65, v69, v43
	;;#ASMEND
	;;#ASMSTART
	v_dot2_f32_f16 v43, v66, v70, v43
	;;#ASMEND
	;;#ASMSTART
	v_dot2_f32_f16 v43, v67, v71, v43
	;;#ASMEND
	;;#ASMSTART
	v_dot2_f32_f16 v43, v68, v72, v43
	;;#ASMEND
	s_waitcnt lgkmcnt(5)
	;;#ASMSTART
	v_dot2_f32_f16 v44, v65, v73, v44
	;;#ASMEND
	;;#ASMSTART
	v_dot2_f32_f16 v44, v66, v74, v44
	;;#ASMEND
	;;#ASMSTART
	v_dot2_f32_f16 v44, v67, v75, v44
	;;#ASMEND
	;;#ASMSTART
	v_dot2_f32_f16 v44, v68, v76, v44
	;;#ASMEND
	;; [unrolled: 13-line block ×5, first 2 shown]
	;;#ASMSTART
	v_dot2_f32_f16 v48, v85, v73, v48
	;;#ASMEND
	;;#ASMSTART
	v_dot2_f32_f16 v48, v86, v74, v48
	;;#ASMEND
	;; [unrolled: 3-line block ×12, first 2 shown]
	s_waitcnt lgkmcnt(1)
	;;#ASMSTART
	v_dot2_f32_f16 v51, v89, v69, v51
	;;#ASMEND
	;;#ASMSTART
	v_dot2_f32_f16 v51, v90, v70, v51
	;;#ASMEND
	;; [unrolled: 3-line block ×16, first 2 shown]
	s_waitcnt lgkmcnt(0)
	;;#ASMSTART
	v_dot2_f32_f16 v55, v93, v69, v55
	;;#ASMEND
	;;#ASMSTART
	v_dot2_f32_f16 v55, v94, v70, v55
	;;#ASMEND
	;; [unrolled: 3-line block ×16, first 2 shown]
	ds_load_b128 v[65:68], v203 offset:32
	ds_load_b128 v[69:72], v204 offset:32
	;; [unrolled: 1-line block ×8, first 2 shown]
	s_waitcnt lgkmcnt(6)
	;;#ASMSTART
	v_dot2_f32_f16 v43, v65, v69, v43
	;;#ASMEND
	;;#ASMSTART
	v_dot2_f32_f16 v43, v66, v70, v43
	;;#ASMEND
	;;#ASMSTART
	v_dot2_f32_f16 v43, v67, v71, v43
	;;#ASMEND
	;;#ASMSTART
	v_dot2_f32_f16 v43, v68, v72, v43
	;;#ASMEND
	s_waitcnt lgkmcnt(5)
	;;#ASMSTART
	v_dot2_f32_f16 v44, v65, v73, v44
	;;#ASMEND
	;;#ASMSTART
	v_dot2_f32_f16 v44, v66, v74, v44
	;;#ASMEND
	;;#ASMSTART
	v_dot2_f32_f16 v44, v67, v75, v44
	;;#ASMEND
	;;#ASMSTART
	v_dot2_f32_f16 v44, v68, v76, v44
	;;#ASMEND
	;; [unrolled: 13-line block ×5, first 2 shown]
	;;#ASMSTART
	v_dot2_f32_f16 v48, v85, v73, v48
	;;#ASMEND
	;;#ASMSTART
	v_dot2_f32_f16 v48, v86, v74, v48
	;;#ASMEND
	;; [unrolled: 3-line block ×12, first 2 shown]
	s_waitcnt lgkmcnt(1)
	;;#ASMSTART
	v_dot2_f32_f16 v51, v89, v69, v51
	;;#ASMEND
	;;#ASMSTART
	v_dot2_f32_f16 v51, v90, v70, v51
	;;#ASMEND
	;; [unrolled: 3-line block ×16, first 2 shown]
	s_waitcnt lgkmcnt(0)
	;;#ASMSTART
	v_dot2_f32_f16 v55, v93, v69, v55
	;;#ASMEND
	;;#ASMSTART
	v_dot2_f32_f16 v55, v94, v70, v55
	;;#ASMEND
	;; [unrolled: 3-line block ×16, first 2 shown]
	ds_load_b128 v[65:68], v203 offset:48
	ds_load_b128 v[69:72], v204 offset:48
	;; [unrolled: 1-line block ×8, first 2 shown]
	s_waitcnt lgkmcnt(6)
	;;#ASMSTART
	v_dot2_f32_f16 v43, v65, v69, v43
	;;#ASMEND
	;;#ASMSTART
	v_dot2_f32_f16 v43, v66, v70, v43
	;;#ASMEND
	;;#ASMSTART
	v_dot2_f32_f16 v43, v67, v71, v43
	;;#ASMEND
	;;#ASMSTART
	v_dot2_f32_f16 v43, v68, v72, v43
	;;#ASMEND
	s_waitcnt lgkmcnt(5)
	;;#ASMSTART
	v_dot2_f32_f16 v44, v65, v73, v44
	;;#ASMEND
	;;#ASMSTART
	v_dot2_f32_f16 v44, v66, v74, v44
	;;#ASMEND
	;;#ASMSTART
	v_dot2_f32_f16 v44, v67, v75, v44
	;;#ASMEND
	;;#ASMSTART
	v_dot2_f32_f16 v44, v68, v76, v44
	;;#ASMEND
	;; [unrolled: 13-line block ×5, first 2 shown]
	;;#ASMSTART
	v_dot2_f32_f16 v48, v85, v73, v48
	;;#ASMEND
	;;#ASMSTART
	v_dot2_f32_f16 v48, v86, v74, v48
	;;#ASMEND
	;;#ASMSTART
	v_dot2_f32_f16 v48, v87, v75, v48
	;;#ASMEND
	;;#ASMSTART
	v_dot2_f32_f16 v48, v88, v76, v48
	;;#ASMEND
	;;#ASMSTART
	v_dot2_f32_f16 v49, v85, v77, v49
	;;#ASMEND
	;;#ASMSTART
	v_dot2_f32_f16 v49, v86, v78, v49
	;;#ASMEND
	;;#ASMSTART
	v_dot2_f32_f16 v49, v87, v79, v49
	;;#ASMEND
	;;#ASMSTART
	v_dot2_f32_f16 v49, v88, v80, v49
	;;#ASMEND
	;;#ASMSTART
	v_dot2_f32_f16 v50, v85, v81, v50
	;;#ASMEND
	;;#ASMSTART
	v_dot2_f32_f16 v50, v86, v82, v50
	;;#ASMEND
	;;#ASMSTART
	v_dot2_f32_f16 v50, v87, v83, v50
	;;#ASMEND
	;;#ASMSTART
	v_dot2_f32_f16 v50, v88, v84, v50
	;;#ASMEND
	s_waitcnt lgkmcnt(1)
	;;#ASMSTART
	v_dot2_f32_f16 v51, v89, v69, v51
	;;#ASMEND
	;;#ASMSTART
	v_dot2_f32_f16 v51, v90, v70, v51
	;;#ASMEND
	;; [unrolled: 3-line block ×16, first 2 shown]
	s_waitcnt lgkmcnt(0)
	;;#ASMSTART
	v_dot2_f32_f16 v55, v93, v69, v55
	;;#ASMEND
	;;#ASMSTART
	v_dot2_f32_f16 v55, v94, v70, v55
	;;#ASMEND
	;; [unrolled: 3-line block ×16, first 2 shown]
	ds_load_b128 v[65:68], v203 offset:64
	ds_load_b128 v[69:72], v204 offset:64
	;; [unrolled: 1-line block ×8, first 2 shown]
	s_waitcnt lgkmcnt(6)
	;;#ASMSTART
	v_dot2_f32_f16 v43, v65, v69, v43
	;;#ASMEND
	;;#ASMSTART
	v_dot2_f32_f16 v43, v66, v70, v43
	;;#ASMEND
	;;#ASMSTART
	v_dot2_f32_f16 v43, v67, v71, v43
	;;#ASMEND
	;;#ASMSTART
	v_dot2_f32_f16 v43, v68, v72, v43
	;;#ASMEND
	s_waitcnt lgkmcnt(5)
	;;#ASMSTART
	v_dot2_f32_f16 v44, v65, v73, v44
	;;#ASMEND
	;;#ASMSTART
	v_dot2_f32_f16 v44, v66, v74, v44
	;;#ASMEND
	;;#ASMSTART
	v_dot2_f32_f16 v44, v67, v75, v44
	;;#ASMEND
	;;#ASMSTART
	v_dot2_f32_f16 v44, v68, v76, v44
	;;#ASMEND
	;; [unrolled: 13-line block ×5, first 2 shown]
	;;#ASMSTART
	v_dot2_f32_f16 v48, v85, v73, v48
	;;#ASMEND
	;;#ASMSTART
	v_dot2_f32_f16 v48, v86, v74, v48
	;;#ASMEND
	;; [unrolled: 3-line block ×12, first 2 shown]
	s_waitcnt lgkmcnt(1)
	;;#ASMSTART
	v_dot2_f32_f16 v51, v89, v69, v51
	;;#ASMEND
	;;#ASMSTART
	v_dot2_f32_f16 v51, v90, v70, v51
	;;#ASMEND
	;; [unrolled: 3-line block ×16, first 2 shown]
	s_waitcnt lgkmcnt(0)
	;;#ASMSTART
	v_dot2_f32_f16 v55, v93, v69, v55
	;;#ASMEND
	;;#ASMSTART
	v_dot2_f32_f16 v55, v94, v70, v55
	;;#ASMEND
	;; [unrolled: 3-line block ×16, first 2 shown]
	ds_load_b128 v[65:68], v203 offset:80
	ds_load_b128 v[69:72], v204 offset:80
	;; [unrolled: 1-line block ×8, first 2 shown]
	s_waitcnt lgkmcnt(6)
	;;#ASMSTART
	v_dot2_f32_f16 v43, v65, v69, v43
	;;#ASMEND
	;;#ASMSTART
	v_dot2_f32_f16 v43, v66, v70, v43
	;;#ASMEND
	;;#ASMSTART
	v_dot2_f32_f16 v43, v67, v71, v43
	;;#ASMEND
	;;#ASMSTART
	v_dot2_f32_f16 v43, v68, v72, v43
	;;#ASMEND
	s_waitcnt lgkmcnt(5)
	;;#ASMSTART
	v_dot2_f32_f16 v44, v65, v73, v44
	;;#ASMEND
	;;#ASMSTART
	v_dot2_f32_f16 v44, v66, v74, v44
	;;#ASMEND
	;;#ASMSTART
	v_dot2_f32_f16 v44, v67, v75, v44
	;;#ASMEND
	;;#ASMSTART
	v_dot2_f32_f16 v44, v68, v76, v44
	;;#ASMEND
	;; [unrolled: 13-line block ×5, first 2 shown]
	;;#ASMSTART
	v_dot2_f32_f16 v48, v85, v73, v48
	;;#ASMEND
	;;#ASMSTART
	v_dot2_f32_f16 v48, v86, v74, v48
	;;#ASMEND
	;; [unrolled: 3-line block ×12, first 2 shown]
	s_waitcnt lgkmcnt(1)
	;;#ASMSTART
	v_dot2_f32_f16 v51, v89, v69, v51
	;;#ASMEND
	;;#ASMSTART
	v_dot2_f32_f16 v51, v90, v70, v51
	;;#ASMEND
	;; [unrolled: 3-line block ×16, first 2 shown]
	s_waitcnt lgkmcnt(0)
	;;#ASMSTART
	v_dot2_f32_f16 v55, v93, v69, v55
	;;#ASMEND
	;;#ASMSTART
	v_dot2_f32_f16 v55, v94, v70, v55
	;;#ASMEND
	;; [unrolled: 3-line block ×16, first 2 shown]
	ds_load_b128 v[65:68], v203 offset:96
	ds_load_b128 v[69:72], v204 offset:96
	;; [unrolled: 1-line block ×8, first 2 shown]
	s_waitcnt lgkmcnt(6)
	;;#ASMSTART
	v_dot2_f32_f16 v43, v65, v69, v43
	;;#ASMEND
	;;#ASMSTART
	v_dot2_f32_f16 v43, v66, v70, v43
	;;#ASMEND
	;;#ASMSTART
	v_dot2_f32_f16 v43, v67, v71, v43
	;;#ASMEND
	;;#ASMSTART
	v_dot2_f32_f16 v43, v68, v72, v43
	;;#ASMEND
	s_waitcnt lgkmcnt(5)
	;;#ASMSTART
	v_dot2_f32_f16 v44, v65, v73, v44
	;;#ASMEND
	;;#ASMSTART
	v_dot2_f32_f16 v44, v66, v74, v44
	;;#ASMEND
	;;#ASMSTART
	v_dot2_f32_f16 v44, v67, v75, v44
	;;#ASMEND
	;;#ASMSTART
	v_dot2_f32_f16 v44, v68, v76, v44
	;;#ASMEND
	;; [unrolled: 13-line block ×5, first 2 shown]
	;;#ASMSTART
	v_dot2_f32_f16 v48, v85, v73, v48
	;;#ASMEND
	;;#ASMSTART
	v_dot2_f32_f16 v48, v86, v74, v48
	;;#ASMEND
	;; [unrolled: 3-line block ×12, first 2 shown]
	s_waitcnt lgkmcnt(1)
	;;#ASMSTART
	v_dot2_f32_f16 v51, v89, v69, v51
	;;#ASMEND
	;;#ASMSTART
	v_dot2_f32_f16 v51, v90, v70, v51
	;;#ASMEND
	;; [unrolled: 3-line block ×16, first 2 shown]
	s_waitcnt lgkmcnt(0)
	;;#ASMSTART
	v_dot2_f32_f16 v55, v93, v69, v55
	;;#ASMEND
	;;#ASMSTART
	v_dot2_f32_f16 v55, v94, v70, v55
	;;#ASMEND
	;; [unrolled: 3-line block ×16, first 2 shown]
	ds_load_b128 v[65:68], v203 offset:112
	ds_load_b128 v[69:72], v204 offset:112
	;; [unrolled: 1-line block ×8, first 2 shown]
	s_waitcnt lgkmcnt(6)
	;;#ASMSTART
	v_dot2_f32_f16 v43, v65, v69, v43
	;;#ASMEND
	;;#ASMSTART
	v_dot2_f32_f16 v43, v66, v70, v43
	;;#ASMEND
	;;#ASMSTART
	v_dot2_f32_f16 v43, v67, v71, v43
	;;#ASMEND
	;;#ASMSTART
	v_dot2_f32_f16 v43, v68, v72, v43
	;;#ASMEND
	s_waitcnt lgkmcnt(5)
	;;#ASMSTART
	v_dot2_f32_f16 v44, v65, v73, v44
	;;#ASMEND
	;;#ASMSTART
	v_dot2_f32_f16 v44, v66, v74, v44
	;;#ASMEND
	;;#ASMSTART
	v_dot2_f32_f16 v44, v67, v75, v44
	;;#ASMEND
	;;#ASMSTART
	v_dot2_f32_f16 v44, v68, v76, v44
	;;#ASMEND
	;; [unrolled: 13-line block ×5, first 2 shown]
	;;#ASMSTART
	v_dot2_f32_f16 v48, v85, v73, v48
	;;#ASMEND
	;;#ASMSTART
	v_dot2_f32_f16 v48, v86, v74, v48
	;;#ASMEND
	;; [unrolled: 3-line block ×12, first 2 shown]
	s_waitcnt lgkmcnt(1)
	;;#ASMSTART
	v_dot2_f32_f16 v51, v89, v69, v51
	;;#ASMEND
	;;#ASMSTART
	v_dot2_f32_f16 v51, v90, v70, v51
	;;#ASMEND
	;; [unrolled: 3-line block ×16, first 2 shown]
	s_waitcnt lgkmcnt(0)
	;;#ASMSTART
	v_dot2_f32_f16 v55, v93, v69, v55
	;;#ASMEND
	;;#ASMSTART
	v_dot2_f32_f16 v55, v94, v70, v55
	;;#ASMEND
	;; [unrolled: 3-line block ×16, first 2 shown]
	s_barrier
	buffer_gl0_inv
	s_clause 0x3
	global_load_b128 v[65:68], v[18:19], off offset:128
	global_load_b128 v[69:72], v[10:11], off offset:128
	;; [unrolled: 1-line block ×4, first 2 shown]
	s_waitcnt vmcnt(3)
	ds_store_b128 v199, v[65:68]
	s_waitcnt vmcnt(2)
	ds_store_b128 v200, v[69:72]
	;; [unrolled: 2-line block ×4, first 2 shown]
	s_waitcnt lgkmcnt(0)
	s_barrier
	buffer_gl0_inv
	ds_load_b128 v[10:13], v203
	ds_load_b128 v[65:68], v204 offset:128
	ds_load_b128 v[69:72], v204 offset:384
	;; [unrolled: 1-line block ×7, first 2 shown]
	s_waitcnt lgkmcnt(6)
	;;#ASMSTART
	v_dot2_f32_f16 v43, v10, v65, v43
	;;#ASMEND
	;;#ASMSTART
	v_dot2_f32_f16 v43, v11, v66, v43
	;;#ASMEND
	;;#ASMSTART
	v_dot2_f32_f16 v43, v12, v67, v43
	;;#ASMEND
	;;#ASMSTART
	v_dot2_f32_f16 v43, v13, v68, v43
	;;#ASMEND
	s_waitcnt lgkmcnt(5)
	;;#ASMSTART
	v_dot2_f32_f16 v44, v10, v69, v44
	;;#ASMEND
	;;#ASMSTART
	v_dot2_f32_f16 v44, v11, v70, v44
	;;#ASMEND
	;;#ASMSTART
	v_dot2_f32_f16 v44, v12, v71, v44
	;;#ASMEND
	;;#ASMSTART
	v_dot2_f32_f16 v44, v13, v72, v44
	;;#ASMEND
	;; [unrolled: 13-line block ×5, first 2 shown]
	;;#ASMSTART
	v_dot2_f32_f16 v48, v81, v69, v48
	;;#ASMEND
	;;#ASMSTART
	v_dot2_f32_f16 v48, v82, v70, v48
	;;#ASMEND
	;;#ASMSTART
	v_dot2_f32_f16 v48, v83, v71, v48
	;;#ASMEND
	;;#ASMSTART
	v_dot2_f32_f16 v48, v84, v72, v48
	;;#ASMEND
	;;#ASMSTART
	v_dot2_f32_f16 v49, v81, v73, v49
	;;#ASMEND
	;;#ASMSTART
	v_dot2_f32_f16 v49, v82, v74, v49
	;;#ASMEND
	;;#ASMSTART
	v_dot2_f32_f16 v49, v83, v75, v49
	;;#ASMEND
	;;#ASMSTART
	v_dot2_f32_f16 v49, v84, v76, v49
	;;#ASMEND
	;;#ASMSTART
	v_dot2_f32_f16 v50, v81, v77, v50
	;;#ASMEND
	;;#ASMSTART
	v_dot2_f32_f16 v50, v82, v78, v50
	;;#ASMEND
	;;#ASMSTART
	v_dot2_f32_f16 v50, v83, v79, v50
	;;#ASMEND
	;;#ASMSTART
	v_dot2_f32_f16 v50, v84, v80, v50
	;;#ASMEND
	s_waitcnt lgkmcnt(1)
	;;#ASMSTART
	v_dot2_f32_f16 v51, v85, v65, v51
	;;#ASMEND
	;;#ASMSTART
	v_dot2_f32_f16 v51, v86, v66, v51
	;;#ASMEND
	;; [unrolled: 3-line block ×16, first 2 shown]
	s_waitcnt lgkmcnt(0)
	;;#ASMSTART
	v_dot2_f32_f16 v55, v89, v65, v55
	;;#ASMEND
	;;#ASMSTART
	v_dot2_f32_f16 v55, v90, v66, v55
	;;#ASMEND
	;; [unrolled: 3-line block ×16, first 2 shown]
	ds_load_b128 v[10:13], v203 offset:16
	ds_load_b128 v[65:68], v204 offset:144
	ds_load_b128 v[69:72], v204 offset:400
	ds_load_b128 v[73:76], v204 offset:656
	ds_load_b128 v[77:80], v204 offset:912
	ds_load_b128 v[81:84], v203 offset:4624
	ds_load_b128 v[85:88], v203 offset:9232
	ds_load_b128 v[89:92], v203 offset:13840
	s_waitcnt lgkmcnt(6)
	;;#ASMSTART
	v_dot2_f32_f16 v43, v10, v65, v43
	;;#ASMEND
	;;#ASMSTART
	v_dot2_f32_f16 v43, v11, v66, v43
	;;#ASMEND
	;;#ASMSTART
	v_dot2_f32_f16 v43, v12, v67, v43
	;;#ASMEND
	;;#ASMSTART
	v_dot2_f32_f16 v43, v13, v68, v43
	;;#ASMEND
	s_waitcnt lgkmcnt(5)
	;;#ASMSTART
	v_dot2_f32_f16 v44, v10, v69, v44
	;;#ASMEND
	;;#ASMSTART
	v_dot2_f32_f16 v44, v11, v70, v44
	;;#ASMEND
	;;#ASMSTART
	v_dot2_f32_f16 v44, v12, v71, v44
	;;#ASMEND
	;;#ASMSTART
	v_dot2_f32_f16 v44, v13, v72, v44
	;;#ASMEND
	;; [unrolled: 13-line block ×5, first 2 shown]
	;;#ASMSTART
	v_dot2_f32_f16 v48, v81, v69, v48
	;;#ASMEND
	;;#ASMSTART
	v_dot2_f32_f16 v48, v82, v70, v48
	;;#ASMEND
	;;#ASMSTART
	v_dot2_f32_f16 v48, v83, v71, v48
	;;#ASMEND
	;;#ASMSTART
	v_dot2_f32_f16 v48, v84, v72, v48
	;;#ASMEND
	;;#ASMSTART
	v_dot2_f32_f16 v49, v81, v73, v49
	;;#ASMEND
	;;#ASMSTART
	v_dot2_f32_f16 v49, v82, v74, v49
	;;#ASMEND
	;;#ASMSTART
	v_dot2_f32_f16 v49, v83, v75, v49
	;;#ASMEND
	;;#ASMSTART
	v_dot2_f32_f16 v49, v84, v76, v49
	;;#ASMEND
	;;#ASMSTART
	v_dot2_f32_f16 v50, v81, v77, v50
	;;#ASMEND
	;;#ASMSTART
	v_dot2_f32_f16 v50, v82, v78, v50
	;;#ASMEND
	;;#ASMSTART
	v_dot2_f32_f16 v50, v83, v79, v50
	;;#ASMEND
	;;#ASMSTART
	v_dot2_f32_f16 v50, v84, v80, v50
	;;#ASMEND
	s_waitcnt lgkmcnt(1)
	;;#ASMSTART
	v_dot2_f32_f16 v51, v85, v65, v51
	;;#ASMEND
	;;#ASMSTART
	v_dot2_f32_f16 v51, v86, v66, v51
	;;#ASMEND
	;; [unrolled: 3-line block ×16, first 2 shown]
	s_waitcnt lgkmcnt(0)
	;;#ASMSTART
	v_dot2_f32_f16 v55, v89, v65, v55
	;;#ASMEND
	;;#ASMSTART
	v_dot2_f32_f16 v55, v90, v66, v55
	;;#ASMEND
	;; [unrolled: 3-line block ×16, first 2 shown]
	ds_load_b128 v[10:13], v203 offset:32
	ds_load_b128 v[65:68], v204 offset:160
	;; [unrolled: 1-line block ×8, first 2 shown]
	s_waitcnt lgkmcnt(6)
	;;#ASMSTART
	v_dot2_f32_f16 v43, v10, v65, v43
	;;#ASMEND
	;;#ASMSTART
	v_dot2_f32_f16 v43, v11, v66, v43
	;;#ASMEND
	;;#ASMSTART
	v_dot2_f32_f16 v43, v12, v67, v43
	;;#ASMEND
	;;#ASMSTART
	v_dot2_f32_f16 v43, v13, v68, v43
	;;#ASMEND
	s_waitcnt lgkmcnt(5)
	;;#ASMSTART
	v_dot2_f32_f16 v44, v10, v69, v44
	;;#ASMEND
	;;#ASMSTART
	v_dot2_f32_f16 v44, v11, v70, v44
	;;#ASMEND
	;;#ASMSTART
	v_dot2_f32_f16 v44, v12, v71, v44
	;;#ASMEND
	;;#ASMSTART
	v_dot2_f32_f16 v44, v13, v72, v44
	;;#ASMEND
	;; [unrolled: 13-line block ×5, first 2 shown]
	;;#ASMSTART
	v_dot2_f32_f16 v48, v81, v69, v48
	;;#ASMEND
	;;#ASMSTART
	v_dot2_f32_f16 v48, v82, v70, v48
	;;#ASMEND
	;; [unrolled: 3-line block ×12, first 2 shown]
	s_waitcnt lgkmcnt(1)
	;;#ASMSTART
	v_dot2_f32_f16 v51, v85, v65, v51
	;;#ASMEND
	;;#ASMSTART
	v_dot2_f32_f16 v51, v86, v66, v51
	;;#ASMEND
	;; [unrolled: 3-line block ×16, first 2 shown]
	s_waitcnt lgkmcnt(0)
	;;#ASMSTART
	v_dot2_f32_f16 v55, v89, v65, v55
	;;#ASMEND
	;;#ASMSTART
	v_dot2_f32_f16 v55, v90, v66, v55
	;;#ASMEND
	;; [unrolled: 3-line block ×16, first 2 shown]
	ds_load_b128 v[10:13], v203 offset:48
	ds_load_b128 v[65:68], v204 offset:176
	;; [unrolled: 1-line block ×8, first 2 shown]
	s_waitcnt lgkmcnt(6)
	;;#ASMSTART
	v_dot2_f32_f16 v43, v10, v65, v43
	;;#ASMEND
	;;#ASMSTART
	v_dot2_f32_f16 v43, v11, v66, v43
	;;#ASMEND
	;;#ASMSTART
	v_dot2_f32_f16 v43, v12, v67, v43
	;;#ASMEND
	;;#ASMSTART
	v_dot2_f32_f16 v43, v13, v68, v43
	;;#ASMEND
	s_waitcnt lgkmcnt(5)
	;;#ASMSTART
	v_dot2_f32_f16 v44, v10, v69, v44
	;;#ASMEND
	;;#ASMSTART
	v_dot2_f32_f16 v44, v11, v70, v44
	;;#ASMEND
	;;#ASMSTART
	v_dot2_f32_f16 v44, v12, v71, v44
	;;#ASMEND
	;;#ASMSTART
	v_dot2_f32_f16 v44, v13, v72, v44
	;;#ASMEND
	;; [unrolled: 13-line block ×5, first 2 shown]
	;;#ASMSTART
	v_dot2_f32_f16 v48, v81, v69, v48
	;;#ASMEND
	;;#ASMSTART
	v_dot2_f32_f16 v48, v82, v70, v48
	;;#ASMEND
	;; [unrolled: 3-line block ×12, first 2 shown]
	s_waitcnt lgkmcnt(1)
	;;#ASMSTART
	v_dot2_f32_f16 v51, v85, v65, v51
	;;#ASMEND
	;;#ASMSTART
	v_dot2_f32_f16 v51, v86, v66, v51
	;;#ASMEND
	;; [unrolled: 3-line block ×16, first 2 shown]
	s_waitcnt lgkmcnt(0)
	;;#ASMSTART
	v_dot2_f32_f16 v55, v89, v65, v55
	;;#ASMEND
	;;#ASMSTART
	v_dot2_f32_f16 v55, v90, v66, v55
	;;#ASMEND
	;; [unrolled: 3-line block ×16, first 2 shown]
	ds_load_b128 v[10:13], v203 offset:64
	ds_load_b128 v[65:68], v204 offset:192
	;; [unrolled: 1-line block ×8, first 2 shown]
	s_waitcnt lgkmcnt(6)
	;;#ASMSTART
	v_dot2_f32_f16 v43, v10, v65, v43
	;;#ASMEND
	;;#ASMSTART
	v_dot2_f32_f16 v43, v11, v66, v43
	;;#ASMEND
	;;#ASMSTART
	v_dot2_f32_f16 v43, v12, v67, v43
	;;#ASMEND
	;;#ASMSTART
	v_dot2_f32_f16 v43, v13, v68, v43
	;;#ASMEND
	s_waitcnt lgkmcnt(5)
	;;#ASMSTART
	v_dot2_f32_f16 v44, v10, v69, v44
	;;#ASMEND
	;;#ASMSTART
	v_dot2_f32_f16 v44, v11, v70, v44
	;;#ASMEND
	;;#ASMSTART
	v_dot2_f32_f16 v44, v12, v71, v44
	;;#ASMEND
	;;#ASMSTART
	v_dot2_f32_f16 v44, v13, v72, v44
	;;#ASMEND
	;; [unrolled: 13-line block ×5, first 2 shown]
	;;#ASMSTART
	v_dot2_f32_f16 v48, v81, v69, v48
	;;#ASMEND
	;;#ASMSTART
	v_dot2_f32_f16 v48, v82, v70, v48
	;;#ASMEND
	;; [unrolled: 3-line block ×12, first 2 shown]
	s_waitcnt lgkmcnt(1)
	;;#ASMSTART
	v_dot2_f32_f16 v51, v85, v65, v51
	;;#ASMEND
	;;#ASMSTART
	v_dot2_f32_f16 v51, v86, v66, v51
	;;#ASMEND
	;; [unrolled: 3-line block ×16, first 2 shown]
	s_waitcnt lgkmcnt(0)
	;;#ASMSTART
	v_dot2_f32_f16 v55, v89, v65, v55
	;;#ASMEND
	;;#ASMSTART
	v_dot2_f32_f16 v55, v90, v66, v55
	;;#ASMEND
	;; [unrolled: 3-line block ×16, first 2 shown]
	ds_load_b128 v[10:13], v203 offset:80
	ds_load_b128 v[65:68], v204 offset:208
	;; [unrolled: 1-line block ×8, first 2 shown]
	s_waitcnt lgkmcnt(6)
	;;#ASMSTART
	v_dot2_f32_f16 v43, v10, v65, v43
	;;#ASMEND
	;;#ASMSTART
	v_dot2_f32_f16 v43, v11, v66, v43
	;;#ASMEND
	;;#ASMSTART
	v_dot2_f32_f16 v43, v12, v67, v43
	;;#ASMEND
	;;#ASMSTART
	v_dot2_f32_f16 v43, v13, v68, v43
	;;#ASMEND
	s_waitcnt lgkmcnt(5)
	;;#ASMSTART
	v_dot2_f32_f16 v44, v10, v69, v44
	;;#ASMEND
	;;#ASMSTART
	v_dot2_f32_f16 v44, v11, v70, v44
	;;#ASMEND
	;;#ASMSTART
	v_dot2_f32_f16 v44, v12, v71, v44
	;;#ASMEND
	;;#ASMSTART
	v_dot2_f32_f16 v44, v13, v72, v44
	;;#ASMEND
	;; [unrolled: 13-line block ×5, first 2 shown]
	;;#ASMSTART
	v_dot2_f32_f16 v48, v81, v69, v48
	;;#ASMEND
	;;#ASMSTART
	v_dot2_f32_f16 v48, v82, v70, v48
	;;#ASMEND
	;; [unrolled: 3-line block ×12, first 2 shown]
	s_waitcnt lgkmcnt(1)
	;;#ASMSTART
	v_dot2_f32_f16 v51, v85, v65, v51
	;;#ASMEND
	;;#ASMSTART
	v_dot2_f32_f16 v51, v86, v66, v51
	;;#ASMEND
	;; [unrolled: 3-line block ×16, first 2 shown]
	s_waitcnt lgkmcnt(0)
	;;#ASMSTART
	v_dot2_f32_f16 v55, v89, v65, v55
	;;#ASMEND
	;;#ASMSTART
	v_dot2_f32_f16 v55, v90, v66, v55
	;;#ASMEND
	;; [unrolled: 3-line block ×16, first 2 shown]
	ds_load_b128 v[10:13], v203 offset:96
	ds_load_b128 v[65:68], v204 offset:224
	;; [unrolled: 1-line block ×8, first 2 shown]
	s_waitcnt lgkmcnt(6)
	;;#ASMSTART
	v_dot2_f32_f16 v43, v10, v65, v43
	;;#ASMEND
	;;#ASMSTART
	v_dot2_f32_f16 v43, v11, v66, v43
	;;#ASMEND
	;;#ASMSTART
	v_dot2_f32_f16 v43, v12, v67, v43
	;;#ASMEND
	;;#ASMSTART
	v_dot2_f32_f16 v43, v13, v68, v43
	;;#ASMEND
	s_waitcnt lgkmcnt(5)
	;;#ASMSTART
	v_dot2_f32_f16 v44, v10, v69, v44
	;;#ASMEND
	;;#ASMSTART
	v_dot2_f32_f16 v44, v11, v70, v44
	;;#ASMEND
	;;#ASMSTART
	v_dot2_f32_f16 v44, v12, v71, v44
	;;#ASMEND
	;;#ASMSTART
	v_dot2_f32_f16 v44, v13, v72, v44
	;;#ASMEND
	;; [unrolled: 13-line block ×5, first 2 shown]
	;;#ASMSTART
	v_dot2_f32_f16 v48, v81, v69, v48
	;;#ASMEND
	;;#ASMSTART
	v_dot2_f32_f16 v48, v82, v70, v48
	;;#ASMEND
	;; [unrolled: 3-line block ×12, first 2 shown]
	s_waitcnt lgkmcnt(1)
	;;#ASMSTART
	v_dot2_f32_f16 v51, v85, v65, v51
	;;#ASMEND
	;;#ASMSTART
	v_dot2_f32_f16 v51, v86, v66, v51
	;;#ASMEND
	;;#ASMSTART
	v_dot2_f32_f16 v51, v87, v67, v51
	;;#ASMEND
	;;#ASMSTART
	v_dot2_f32_f16 v51, v88, v68, v51
	;;#ASMEND
	;;#ASMSTART
	v_dot2_f32_f16 v52, v85, v69, v52
	;;#ASMEND
	;;#ASMSTART
	v_dot2_f32_f16 v52, v86, v70, v52
	;;#ASMEND
	;;#ASMSTART
	v_dot2_f32_f16 v52, v87, v71, v52
	;;#ASMEND
	;;#ASMSTART
	v_dot2_f32_f16 v52, v88, v72, v52
	;;#ASMEND
	;;#ASMSTART
	v_dot2_f32_f16 v53, v85, v73, v53
	;;#ASMEND
	;;#ASMSTART
	v_dot2_f32_f16 v53, v86, v74, v53
	;;#ASMEND
	;;#ASMSTART
	v_dot2_f32_f16 v53, v87, v75, v53
	;;#ASMEND
	;;#ASMSTART
	v_dot2_f32_f16 v53, v88, v76, v53
	;;#ASMEND
	;;#ASMSTART
	v_dot2_f32_f16 v54, v85, v77, v54
	;;#ASMEND
	;;#ASMSTART
	v_dot2_f32_f16 v54, v86, v78, v54
	;;#ASMEND
	;;#ASMSTART
	v_dot2_f32_f16 v54, v87, v79, v54
	;;#ASMEND
	;;#ASMSTART
	v_dot2_f32_f16 v54, v88, v80, v54
	;;#ASMEND
	s_waitcnt lgkmcnt(0)
	;;#ASMSTART
	v_dot2_f32_f16 v55, v89, v65, v55
	;;#ASMEND
	;;#ASMSTART
	v_dot2_f32_f16 v55, v90, v66, v55
	;;#ASMEND
	;;#ASMSTART
	v_dot2_f32_f16 v55, v91, v67, v55
	;;#ASMEND
	;;#ASMSTART
	v_dot2_f32_f16 v55, v92, v68, v55
	;;#ASMEND
	;;#ASMSTART
	v_dot2_f32_f16 v56, v89, v69, v56
	;;#ASMEND
	;;#ASMSTART
	v_dot2_f32_f16 v56, v90, v70, v56
	;;#ASMEND
	;;#ASMSTART
	v_dot2_f32_f16 v56, v91, v71, v56
	;;#ASMEND
	;;#ASMSTART
	v_dot2_f32_f16 v56, v92, v72, v56
	;;#ASMEND
	;;#ASMSTART
	v_dot2_f32_f16 v57, v89, v73, v57
	;;#ASMEND
	;;#ASMSTART
	v_dot2_f32_f16 v57, v90, v74, v57
	;;#ASMEND
	;;#ASMSTART
	v_dot2_f32_f16 v57, v91, v75, v57
	;;#ASMEND
	;;#ASMSTART
	v_dot2_f32_f16 v57, v92, v76, v57
	;;#ASMEND
	;;#ASMSTART
	v_dot2_f32_f16 v58, v89, v77, v58
	;;#ASMEND
	;;#ASMSTART
	v_dot2_f32_f16 v58, v90, v78, v58
	;;#ASMEND
	;;#ASMSTART
	v_dot2_f32_f16 v58, v91, v79, v58
	;;#ASMEND
	;;#ASMSTART
	v_dot2_f32_f16 v58, v92, v80, v58
	;;#ASMEND
	ds_load_b128 v[10:13], v203 offset:112
	ds_load_b128 v[65:68], v204 offset:240
	ds_load_b128 v[69:72], v204 offset:496
	ds_load_b128 v[73:76], v204 offset:752
	ds_load_b128 v[77:80], v204 offset:1008
	ds_load_b128 v[81:84], v203 offset:4720
	ds_load_b128 v[85:88], v203 offset:9328
	ds_load_b128 v[89:92], v203 offset:13936
	s_waitcnt lgkmcnt(6)
	;;#ASMSTART
	v_dot2_f32_f16 v43, v10, v65, v43
	;;#ASMEND
	;;#ASMSTART
	v_dot2_f32_f16 v43, v11, v66, v43
	;;#ASMEND
	;;#ASMSTART
	v_dot2_f32_f16 v43, v12, v67, v43
	;;#ASMEND
	;;#ASMSTART
	v_dot2_f32_f16 v43, v13, v68, v43
	;;#ASMEND
	s_waitcnt lgkmcnt(5)
	;;#ASMSTART
	v_dot2_f32_f16 v44, v10, v69, v44
	;;#ASMEND
	;;#ASMSTART
	v_dot2_f32_f16 v44, v11, v70, v44
	;;#ASMEND
	;;#ASMSTART
	v_dot2_f32_f16 v44, v12, v71, v44
	;;#ASMEND
	;;#ASMSTART
	v_dot2_f32_f16 v44, v13, v72, v44
	;;#ASMEND
	;; [unrolled: 13-line block ×5, first 2 shown]
	;;#ASMSTART
	v_dot2_f32_f16 v48, v81, v69, v48
	;;#ASMEND
	;;#ASMSTART
	v_dot2_f32_f16 v48, v82, v70, v48
	;;#ASMEND
	;; [unrolled: 3-line block ×12, first 2 shown]
	s_waitcnt lgkmcnt(1)
	;;#ASMSTART
	v_dot2_f32_f16 v51, v85, v65, v51
	;;#ASMEND
	;;#ASMSTART
	v_dot2_f32_f16 v51, v86, v66, v51
	;;#ASMEND
	;; [unrolled: 3-line block ×16, first 2 shown]
	s_waitcnt lgkmcnt(0)
	;;#ASMSTART
	v_dot2_f32_f16 v55, v89, v65, v55
	;;#ASMEND
	;;#ASMSTART
	v_dot2_f32_f16 v55, v90, v66, v55
	;;#ASMEND
	;; [unrolled: 3-line block ×16, first 2 shown]
	s_clause 0x7
	flat_load_u16 v65, v[8:9]
	flat_load_u16 v66, v[8:9] offset:64
	flat_load_u16 v67, v[8:9] offset:128
	;; [unrolled: 1-line block ×3, first 2 shown]
	flat_load_u16 v69, v[6:7]
	flat_load_u16 v70, v[6:7] offset:64
	flat_load_u16 v71, v[6:7] offset:128
	flat_load_u16 v72, v[6:7] offset:192
	s_waitcnt vmcnt(0) lgkmcnt(0)
	s_barrier
	buffer_gl0_inv
	s_clause 0x3
	global_load_b128 v[4:7], v[4:5], off
	global_load_b128 v[8:11], v[0:1], off
	;; [unrolled: 1-line block ×4, first 2 shown]
	v_cvt_f32_f16_e32 v0, v65
	v_cvt_f32_f16_e32 v1, v66
	;; [unrolled: 1-line block ×6, first 2 shown]
	v_add_f32_e32 v47, v47, v1
	v_add_f32_e32 v43, v43, v0
	v_cvt_f32_f16_e32 v67, v71
	v_cvt_f32_f16_e32 v68, v72
	v_dual_add_f32 v49, v49, v66 :: v_dual_add_f32 v56, v56, v3
	v_dual_add_f32 v51, v51, v2 :: v_dual_add_f32 v44, v44, v0
	v_add_f32_e32 v48, v48, v1
	v_dual_add_f32 v52, v52, v2 :: v_dual_add_f32 v45, v45, v65
	v_dual_add_f32 v55, v55, v3 :: v_dual_add_f32 v46, v46, v65
	;; [unrolled: 1-line block ×3, first 2 shown]
	s_delay_alu instid0(VALU_DEP_4)
	v_dual_add_f32 v1, 0x40051340, v48 :: v_dual_add_f32 v2, 0x40051340, v49
	v_add_f32_e32 v65, 0x40051340, v43
	v_dual_add_f32 v53, v53, v67 :: v_dual_add_f32 v50, v50, v66
	v_add_f32_e32 v54, v54, v67
	v_add_f32_e32 v58, v58, v68
	v_dual_add_f32 v66, 0x40051340, v44 :: v_dual_add_f32 v67, 0x40051340, v51
	v_dual_add_f32 v68, 0x40051340, v52 :: v_dual_add_f32 v69, 0x40051340, v55
	v_max3_f32 v0, v42, v65, v0
	v_dual_add_f32 v3, 0x40051340, v50 :: v_dual_add_f32 v70, 0x40051340, v56
	v_dual_add_f32 v71, 0x40051340, v45 :: v_dual_add_f32 v72, 0x40051340, v46
	v_add_f32_e32 v73, 0x40051340, v53
	s_delay_alu instid0(VALU_DEP_4)
	v_max3_f32 v0, v0, v67, v69
	v_max3_f32 v1, v41, v66, v1
	v_dual_add_f32 v74, 0x40051340, v54 :: v_dual_add_f32 v75, 0x40051340, v57
	v_max3_f32 v3, v39, v72, v3
	ds_bpermute_b32 v65, v64, v0
	v_add_f32_e32 v76, 0x40051340, v58
	v_max3_f32 v2, v40, v71, v2
	v_max3_f32 v1, v1, v68, v70
	s_delay_alu instid0(VALU_DEP_2)
	v_max3_f32 v2, v2, v73, v75
	ds_bpermute_b32 v66, v64, v1
	s_waitcnt lgkmcnt(1)
	v_max_f32_e32 v65, v65, v65
	v_max3_f32 v3, v3, v74, v76
	ds_bpermute_b32 v67, v64, v3
	ds_bpermute_b32 v64, v64, v2
	s_waitcnt lgkmcnt(1)
	v_dual_max_f32 v66, v66, v66 :: v_dual_max_f32 v67, v67, v67
	s_waitcnt lgkmcnt(0)
	s_delay_alu instid0(VALU_DEP_1) | instskip(NEXT) | instid1(VALU_DEP_2)
	v_dual_max_f32 v64, v64, v64 :: v_dual_max_f32 v1, v1, v66
	v_dual_max_f32 v0, v0, v65 :: v_dual_max_f32 v3, v3, v67
	ds_bpermute_b32 v65, v63, v1
	v_max_f32_e32 v2, v2, v64
	ds_bpermute_b32 v64, v63, v0
	ds_bpermute_b32 v66, v63, v3
	s_waitcnt lgkmcnt(2)
	v_max_f32_e32 v65, v65, v65
	ds_bpermute_b32 v63, v63, v2
	s_waitcnt lgkmcnt(2)
	v_max_f32_e32 v64, v64, v64
	s_waitcnt lgkmcnt(1)
	v_dual_max_f32 v66, v66, v66 :: v_dual_max_f32 v1, v1, v65
	s_delay_alu instid0(VALU_DEP_1)
	v_max_f32_e32 v3, v3, v66
	ds_bpermute_b32 v65, v62, v3
	s_waitcnt lgkmcnt(1)
	v_dual_max_f32 v63, v63, v63 :: v_dual_max_f32 v0, v0, v64
	ds_bpermute_b32 v64, v62, v1
	v_max_f32_e32 v2, v2, v63
	ds_bpermute_b32 v63, v62, v0
	s_waitcnt lgkmcnt(2)
	v_max_f32_e32 v65, v65, v65
	ds_bpermute_b32 v62, v62, v2
	s_waitcnt lgkmcnt(2)
	v_dual_max_f32 v3, v3, v65 :: v_dual_max_f32 v64, v64, v64
	s_waitcnt lgkmcnt(1)
	v_max_f32_e32 v63, v63, v63
	s_delay_alu instid0(VALU_DEP_2)
	v_max_f32_e32 v1, v1, v64
	ds_bpermute_b32 v64, v61, v3
	v_max_f32_e32 v0, v0, v63
	ds_bpermute_b32 v63, v61, v1
	s_waitcnt lgkmcnt(2)
	v_max_f32_e32 v62, v62, v62
	s_delay_alu instid0(VALU_DEP_1)
	v_max_f32_e32 v2, v2, v62
	ds_bpermute_b32 v62, v61, v0
	s_waitcnt lgkmcnt(1)
	v_max_f32_e32 v63, v63, v63
	ds_bpermute_b32 v61, v61, v2
	v_dual_max_f32 v64, v64, v64 :: v_dual_max_f32 v1, v1, v63
	s_waitcnt lgkmcnt(1)
	s_delay_alu instid0(VALU_DEP_1)
	v_dual_max_f32 v62, v62, v62 :: v_dual_max_f32 v3, v3, v64
	ds_bpermute_b32 v63, v60, v3
	s_waitcnt lgkmcnt(1)
	v_dual_max_f32 v61, v61, v61 :: v_dual_max_f32 v0, v0, v62
	ds_bpermute_b32 v62, v60, v1
	v_max_f32_e32 v2, v2, v61
	ds_bpermute_b32 v61, v60, v0
	s_waitcnt lgkmcnt(2)
	v_max_f32_e32 v63, v63, v63
	ds_bpermute_b32 v60, v60, v2
	s_waitcnt lgkmcnt(2)
	v_dual_max_f32 v3, v3, v63 :: v_dual_max_f32 v62, v62, v62
	s_delay_alu instid0(VALU_DEP_1)
	v_sub_f32_e32 v39, v39, v3
	v_sub_f32_e32 v54, v54, v3
	s_waitcnt lgkmcnt(1)
	v_dual_sub_f32 v46, v46, v3 :: v_dual_max_f32 v61, v61, v61
	v_max_f32_e32 v1, v1, v62
	v_mul_f32_e32 v79, 0x3fb8aa3b, v39
	s_delay_alu instid0(VALU_DEP_3) | instskip(NEXT) | instid1(VALU_DEP_4)
	v_dual_sub_f32 v50, v50, v3 :: v_dual_mul_f32 v71, 0x3fb8aa3b, v46
	v_max_f32_e32 v0, v0, v61
	s_delay_alu instid0(VALU_DEP_4) | instskip(SKIP_2) | instid1(VALU_DEP_3)
	v_sub_f32_e32 v44, v44, v1
	s_waitcnt lgkmcnt(0)
	v_dual_max_f32 v60, v60, v60 :: v_dual_sub_f32 v41, v41, v1
	v_dual_sub_f32 v48, v48, v1 :: v_dual_sub_f32 v47, v47, v0
	v_sub_f32_e32 v43, v43, v0
	s_delay_alu instid0(VALU_DEP_3) | instskip(SKIP_3) | instid1(VALU_DEP_4)
	v_max_f32_e32 v2, v2, v60
	v_sub_f32_e32 v42, v42, v0
	v_dual_sub_f32 v51, v51, v0 :: v_dual_sub_f32 v52, v52, v1
	v_dual_sub_f32 v55, v55, v0 :: v_dual_sub_f32 v56, v56, v1
	v_dual_sub_f32 v49, v49, v2 :: v_dual_mul_f32 v60, 0x3fb8aa3b, v47
	s_delay_alu instid0(VALU_DEP_4) | instskip(SKIP_2) | instid1(VALU_DEP_4)
	v_dual_mul_f32 v65, 0x3fb8aa3b, v42 :: v_dual_sub_f32 v58, v58, v3
	v_dual_mul_f32 v61, 0x3fb8aa3b, v44 :: v_dual_mul_f32 v62, 0x3fb8aa3b, v43
	v_mul_f32_e32 v67, 0x3fb8aa3b, v52
	v_fma_f32 v80, 0x3fb8aa3b, v47, -v60
	v_rndne_f32_e32 v81, v60
	v_sub_f32_e32 v40, v40, v2
	v_dual_mul_f32 v64, 0x3fb8aa3b, v55 :: v_dual_mul_f32 v69, 0x3fb8aa3b, v41
	v_mul_f32_e32 v70, 0x3fb8aa3b, v49
	v_mul_f32_e32 v78, 0x3fb8aa3b, v58
	v_cmp_ngt_f32_e64 s28, 0xc2ce8ed0, v47
	v_cmp_nlt_f32_e64 s42, 0x42b17218, v47
	v_fma_f32 v84, 0x3fb8aa3b, v43, -v62
	v_rndne_f32_e32 v85, v62
	v_fma_f32 v90, 0x3fb8aa3b, v42, -v65
	v_rndne_f32_e32 v91, v65
	v_dual_fmac_f32 v80, 0x32a5705f, v47 :: v_dual_sub_f32 v47, v60, v81
	v_mul_f32_e32 v75, 0x3fb8aa3b, v40
	v_cmp_ngt_f32_e64 s2, 0xc2ce8ed0, v43
	v_cmp_ngt_f32_e64 s5, 0xc2ce8ed0, v42
	v_cmp_nlt_f32_e64 s22, 0x42b17218, v43
	v_cmp_nlt_f32_e64 s25, 0x42b17218, v42
	v_rndne_f32_e32 v99, v69
	v_rndne_f32_e32 v101, v70
	v_dual_fmac_f32 v84, 0x32a5705f, v43 :: v_dual_sub_f32 v43, v62, v85
	v_fmac_f32_e32 v90, 0x32a5705f, v42
	v_dual_sub_f32 v42, v65, v91 :: v_dual_add_f32 v47, v47, v80
	v_sub_f32_e32 v57, v57, v2
	v_sub_f32_e32 v45, v45, v2
	;; [unrolled: 1-line block ×3, first 2 shown]
	v_dual_mul_f32 v63, 0x3fb8aa3b, v51 :: v_dual_mul_f32 v66, 0x3fb8aa3b, v48
	v_exp_f32_e32 v47, v47
	v_mul_f32_e32 v74, 0x3fb8aa3b, v57
	v_cvt_i32_f32_e32 v60, v81
	v_mul_f32_e32 v68, 0x3fb8aa3b, v56
	v_dual_mul_f32 v72, 0x3fb8aa3b, v45 :: v_dual_mul_f32 v77, 0x3fb8aa3b, v54
	v_dual_mul_f32 v73, 0x3fb8aa3b, v53 :: v_dual_mul_f32 v76, 0x3fb8aa3b, v50
	v_fma_f32 v92, 0x3fb8aa3b, v48, -v66
	v_rndne_f32_e32 v93, v66
	v_fma_f32 v118, 0x3fb8aa3b, v39, -v79
	v_rndne_f32_e32 v119, v79
	v_ldexp_f32 v47, v47, v60
	v_cmp_ngt_f32_e64 s6, 0xc2ce8ed0, v48
	v_cmp_ngt_f32_e64 s20, 0xc2ce8ed0, v39
	v_cmp_nlt_f32_e64 s26, 0x42b17218, v48
	v_cmp_nlt_f32_e64 s41, 0x42b17218, v39
	v_fma_f32 v82, 0x3fb8aa3b, v44, -v61
	v_fma_f32 v86, 0x3fb8aa3b, v51, -v63
	v_rndne_f32_e32 v87, v63
	v_fma_f32 v96, 0x3fb8aa3b, v56, -v68
	v_rndne_f32_e32 v97, v68
	v_fma_f32 v100, 0x3fb8aa3b, v49, -v70
	v_fma_f32 v104, 0x3fb8aa3b, v45, -v72
	v_rndne_f32_e32 v105, v72
	v_fma_f32 v106, 0x3fb8aa3b, v53, -v73
	v_rndne_f32_e32 v107, v73
	v_fmac_f32_e32 v92, 0x32a5705f, v48
	v_sub_f32_e32 v48, v66, v93
	v_fmac_f32_e32 v118, 0x32a5705f, v39
	v_sub_f32_e32 v39, v79, v119
	v_cndmask_b32_e64 v47, 0, v47, s28
	v_cmp_ngt_f32_e64 s3, 0xc2ce8ed0, v51
	v_cmp_ngt_f32_e64 s8, 0xc2ce8ed0, v56
	;; [unrolled: 1-line block ×5, first 2 shown]
	v_cmp_nlt_f32_e64 s23, 0x42b17218, v51
	v_cmp_nlt_f32_e64 s29, 0x42b17218, v56
	;; [unrolled: 1-line block ×5, first 2 shown]
	v_fma_f32 v94, 0x3fb8aa3b, v52, -v67
	v_fmac_f32_e32 v82, 0x32a5705f, v44
	v_fmac_f32_e32 v86, 0x32a5705f, v51
	v_dual_sub_f32 v51, v63, v87 :: v_dual_fmac_f32 v104, 0x32a5705f, v45
	v_add_f32_e32 v39, v39, v118
	v_sub_f32_e32 v45, v72, v105
	v_fmac_f32_e32 v100, 0x32a5705f, v49
	v_sub_f32_e32 v49, v70, v101
	v_add_f32_e32 v43, v43, v84
	v_cndmask_b32_e64 v47, 0x7f800000, v47, s42
	v_dual_add_f32 v45, v45, v104 :: v_dual_fmac_f32 v106, 0x32a5705f, v53
	v_dual_sub_f32 v53, v73, v107 :: v_dual_fmac_f32 v96, 0x32a5705f, v56
	v_sub_f32_e32 v56, v68, v97
	v_dual_fmac_f32 v94, 0x32a5705f, v52 :: v_dual_add_f32 v51, v51, v86
	v_exp_f32_e32 v43, v43
	v_cvt_i32_f32_e32 v62, v85
	v_exp_f32_e32 v39, v39
	v_cvt_i32_f32_e32 v63, v87
	;; [unrolled: 2-line block ×3, first 2 shown]
	v_rndne_f32_e32 v83, v61
	v_fma_f32 v88, 0x3fb8aa3b, v55, -v64
	v_rndne_f32_e32 v89, v64
	v_fma_f32 v98, 0x3fb8aa3b, v41, -v69
	v_ldexp_f32 v43, v43, v62
	v_fma_f32 v108, 0x3fb8aa3b, v57, -v74
	v_ldexp_f32 v39, v39, v79
	v_rndne_f32_e32 v109, v74
	v_ldexp_f32 v51, v51, v63
	v_cndmask_b32_e64 v43, 0, v43, s2
	v_cmp_ngt_f32_e32 vcc_lo, 0xc2ce8ed0, v44
	v_cndmask_b32_e64 v39, 0, v39, s20
	v_cmp_ngt_f32_e64 s4, 0xc2ce8ed0, v55
	v_cndmask_b32_e64 v51, 0, v51, s3
	v_cndmask_b32_e64 v43, 0x7f800000, v43, s22
	v_cmp_ngt_f32_e64 s9, 0xc2ce8ed0, v41
	v_cmp_ngt_f32_e64 s15, 0xc2ce8ed0, v57
	v_cmp_nlt_f32_e64 s21, 0x42b17218, v44
	v_cmp_nlt_f32_e64 s24, 0x42b17218, v55
	;; [unrolled: 1-line block ×4, first 2 shown]
	v_rndne_f32_e32 v95, v67
	v_sub_f32_e32 v44, v61, v83
	v_dual_fmac_f32 v88, 0x32a5705f, v55 :: v_dual_sub_f32 v55, v64, v89
	v_cndmask_b32_e64 v51, 0x7f800000, v51, s23
	v_cndmask_b32_e64 v241, 0x7f800000, v39, s41
	v_dual_add_f32 v39, v43, v47 :: v_dual_fmac_f32 v108, 0x32a5705f, v57
	v_sub_f32_e32 v57, v74, v109
	v_dual_fmac_f32 v98, 0x32a5705f, v41 :: v_dual_add_f32 v55, v55, v88
	v_sub_f32_e32 v41, v69, v99
	v_cmp_ngt_f32_e64 s7, 0xc2ce8ed0, v52
	v_cmp_nlt_f32_e64 s27, 0x42b17218, v52
	v_sub_f32_e32 v52, v67, v95
	v_cvt_i32_f32_e32 v69, v99
	v_add_f32_e32 v41, v41, v98
	v_fma_f32 v116, 0x3fb8aa3b, v58, -v78
	v_rndne_f32_e32 v117, v78
	v_cmp_ngt_f32_e64 s19, 0xc2ce8ed0, v58
	v_cmp_nlt_f32_e64 s40, 0x42b17218, v58
	v_exp_f32_e32 v41, v41
	v_fma_f32 v102, 0x3fb8aa3b, v46, -v71
	v_add_f32_e32 v42, v42, v90
	v_add_f32_e32 v48, v48, v92
	v_dual_add_f32 v52, v52, v94 :: v_dual_add_f32 v49, v49, v100
	s_delay_alu instid0(VALU_DEP_4) | instskip(SKIP_2) | instid1(TRANS32_DEP_2)
	v_fmac_f32_e32 v102, 0x32a5705f, v46
	v_dual_add_f32 v53, v53, v106 :: v_dual_add_f32 v56, v56, v96
	v_exp_f32_e32 v42, v42
	v_ldexp_f32 v41, v41, v69
	v_exp_f32_e32 v48, v48
	v_exp_f32_e32 v52, v52
	;; [unrolled: 1-line block ×4, first 2 shown]
	v_cndmask_b32_e64 v41, 0, v41, s9
	v_exp_f32_e32 v45, v45
	v_exp_f32_e32 v53, v53
	v_cvt_i32_f32_e32 v65, v91
	v_cvt_i32_f32_e32 v66, v93
	v_cndmask_b32_e64 v239, 0x7f800000, v41, s30
	v_fmac_f32_e32 v116, 0x32a5705f, v58
	v_sub_f32_e32 v58, v78, v117
	v_cvt_i32_f32_e32 v67, v95
	v_cvt_i32_f32_e32 v68, v97
	;; [unrolled: 1-line block ×4, first 2 shown]
	v_add_f32_e32 v58, v58, v116
	v_cvt_i32_f32_e32 v73, v107
	v_cvt_i32_f32_e32 v78, v117
	v_add_f32_e32 v44, v44, v82
	v_ldexp_f32 v42, v42, v65
	v_exp_f32_e32 v58, v58
	v_ldexp_f32 v48, v48, v66
	v_ldexp_f32 v52, v52, v67
	;; [unrolled: 1-line block ×6, first 2 shown]
	v_fma_f32 v110, 0x3fb8aa3b, v40, -v75
	v_rndne_f32_e32 v111, v75
	v_fma_f32 v112, 0x3fb8aa3b, v50, -v76
	v_ldexp_f32 v58, v58, v78
	v_rndne_f32_e32 v113, v76
	v_fma_f32 v114, 0x3fb8aa3b, v54, -v77
	v_rndne_f32_e32 v115, v77
	v_exp_f32_e32 v44, v44
	v_cndmask_b32_e64 v42, 0, v42, s5
	v_cndmask_b32_e64 v48, 0, v48, s6
	;; [unrolled: 1-line block ×8, first 2 shown]
	v_cmp_ngt_f32_e64 s16, 0xc2ce8ed0, v40
	v_cmp_ngt_f32_e64 s17, 0xc2ce8ed0, v50
	;; [unrolled: 1-line block ×3, first 2 shown]
	v_cmp_nlt_f32_e64 s37, 0x42b17218, v40
	v_cmp_nlt_f32_e64 s38, 0x42b17218, v50
	;; [unrolled: 1-line block ×3, first 2 shown]
	v_cvt_i32_f32_e32 v61, v83
	v_fmac_f32_e32 v114, 0x32a5705f, v54
	v_sub_f32_e32 v54, v77, v115
	v_cndmask_b32_e64 v223, 0x7f800000, v42, s25
	v_cndmask_b32_e64 v42, 0x7f800000, v48, s26
	;; [unrolled: 1-line block ×4, first 2 shown]
	v_fmac_f32_e32 v112, 0x32a5705f, v50
	v_cndmask_b32_e64 v41, 0x7f800000, v49, s31
	v_cndmask_b32_e64 v45, 0x7f800000, v45, s34
	v_fmac_f32_e32 v110, 0x32a5705f, v40
	v_sub_f32_e32 v40, v75, v111
	v_cndmask_b32_e64 v49, 0x7f800000, v53, s35
	v_cndmask_b32_e64 v53, 0x7f800000, v58, s40
	v_sub_f32_e32 v50, v76, v113
	v_add_f32_e32 v54, v54, v114
	v_ldexp_f32 v44, v44, v61
	v_dual_add_f32 v61, v45, v41 :: v_dual_add_f32 v40, v40, v110
	s_delay_alu instid0(VALU_DEP_4) | instskip(NEXT) | instid1(VALU_DEP_4)
	v_add_f32_e32 v50, v50, v112
	v_exp_f32_e32 v54, v54
	v_cvt_i32_f32_e32 v75, v111
	v_cvt_i32_f32_e32 v76, v113
	v_exp_f32_e32 v40, v40
	v_exp_f32_e32 v50, v50
	v_cvt_i32_f32_e32 v77, v115
	v_rndne_f32_e32 v103, v71
	v_cmp_ngt_f32_e64 s11, 0xc2ce8ed0, v46
	v_cmp_nlt_f32_e64 s33, 0x42b17218, v46
	v_exp_f32_e32 v55, v55
	v_ldexp_f32 v54, v54, v77
	v_cvt_i32_f32_e32 v64, v89
	v_cvt_i32_f32_e32 v74, v109
	v_ldexp_f32 v40, v40, v75
	v_ldexp_f32 v50, v50, v76
	v_cndmask_b32_e64 v54, 0, v54, s18
	v_cndmask_b32_e32 v44, 0, v44, vcc_lo
	v_cvt_f16_f32_e32 v47, v47
	v_cndmask_b32_e64 v40, 0, v40, s16
	v_cndmask_b32_e64 v50, 0, v50, s17
	v_ldexp_f32 v55, v55, v64
	v_cndmask_b32_e64 v44, 0x7f800000, v44, s21
	v_cvt_f16_f32_e32 v43, v43
	v_cndmask_b32_e64 v240, 0x7f800000, v40, s37
	v_cndmask_b32_e64 v40, 0x7f800000, v50, s38
	;; [unrolled: 1-line block ×3, first 2 shown]
	v_cvt_f16_f32_e32 v54, v51
	v_add_f32_e32 v51, v51, v39
	v_dual_sub_f32 v46, v71, v103 :: v_dual_add_f32 v57, v57, v108
	v_cvt_i32_f32_e32 v71, v103
	v_cndmask_b32_e64 v55, 0, v55, s4
	v_cvt_f16_f32_e32 v41, v41
	s_delay_alu instid0(VALU_DEP_4)
	v_add_f32_e32 v46, v46, v102
	v_exp_f32_e32 v57, v57
	v_cvt_f16_f32_e64 v229, v240
	v_cndmask_b32_e64 v55, 0x7f800000, v55, s24
	v_cvt_f16_f32_e32 v45, v45
	v_exp_f32_e32 v46, v46
	v_cvt_f16_f32_e64 v67, v241
	v_cvt_f16_f32_e32 v58, v48
	v_cvt_f16_f32_e32 v56, v55
	v_cvt_f16_f32_e32 v60, v52
	v_cvt_f16_f32_e32 v62, v49
	v_ldexp_f32 v57, v57, v74
	v_cvt_f16_f32_e32 v65, v50
	v_cvt_f16_f32_e32 v66, v53
	v_pk_mul_f16 v230, v229, v31 op_sel_hi:[0,1]
	v_ldexp_f32 v46, v46, v71
	v_cndmask_b32_e64 v57, 0, v57, s15
	v_pk_mul_f16 v231, v67, v29 op_sel_hi:[0,1]
	v_pk_mul_f16 v232, v67, v28 op_sel_hi:[0,1]
	v_cvt_f16_f32_e64 v227, v223
	v_cndmask_b32_e64 v46, 0, v46, s11
	v_cndmask_b32_e64 v226, 0x7f800000, v57, s36
	v_cvt_f16_f32_e32 v57, v44
	v_add_f32_e32 v44, v44, v42
	v_cvt_f16_f32_e32 v42, v42
	v_cndmask_b32_e64 v46, 0x7f800000, v46, s33
	v_cvt_f16_f32_e64 v63, v226
	v_pack_b32_f16 v28, v43, v57
	v_add_f32_e32 v48, v48, v44
	v_pack_b32_f16 v39, v47, v42
	v_cvt_f16_f32_e32 v64, v46
	v_add_f32_e32 v46, v46, v40
	v_cvt_f16_f32_e32 v40, v40
	v_pack_b32_f16 v42, v62, v65
	v_pack_b32_f16 v44, v63, v66
	;; [unrolled: 1-line block ×3, first 2 shown]
	v_add_f32_e32 v31, v50, v46
	v_pack_b32_f16 v40, v41, v40
	v_pack_b32_f16 v41, v54, v58
	;; [unrolled: 1-line block ×3, first 2 shown]
	v_cvt_f16_f32_e64 v228, v239
	v_add_f32_e32 v242, v49, v61
	v_dual_add_f32 v224, v55, v51 :: v_dual_add_f32 v225, v52, v48
	v_add_f32_e32 v243, v53, v31
	ds_store_2addr_b64 v214, v[28:29], v[39:40] offset1:32
	ds_store_2addr_b64 v214, v[41:42], v[43:44] offset0:64 offset1:96
	s_waitcnt vmcnt(3)
	ds_store_b128 v207, v[4:7]
	s_waitcnt vmcnt(2)
	ds_store_b128 v210, v[8:11]
	;; [unrolled: 2-line block ×4, first 2 shown]
	s_waitcnt lgkmcnt(0)
	s_barrier
	buffer_gl0_inv
	ds_load_2addr_b64 v[4:7], v209 offset1:32
	ds_load_b128 v[8:11], v208
	ds_load_b128 v[12:15], v208 offset:16
	ds_load_b128 v[16:19], v208 offset:32
	;; [unrolled: 1-line block ×3, first 2 shown]
	ds_load_2addr_b64 v[43:46], v209 offset0:64 offset1:96
	ds_load_2addr_b64 v[47:50], v209 offset0:128 offset1:160
	;; [unrolled: 1-line block ×3, first 2 shown]
	ds_load_2addr_b64 v[55:58], v216 offset1:32
	ds_load_2addr_b64 v[60:63], v216 offset0:64 offset1:96
	ds_load_b128 v[64:67], v208 offset:64
	ds_load_b128 v[68:71], v208 offset:80
	ds_load_2addr_b64 v[72:75], v216 offset0:128 offset1:160
	ds_load_2addr_b64 v[76:79], v216 offset0:192 offset1:224
	ds_load_b128 v[80:83], v208 offset:96
	ds_load_b128 v[84:87], v208 offset:112
	ds_load_2addr_b64 v[88:91], v217 offset1:32
	ds_load_2addr_b64 v[92:95], v217 offset0:64 offset1:96
	ds_load_b128 v[96:99], v208 offset:128
	ds_load_b128 v[100:103], v208 offset:144
	ds_load_2addr_b64 v[104:107], v217 offset0:128 offset1:160
	ds_load_2addr_b64 v[108:111], v217 offset0:192 offset1:224
	ds_load_b128 v[112:115], v208 offset:160
	ds_load_b128 v[116:119], v208 offset:176
	;; [unrolled: 8-line block ×3, first 2 shown]
	ds_load_2addr_b64 v[152:155], v219 offset1:32
	ds_load_2addr_b64 v[156:159], v219 offset0:64 offset1:96
	ds_load_b128 v[160:163], v208 offset:256
	ds_load_b128 v[164:167], v208 offset:272
	s_waitcnt lgkmcnt(34)
	v_pk_mul_f16 v28, v4, v8 op_sel_hi:[1,0]
	v_pk_mul_f16 v35, v227, v35 op_sel_hi:[0,1]
	v_pk_mul_f16 v33, v228, v33 op_sel_hi:[0,1]
	v_pk_mul_f16 v29, v4, v8 op_sel:[0,1]
	v_add_f32_e32 v226, v226, v242
	v_pk_fma_f16 v34, v227, v34, v28 op_sel_hi:[0,1,1]
	v_pk_mul_f16 v28, v4, v9 op_sel_hi:[1,0]
	v_pk_fma_f16 v4, v4, v9, v231 op_sel:[0,1,0]
	v_pk_fma_f16 v32, v228, v32, v29 op_sel_hi:[0,1,1]
	v_pk_fma_f16 v35, v5, v8, v35 op_sel_hi:[1,0,1]
	v_pk_fma_f16 v8, v5, v8, v33 op_sel:[0,1,0]
	v_pk_fma_f16 v227, v229, v30, v28 op_sel_hi:[0,1,1]
	v_pk_fma_f16 v33, v5, v9, v230 op_sel_hi:[1,0,1]
	v_pk_fma_f16 v5, v5, v9, v232 op_sel:[0,1,0]
	v_pk_fma_f16 v4, v6, v11, v4 op_sel:[0,1,0]
	v_pk_fma_f16 v9, v7, v10, v35 op_sel_hi:[1,0,1]
	v_pk_fma_f16 v8, v7, v10, v8 op_sel:[0,1,0]
	v_pk_fma_f16 v231, v7, v11, v33 op_sel_hi:[1,0,1]
	v_pk_fma_f16 v5, v7, v11, v5 op_sel:[0,1,0]
	v_pk_fma_f16 v7, v6, v10, v34 op_sel_hi:[1,0,1]
	v_pk_fma_f16 v10, v6, v10, v32 op_sel:[0,1,0]
	v_pk_fma_f16 v6, v6, v11, v227 op_sel_hi:[1,0,1]
	s_waitcnt lgkmcnt(30)
	v_pk_fma_f16 v4, v43, v13, v4 op_sel:[0,1,0]
	v_pk_fma_f16 v9, v44, v12, v9 op_sel_hi:[1,0,1]
	v_pk_fma_f16 v8, v44, v12, v8 op_sel:[0,1,0]
	v_pk_fma_f16 v11, v44, v13, v231 op_sel_hi:[1,0,1]
	v_pk_fma_f16 v5, v44, v13, v5 op_sel:[0,1,0]
	v_pk_fma_f16 v7, v43, v12, v7 op_sel_hi:[1,0,1]
	v_pk_fma_f16 v10, v43, v12, v10 op_sel:[0,1,0]
	v_pk_fma_f16 v6, v43, v13, v6 op_sel_hi:[1,0,1]
	v_pk_fma_f16 v4, v45, v15, v4 op_sel:[0,1,0]
	v_pk_fma_f16 v9, v46, v14, v9 op_sel_hi:[1,0,1]
	v_pk_fma_f16 v8, v46, v14, v8 op_sel:[0,1,0]
	v_pk_fma_f16 v11, v46, v15, v11 op_sel_hi:[1,0,1]
	v_pk_fma_f16 v5, v46, v15, v5 op_sel:[0,1,0]
	v_pk_fma_f16 v7, v45, v14, v7 op_sel_hi:[1,0,1]
	v_pk_fma_f16 v10, v45, v14, v10 op_sel:[0,1,0]
	v_pk_fma_f16 v6, v45, v15, v6 op_sel_hi:[1,0,1]
	s_waitcnt lgkmcnt(29)
	v_pk_fma_f16 v4, v47, v17, v4 op_sel:[0,1,0]
	v_pk_fma_f16 v9, v48, v16, v9 op_sel_hi:[1,0,1]
	v_pk_fma_f16 v8, v48, v16, v8 op_sel:[0,1,0]
	v_pk_fma_f16 v11, v48, v17, v11 op_sel_hi:[1,0,1]
	v_pk_fma_f16 v5, v48, v17, v5 op_sel:[0,1,0]
	v_pk_fma_f16 v7, v47, v16, v7 op_sel_hi:[1,0,1]
	v_pk_fma_f16 v10, v47, v16, v10 op_sel:[0,1,0]
	v_pk_fma_f16 v6, v47, v17, v6 op_sel_hi:[1,0,1]
	v_pk_fma_f16 v4, v49, v19, v4 op_sel:[0,1,0]
	v_pk_fma_f16 v9, v50, v18, v9 op_sel_hi:[1,0,1]
	v_pk_fma_f16 v8, v50, v18, v8 op_sel:[0,1,0]
	v_pk_fma_f16 v11, v50, v19, v11 op_sel_hi:[1,0,1]
	v_pk_fma_f16 v5, v50, v19, v5 op_sel:[0,1,0]
	v_pk_fma_f16 v7, v49, v18, v7 op_sel_hi:[1,0,1]
	v_pk_fma_f16 v10, v49, v18, v10 op_sel:[0,1,0]
	v_pk_fma_f16 v6, v49, v19, v6 op_sel_hi:[1,0,1]
	s_waitcnt lgkmcnt(28)
	v_pk_fma_f16 v4, v51, v40, v4 op_sel:[0,1,0]
	v_pk_fma_f16 v9, v52, v39, v9 op_sel_hi:[1,0,1]
	v_pk_fma_f16 v8, v52, v39, v8 op_sel:[0,1,0]
	v_pk_fma_f16 v11, v52, v40, v11 op_sel_hi:[1,0,1]
	v_pk_fma_f16 v5, v52, v40, v5 op_sel:[0,1,0]
	v_pk_fma_f16 v7, v51, v39, v7 op_sel_hi:[1,0,1]
	v_pk_fma_f16 v10, v51, v39, v10 op_sel:[0,1,0]
	v_pk_fma_f16 v6, v51, v40, v6 op_sel_hi:[1,0,1]
	v_pk_fma_f16 v4, v53, v42, v4 op_sel:[0,1,0]
	v_pk_fma_f16 v9, v54, v41, v9 op_sel_hi:[1,0,1]
	v_pk_fma_f16 v8, v54, v41, v8 op_sel:[0,1,0]
	v_pk_fma_f16 v11, v54, v42, v11 op_sel_hi:[1,0,1]
	v_pk_fma_f16 v5, v54, v42, v5 op_sel:[0,1,0]
	v_pk_fma_f16 v7, v53, v41, v7 op_sel_hi:[1,0,1]
	v_pk_fma_f16 v10, v53, v41, v10 op_sel:[0,1,0]
	v_pk_fma_f16 v6, v53, v42, v6 op_sel_hi:[1,0,1]
	s_waitcnt lgkmcnt(25)
	v_pk_fma_f16 v4, v55, v65, v4 op_sel:[0,1,0]
	v_pk_fma_f16 v9, v56, v64, v9 op_sel_hi:[1,0,1]
	v_pk_fma_f16 v8, v56, v64, v8 op_sel:[0,1,0]
	v_pk_fma_f16 v11, v56, v65, v11 op_sel_hi:[1,0,1]
	v_pk_fma_f16 v5, v56, v65, v5 op_sel:[0,1,0]
	v_pk_fma_f16 v7, v55, v64, v7 op_sel_hi:[1,0,1]
	v_pk_fma_f16 v10, v55, v64, v10 op_sel:[0,1,0]
	v_pk_fma_f16 v6, v55, v65, v6 op_sel_hi:[1,0,1]
	v_pk_fma_f16 v4, v57, v67, v4 op_sel:[0,1,0]
	v_pk_fma_f16 v9, v58, v66, v9 op_sel_hi:[1,0,1]
	v_pk_fma_f16 v8, v58, v66, v8 op_sel:[0,1,0]
	v_pk_fma_f16 v11, v58, v67, v11 op_sel_hi:[1,0,1]
	v_pk_fma_f16 v5, v58, v67, v5 op_sel:[0,1,0]
	v_pk_fma_f16 v7, v57, v66, v7 op_sel_hi:[1,0,1]
	v_pk_fma_f16 v10, v57, v66, v10 op_sel:[0,1,0]
	v_pk_fma_f16 v6, v57, v67, v6 op_sel_hi:[1,0,1]
	s_waitcnt lgkmcnt(24)
	v_pk_fma_f16 v4, v60, v69, v4 op_sel:[0,1,0]
	v_pk_fma_f16 v9, v61, v68, v9 op_sel_hi:[1,0,1]
	v_pk_fma_f16 v8, v61, v68, v8 op_sel:[0,1,0]
	v_pk_fma_f16 v11, v61, v69, v11 op_sel_hi:[1,0,1]
	v_pk_fma_f16 v5, v61, v69, v5 op_sel:[0,1,0]
	v_pk_fma_f16 v7, v60, v68, v7 op_sel_hi:[1,0,1]
	v_pk_fma_f16 v10, v60, v68, v10 op_sel:[0,1,0]
	v_pk_fma_f16 v6, v60, v69, v6 op_sel_hi:[1,0,1]
	v_pk_fma_f16 v4, v62, v71, v4 op_sel:[0,1,0]
	v_pk_fma_f16 v9, v63, v70, v9 op_sel_hi:[1,0,1]
	v_pk_fma_f16 v8, v63, v70, v8 op_sel:[0,1,0]
	v_pk_fma_f16 v11, v63, v71, v11 op_sel_hi:[1,0,1]
	v_pk_fma_f16 v5, v63, v71, v5 op_sel:[0,1,0]
	v_pk_fma_f16 v7, v62, v70, v7 op_sel_hi:[1,0,1]
	v_pk_fma_f16 v10, v62, v70, v10 op_sel:[0,1,0]
	v_pk_fma_f16 v6, v62, v71, v6 op_sel_hi:[1,0,1]
	s_waitcnt lgkmcnt(21)
	v_pk_fma_f16 v4, v72, v81, v4 op_sel:[0,1,0]
	v_pk_fma_f16 v9, v73, v80, v9 op_sel_hi:[1,0,1]
	v_pk_fma_f16 v8, v73, v80, v8 op_sel:[0,1,0]
	v_pk_fma_f16 v11, v73, v81, v11 op_sel_hi:[1,0,1]
	v_pk_fma_f16 v5, v73, v81, v5 op_sel:[0,1,0]
	v_pk_fma_f16 v7, v72, v80, v7 op_sel_hi:[1,0,1]
	v_pk_fma_f16 v10, v72, v80, v10 op_sel:[0,1,0]
	v_pk_fma_f16 v6, v72, v81, v6 op_sel_hi:[1,0,1]
	v_pk_fma_f16 v4, v74, v83, v4 op_sel:[0,1,0]
	v_pk_fma_f16 v9, v75, v82, v9 op_sel_hi:[1,0,1]
	v_pk_fma_f16 v8, v75, v82, v8 op_sel:[0,1,0]
	v_pk_fma_f16 v11, v75, v83, v11 op_sel_hi:[1,0,1]
	v_pk_fma_f16 v5, v75, v83, v5 op_sel:[0,1,0]
	v_pk_fma_f16 v7, v74, v82, v7 op_sel_hi:[1,0,1]
	v_pk_fma_f16 v10, v74, v82, v10 op_sel:[0,1,0]
	v_pk_fma_f16 v6, v74, v83, v6 op_sel_hi:[1,0,1]
	s_waitcnt lgkmcnt(20)
	v_pk_fma_f16 v4, v76, v85, v4 op_sel:[0,1,0]
	v_pk_fma_f16 v9, v77, v84, v9 op_sel_hi:[1,0,1]
	v_pk_fma_f16 v8, v77, v84, v8 op_sel:[0,1,0]
	v_pk_fma_f16 v11, v77, v85, v11 op_sel_hi:[1,0,1]
	v_pk_fma_f16 v5, v77, v85, v5 op_sel:[0,1,0]
	v_pk_fma_f16 v7, v76, v84, v7 op_sel_hi:[1,0,1]
	v_pk_fma_f16 v10, v76, v84, v10 op_sel:[0,1,0]
	v_pk_fma_f16 v6, v76, v85, v6 op_sel_hi:[1,0,1]
	v_pk_fma_f16 v4, v78, v87, v4 op_sel:[0,1,0]
	v_pk_fma_f16 v9, v79, v86, v9 op_sel_hi:[1,0,1]
	v_pk_fma_f16 v8, v79, v86, v8 op_sel:[0,1,0]
	v_pk_fma_f16 v11, v79, v87, v11 op_sel_hi:[1,0,1]
	v_pk_fma_f16 v5, v79, v87, v5 op_sel:[0,1,0]
	v_pk_fma_f16 v7, v78, v86, v7 op_sel_hi:[1,0,1]
	v_pk_fma_f16 v10, v78, v86, v10 op_sel:[0,1,0]
	v_pk_fma_f16 v6, v78, v87, v6 op_sel_hi:[1,0,1]
	s_waitcnt lgkmcnt(17)
	v_pk_fma_f16 v4, v88, v97, v4 op_sel:[0,1,0]
	v_pk_fma_f16 v9, v89, v96, v9 op_sel_hi:[1,0,1]
	v_pk_fma_f16 v8, v89, v96, v8 op_sel:[0,1,0]
	v_pk_fma_f16 v11, v89, v97, v11 op_sel_hi:[1,0,1]
	v_pk_fma_f16 v5, v89, v97, v5 op_sel:[0,1,0]
	v_pk_fma_f16 v7, v88, v96, v7 op_sel_hi:[1,0,1]
	v_pk_fma_f16 v10, v88, v96, v10 op_sel:[0,1,0]
	v_pk_fma_f16 v6, v88, v97, v6 op_sel_hi:[1,0,1]
	v_pk_fma_f16 v4, v90, v99, v4 op_sel:[0,1,0]
	v_pk_fma_f16 v9, v91, v98, v9 op_sel_hi:[1,0,1]
	v_pk_fma_f16 v8, v91, v98, v8 op_sel:[0,1,0]
	v_pk_fma_f16 v11, v91, v99, v11 op_sel_hi:[1,0,1]
	v_pk_fma_f16 v5, v91, v99, v5 op_sel:[0,1,0]
	v_pk_fma_f16 v7, v90, v98, v7 op_sel_hi:[1,0,1]
	v_pk_fma_f16 v10, v90, v98, v10 op_sel:[0,1,0]
	v_pk_fma_f16 v6, v90, v99, v6 op_sel_hi:[1,0,1]
	s_waitcnt lgkmcnt(16)
	v_pk_fma_f16 v4, v92, v101, v4 op_sel:[0,1,0]
	v_pk_fma_f16 v9, v93, v100, v9 op_sel_hi:[1,0,1]
	v_pk_fma_f16 v8, v93, v100, v8 op_sel:[0,1,0]
	v_pk_fma_f16 v11, v93, v101, v11 op_sel_hi:[1,0,1]
	v_pk_fma_f16 v5, v93, v101, v5 op_sel:[0,1,0]
	v_pk_fma_f16 v7, v92, v100, v7 op_sel_hi:[1,0,1]
	v_pk_fma_f16 v10, v92, v100, v10 op_sel:[0,1,0]
	v_pk_fma_f16 v6, v92, v101, v6 op_sel_hi:[1,0,1]
	v_pk_fma_f16 v4, v94, v103, v4 op_sel:[0,1,0]
	v_pk_fma_f16 v9, v95, v102, v9 op_sel_hi:[1,0,1]
	v_pk_fma_f16 v8, v95, v102, v8 op_sel:[0,1,0]
	v_pk_fma_f16 v11, v95, v103, v11 op_sel_hi:[1,0,1]
	v_pk_fma_f16 v5, v95, v103, v5 op_sel:[0,1,0]
	v_pk_fma_f16 v7, v94, v102, v7 op_sel_hi:[1,0,1]
	v_pk_fma_f16 v10, v94, v102, v10 op_sel:[0,1,0]
	v_pk_fma_f16 v6, v94, v103, v6 op_sel_hi:[1,0,1]
	s_waitcnt lgkmcnt(13)
	v_pk_fma_f16 v4, v104, v113, v4 op_sel:[0,1,0]
	v_pk_fma_f16 v9, v105, v112, v9 op_sel_hi:[1,0,1]
	v_pk_fma_f16 v8, v105, v112, v8 op_sel:[0,1,0]
	v_pk_fma_f16 v11, v105, v113, v11 op_sel_hi:[1,0,1]
	v_pk_fma_f16 v5, v105, v113, v5 op_sel:[0,1,0]
	v_pk_fma_f16 v7, v104, v112, v7 op_sel_hi:[1,0,1]
	v_pk_fma_f16 v10, v104, v112, v10 op_sel:[0,1,0]
	v_pk_fma_f16 v6, v104, v113, v6 op_sel_hi:[1,0,1]
	v_pk_fma_f16 v4, v106, v115, v4 op_sel:[0,1,0]
	v_pk_fma_f16 v9, v107, v114, v9 op_sel_hi:[1,0,1]
	v_pk_fma_f16 v8, v107, v114, v8 op_sel:[0,1,0]
	v_pk_fma_f16 v11, v107, v115, v11 op_sel_hi:[1,0,1]
	v_pk_fma_f16 v5, v107, v115, v5 op_sel:[0,1,0]
	v_pk_fma_f16 v7, v106, v114, v7 op_sel_hi:[1,0,1]
	v_pk_fma_f16 v10, v106, v114, v10 op_sel:[0,1,0]
	v_pk_fma_f16 v6, v106, v115, v6 op_sel_hi:[1,0,1]
	s_waitcnt lgkmcnt(12)
	v_pk_fma_f16 v4, v108, v117, v4 op_sel:[0,1,0]
	v_pk_fma_f16 v9, v109, v116, v9 op_sel_hi:[1,0,1]
	v_pk_fma_f16 v8, v109, v116, v8 op_sel:[0,1,0]
	v_pk_fma_f16 v11, v109, v117, v11 op_sel_hi:[1,0,1]
	v_pk_fma_f16 v5, v109, v117, v5 op_sel:[0,1,0]
	v_pk_fma_f16 v7, v108, v116, v7 op_sel_hi:[1,0,1]
	v_pk_fma_f16 v10, v108, v116, v10 op_sel:[0,1,0]
	v_pk_fma_f16 v6, v108, v117, v6 op_sel_hi:[1,0,1]
	v_pk_fma_f16 v4, v110, v119, v4 op_sel:[0,1,0]
	v_pk_fma_f16 v12, v111, v118, v9 op_sel_hi:[1,0,1]
	v_pk_fma_f16 v13, v111, v118, v8 op_sel:[0,1,0]
	v_pk_fma_f16 v14, v111, v119, v11 op_sel_hi:[1,0,1]
	v_pk_fma_f16 v5, v111, v119, v5 op_sel:[0,1,0]
	v_pk_fma_f16 v7, v110, v118, v7 op_sel_hi:[1,0,1]
	v_pk_fma_f16 v15, v110, v118, v10 op_sel:[0,1,0]
	v_pk_fma_f16 v6, v110, v119, v6 op_sel_hi:[1,0,1]
	s_waitcnt lgkmcnt(9)
	v_pk_fma_f16 v4, v120, v129, v4 op_sel:[0,1,0]
	v_pk_fma_f16 v12, v121, v128, v12 op_sel_hi:[1,0,1]
	v_pk_fma_f16 v13, v121, v128, v13 op_sel:[0,1,0]
	v_pk_fma_f16 v14, v121, v129, v14 op_sel_hi:[1,0,1]
	v_pk_fma_f16 v5, v121, v129, v5 op_sel:[0,1,0]
	v_pk_fma_f16 v7, v120, v128, v7 op_sel_hi:[1,0,1]
	v_pk_fma_f16 v15, v120, v128, v15 op_sel:[0,1,0]
	v_pk_fma_f16 v6, v120, v129, v6 op_sel_hi:[1,0,1]
	v_pk_fma_f16 v116, v122, v131, v4 op_sel:[0,1,0]
	v_pk_fma_f16 v12, v123, v130, v12 op_sel_hi:[1,0,1]
	v_pk_fma_f16 v13, v123, v130, v13 op_sel:[0,1,0]
	v_pk_fma_f16 v14, v123, v131, v14 op_sel_hi:[1,0,1]
	v_pk_fma_f16 v117, v123, v131, v5 op_sel:[0,1,0]
	v_pk_fma_f16 v118, v122, v130, v7 op_sel_hi:[1,0,1]
	v_pk_fma_f16 v15, v122, v130, v15 op_sel:[0,1,0]
	v_pk_fma_f16 v119, v122, v131, v6 op_sel_hi:[1,0,1]
	s_waitcnt lgkmcnt(8)
	v_pk_fma_f16 v116, v124, v133, v116 op_sel:[0,1,0]
	v_pk_fma_f16 v12, v125, v132, v12 op_sel_hi:[1,0,1]
	v_pk_fma_f16 v13, v125, v132, v13 op_sel:[0,1,0]
	v_pk_fma_f16 v14, v125, v133, v14 op_sel_hi:[1,0,1]
	v_pk_fma_f16 v117, v125, v133, v117 op_sel:[0,1,0]
	v_pk_fma_f16 v118, v124, v132, v118 op_sel_hi:[1,0,1]
	v_pk_fma_f16 v15, v124, v132, v15 op_sel:[0,1,0]
	v_pk_fma_f16 v119, v124, v133, v119 op_sel_hi:[1,0,1]
	ds_load_2addr_b64 v[28:31], v219 offset0:128 offset1:160
	ds_load_2addr_b64 v[32:35], v219 offset0:192 offset1:224
	ds_load_b128 v[227:230], v208 offset:288
	ds_load_b128 v[43:46], v208 offset:304
	ds_load_2addr_b64 v[231:234], v220 offset1:32
	ds_load_2addr_b64 v[47:50], v220 offset0:64 offset1:96
	ds_load_b128 v[235:238], v208 offset:320
	ds_load_b128 v[39:42], v208 offset:336
	ds_load_2addr_b64 v[51:54], v220 offset0:128 offset1:160
	ds_load_2addr_b64 v[55:58], v220 offset0:192 offset1:224
	ds_load_b128 v[64:67], v208 offset:352
	ds_load_b128 v[60:63], v208 offset:368
	ds_load_2addr_b64 v[68:71], v221 offset1:32
	ds_load_2addr_b64 v[72:75], v221 offset0:64 offset1:96
	ds_load_b128 v[80:83], v208 offset:384
	ds_load_b128 v[76:79], v208 offset:400
	;; [unrolled: 8-line block ×3, first 2 shown]
	ds_load_2addr_b64 v[8:11], v222 offset0:128 offset1:160
	ds_load_2addr_b64 v[4:7], v222 offset0:192 offset1:224
	ds_load_b128 v[16:19], v208 offset:480
	v_pk_fma_f16 v124, v126, v135, v116 op_sel:[0,1,0]
	v_pk_fma_f16 v125, v127, v134, v12 op_sel_hi:[1,0,1]
	v_pk_fma_f16 v128, v127, v134, v13 op_sel:[0,1,0]
	v_pk_fma_f16 v129, v127, v135, v14 op_sel_hi:[1,0,1]
	;; [unrolled: 2-line block ×4, first 2 shown]
	ds_load_b128 v[12:15], v208 offset:496
	s_waitcnt lgkmcnt(0)
	s_barrier
	buffer_gl0_inv
	s_clause 0x3
	global_load_b128 v[116:119], v[26:27], off
	global_load_b128 v[24:27], v[24:25], off
	;; [unrolled: 1-line block ×4, first 2 shown]
	v_dual_fmac_f32 v224, v38, v223 :: v_dual_mov_b32 v223, v243
	v_dual_fmac_f32 v225, v37, v239 :: v_dual_fmac_f32 v226, v36, v240
	v_pk_fma_f16 v36, v136, v145, v124 op_sel:[0,1,0]
	v_pk_fma_f16 v37, v137, v144, v125 op_sel_hi:[1,0,1]
	s_delay_alu instid0(VALU_DEP_4)
	v_fmac_f32_e32 v223, v59, v241
	v_pk_fma_f16 v38, v137, v144, v128 op_sel:[0,1,0]
	v_pk_fma_f16 v59, v137, v145, v129 op_sel_hi:[1,0,1]
	v_pk_fma_f16 v124, v137, v145, v127 op_sel:[0,1,0]
	v_pk_fma_f16 v125, v136, v144, v130 op_sel_hi:[1,0,1]
	;; [unrolled: 2-line block ×143, first 2 shown]
	s_waitcnt vmcnt(3)
	ds_store_b128 v207, v[116:119]
	s_waitcnt vmcnt(2)
	ds_store_b128 v210, v[24:27]
	;; [unrolled: 2-line block ×4, first 2 shown]
	s_waitcnt lgkmcnt(0)
	s_barrier
	buffer_gl0_inv
	ds_load_2addr_b64 v[112:115], v209 offset1:32
	ds_load_b128 v[124:127], v208 offset:512
	ds_load_b128 v[128:131], v208 offset:528
	;; [unrolled: 1-line block ×4, first 2 shown]
	ds_load_2addr_b64 v[144:147], v209 offset0:64 offset1:96
	ds_load_2addr_b64 v[156:159], v209 offset0:128 offset1:160
	;; [unrolled: 1-line block ×3, first 2 shown]
	ds_load_2addr_b64 v[148:151], v216 offset1:32
	ds_load_2addr_b64 v[132:135], v216 offset0:64 offset1:96
	ds_load_b128 v[164:167], v208 offset:576
	ds_load_b128 v[140:143], v208 offset:592
	ds_load_2addr_b64 v[116:119], v216 offset0:128 offset1:160
	ds_load_2addr_b64 v[100:103], v216 offset0:192 offset1:224
	ds_load_b128 v[136:139], v208 offset:608
	ds_load_b128 v[108:111], v208 offset:624
	ds_load_2addr_b64 v[96:99], v217 offset1:32
	ds_load_2addr_b64 v[84:87], v217 offset0:64 offset1:96
	ds_load_b128 v[104:107], v208 offset:640
	ds_load_b128 v[92:95], v208 offset:656
	ds_load_2addr_b64 v[64:67], v217 offset0:128 offset1:160
	ds_load_2addr_b64 v[24:27], v217 offset0:192 offset1:224
	ds_load_b128 v[88:91], v208 offset:672
	ds_load_b128 v[32:35], v208 offset:688
	;; [unrolled: 8-line block ×3, first 2 shown]
	ds_load_2addr_b64 v[52:55], v219 offset1:32
	ds_load_2addr_b64 v[60:63], v219 offset0:64 offset1:96
	ds_load_b128 v[80:83], v208 offset:768
	ds_load_b128 v[68:71], v208 offset:784
	ds_load_2addr_b64 v[72:75], v219 offset0:128 offset1:160
	s_waitcnt lgkmcnt(35)
	v_pk_fma_f16 v228, v112, v125, v228 op_sel:[0,1,0]
	v_pk_fma_f16 v229, v113, v124, v229 op_sel_hi:[1,0,1]
	v_pk_fma_f16 v230, v113, v124, v230 op_sel:[0,1,0]
	v_pk_fma_f16 v231, v113, v125, v231 op_sel_hi:[1,0,1]
	v_pk_fma_f16 v113, v113, v125, v232 op_sel:[0,1,0]
	v_pk_fma_f16 v227, v112, v124, v227 op_sel_hi:[1,0,1]
	v_pk_fma_f16 v124, v112, v124, v233 op_sel:[0,1,0]
	v_pk_fma_f16 v112, v112, v125, v234 op_sel_hi:[1,0,1]
	v_pk_fma_f16 v228, v114, v127, v228 op_sel:[0,1,0]
	v_pk_fma_f16 v229, v115, v126, v229 op_sel_hi:[1,0,1]
	v_pk_fma_f16 v230, v115, v126, v230 op_sel:[0,1,0]
	v_pk_fma_f16 v231, v115, v127, v231 op_sel_hi:[1,0,1]
	v_pk_fma_f16 v232, v115, v127, v113 op_sel:[0,1,0]
	v_pk_fma_f16 v227, v114, v126, v227 op_sel_hi:[1,0,1]
	v_pk_fma_f16 v233, v114, v126, v124 op_sel:[0,1,0]
	v_pk_fma_f16 v234, v114, v127, v112 op_sel_hi:[1,0,1]
	s_waitcnt lgkmcnt(31)
	v_pk_fma_f16 v228, v144, v129, v228 op_sel:[0,1,0]
	v_pk_fma_f16 v229, v145, v128, v229 op_sel_hi:[1,0,1]
	v_pk_fma_f16 v230, v145, v128, v230 op_sel:[0,1,0]
	v_pk_fma_f16 v231, v145, v129, v231 op_sel_hi:[1,0,1]
	v_pk_fma_f16 v145, v145, v129, v232 op_sel:[0,1,0]
	v_pk_fma_f16 v227, v144, v128, v227 op_sel_hi:[1,0,1]
	v_pk_fma_f16 v128, v144, v128, v233 op_sel:[0,1,0]
	v_pk_fma_f16 v129, v144, v129, v234 op_sel_hi:[1,0,1]
	v_pk_fma_f16 v228, v146, v131, v228 op_sel:[0,1,0]
	v_pk_fma_f16 v229, v147, v130, v229 op_sel_hi:[1,0,1]
	v_pk_fma_f16 v230, v147, v130, v230 op_sel:[0,1,0]
	v_pk_fma_f16 v231, v147, v131, v231 op_sel_hi:[1,0,1]
	v_pk_fma_f16 v232, v147, v131, v145 op_sel:[0,1,0]
	v_pk_fma_f16 v227, v146, v130, v227 op_sel_hi:[1,0,1]
	v_pk_fma_f16 v233, v146, v130, v128 op_sel:[0,1,0]
	v_pk_fma_f16 v234, v146, v131, v129 op_sel_hi:[1,0,1]
	;; [unrolled: 17-line block ×16, first 2 shown]
	ds_load_2addr_b64 v[8:11], v219 offset0:192 offset1:224
	ds_load_b128 v[16:19], v208 offset:800
	s_waitcnt lgkmcnt(4)
	v_pk_fma_f16 v22, v52, v81, v22 op_sel:[0,1,0]
	v_pk_fma_f16 v28, v53, v80, v28 op_sel_hi:[1,0,1]
	v_pk_fma_f16 v30, v53, v80, v30 op_sel:[0,1,0]
	v_pk_fma_f16 v31, v53, v81, v31 op_sel_hi:[1,0,1]
	v_pk_fma_f16 v21, v53, v81, v21 op_sel:[0,1,0]
	v_pk_fma_f16 v23, v52, v80, v23 op_sel_hi:[1,0,1]
	v_pk_fma_f16 v29, v52, v80, v29 op_sel:[0,1,0]
	v_pk_fma_f16 v20, v52, v81, v20 op_sel_hi:[1,0,1]
	v_pk_fma_f16 v22, v54, v83, v22 op_sel:[0,1,0]
	v_pk_fma_f16 v28, v55, v82, v28 op_sel_hi:[1,0,1]
	v_pk_fma_f16 v30, v55, v82, v30 op_sel:[0,1,0]
	v_pk_fma_f16 v31, v55, v83, v31 op_sel_hi:[1,0,1]
	v_pk_fma_f16 v21, v55, v83, v21 op_sel:[0,1,0]
	v_pk_fma_f16 v23, v54, v82, v23 op_sel_hi:[1,0,1]
	v_pk_fma_f16 v29, v54, v82, v29 op_sel:[0,1,0]
	v_pk_fma_f16 v20, v54, v83, v20 op_sel_hi:[1,0,1]
	s_waitcnt lgkmcnt(3)
	v_pk_fma_f16 v22, v60, v69, v22 op_sel:[0,1,0]
	v_pk_fma_f16 v28, v61, v68, v28 op_sel_hi:[1,0,1]
	v_pk_fma_f16 v30, v61, v68, v30 op_sel:[0,1,0]
	v_pk_fma_f16 v31, v61, v69, v31 op_sel_hi:[1,0,1]
	;; [unrolled: 2-line block ×4, first 2 shown]
	ds_load_b128 v[12:15], v208 offset:816
	ds_load_2addr_b64 v[4:7], v220 offset1:32
	v_pk_fma_f16 v22, v62, v71, v22 op_sel:[0,1,0]
	v_pk_fma_f16 v28, v63, v70, v28 op_sel_hi:[1,0,1]
	v_pk_fma_f16 v30, v63, v70, v30 op_sel:[0,1,0]
	v_pk_fma_f16 v31, v63, v71, v31 op_sel_hi:[1,0,1]
	;; [unrolled: 2-line block ×4, first 2 shown]
	ds_load_2addr_b64 v[112:115], v220 offset0:64 offset1:96
	ds_load_b128 v[124:127], v208 offset:832
	s_waitcnt lgkmcnt(4)
	v_pk_fma_f16 v22, v72, v17, v22 op_sel:[0,1,0]
	v_pk_fma_f16 v28, v73, v16, v28 op_sel_hi:[1,0,1]
	v_pk_fma_f16 v30, v73, v16, v30 op_sel:[0,1,0]
	v_pk_fma_f16 v31, v73, v17, v31 op_sel_hi:[1,0,1]
	v_pk_fma_f16 v21, v73, v17, v21 op_sel:[0,1,0]
	v_pk_fma_f16 v23, v72, v16, v23 op_sel_hi:[1,0,1]
	v_pk_fma_f16 v16, v72, v16, v29 op_sel:[0,1,0]
	v_pk_fma_f16 v17, v72, v17, v20 op_sel_hi:[1,0,1]
	v_pk_fma_f16 v20, v74, v19, v22 op_sel:[0,1,0]
	v_pk_fma_f16 v22, v75, v18, v28 op_sel_hi:[1,0,1]
	v_pk_fma_f16 v28, v75, v18, v30 op_sel:[0,1,0]
	v_pk_fma_f16 v29, v75, v19, v31 op_sel_hi:[1,0,1]
	v_pk_fma_f16 v21, v75, v19, v21 op_sel:[0,1,0]
	v_pk_fma_f16 v23, v74, v18, v23 op_sel_hi:[1,0,1]
	v_pk_fma_f16 v16, v74, v18, v16 op_sel:[0,1,0]
	v_pk_fma_f16 v17, v74, v19, v17 op_sel_hi:[1,0,1]
	s_waitcnt lgkmcnt(3)
	v_pk_fma_f16 v18, v8, v13, v20 op_sel:[0,1,0]
	v_pk_fma_f16 v19, v9, v12, v22 op_sel_hi:[1,0,1]
	v_pk_fma_f16 v20, v9, v12, v28 op_sel:[0,1,0]
	v_pk_fma_f16 v22, v9, v13, v29 op_sel_hi:[1,0,1]
	;; [unrolled: 2-line block ×4, first 2 shown]
	ds_load_b128 v[144:147], v208 offset:848
	ds_load_2addr_b64 v[128:131], v220 offset0:128 offset1:160
	v_pk_fma_f16 v13, v10, v15, v18 op_sel:[0,1,0]
	v_pk_fma_f16 v16, v11, v14, v19 op_sel_hi:[1,0,1]
	v_pk_fma_f16 v17, v11, v14, v20 op_sel:[0,1,0]
	v_pk_fma_f16 v18, v11, v15, v22 op_sel_hi:[1,0,1]
	;; [unrolled: 2-line block ×4, first 2 shown]
	ds_load_2addr_b64 v[152:155], v220 offset0:192 offset1:224
	ds_load_b128 v[156:159], v208 offset:864
	s_waitcnt lgkmcnt(4)
	v_pk_fma_f16 v10, v4, v125, v13 op_sel:[0,1,0]
	v_pk_fma_f16 v13, v5, v124, v16 op_sel_hi:[1,0,1]
	v_pk_fma_f16 v14, v5, v124, v17 op_sel:[0,1,0]
	v_pk_fma_f16 v15, v5, v125, v18 op_sel_hi:[1,0,1]
	;; [unrolled: 2-line block ×8, first 2 shown]
	s_waitcnt lgkmcnt(3)
	v_pk_fma_f16 v6, v112, v145, v8 op_sel:[0,1,0]
	v_pk_fma_f16 v8, v113, v144, v10 op_sel_hi:[1,0,1]
	v_pk_fma_f16 v10, v113, v144, v12 op_sel:[0,1,0]
	v_pk_fma_f16 v11, v113, v145, v13 op_sel_hi:[1,0,1]
	;; [unrolled: 2-line block ×4, first 2 shown]
	ds_load_b128 v[160:163], v208 offset:880
	ds_load_2addr_b64 v[120:123], v221 offset1:32
	v_pk_fma_f16 v6, v114, v147, v6 op_sel:[0,1,0]
	v_pk_fma_f16 v8, v115, v146, v8 op_sel_hi:[1,0,1]
	v_pk_fma_f16 v10, v115, v146, v10 op_sel:[0,1,0]
	v_pk_fma_f16 v11, v115, v147, v11 op_sel_hi:[1,0,1]
	;; [unrolled: 2-line block ×4, first 2 shown]
	ds_load_2addr_b64 v[148:151], v221 offset0:64 offset1:96
	ds_load_b128 v[164:167], v208 offset:896
	s_waitcnt lgkmcnt(4)
	v_pk_fma_f16 v6, v128, v157, v6 op_sel:[0,1,0]
	v_pk_fma_f16 v8, v129, v156, v8 op_sel_hi:[1,0,1]
	v_pk_fma_f16 v10, v129, v156, v10 op_sel:[0,1,0]
	v_pk_fma_f16 v11, v129, v157, v11 op_sel_hi:[1,0,1]
	;; [unrolled: 2-line block ×8, first 2 shown]
	s_waitcnt lgkmcnt(3)
	v_pk_fma_f16 v6, v152, v161, v6 op_sel:[0,1,0]
	v_pk_fma_f16 v8, v153, v160, v8 op_sel_hi:[1,0,1]
	v_pk_fma_f16 v10, v153, v160, v10 op_sel:[0,1,0]
	v_pk_fma_f16 v11, v153, v161, v11 op_sel_hi:[1,0,1]
	;; [unrolled: 2-line block ×4, first 2 shown]
	ds_load_b128 v[132:135], v208 offset:912
	ds_load_2addr_b64 v[140:143], v221 offset0:128 offset1:160
	v_pk_fma_f16 v6, v154, v163, v6 op_sel:[0,1,0]
	v_pk_fma_f16 v8, v155, v162, v8 op_sel_hi:[1,0,1]
	v_pk_fma_f16 v10, v155, v162, v10 op_sel:[0,1,0]
	v_pk_fma_f16 v11, v155, v163, v11 op_sel_hi:[1,0,1]
	;; [unrolled: 2-line block ×4, first 2 shown]
	ds_load_2addr_b64 v[116:119], v221 offset0:192 offset1:224
	ds_load_b128 v[136:139], v208 offset:928
	s_waitcnt lgkmcnt(4)
	v_pk_fma_f16 v6, v120, v165, v6 op_sel:[0,1,0]
	v_pk_fma_f16 v8, v121, v164, v8 op_sel_hi:[1,0,1]
	v_pk_fma_f16 v10, v121, v164, v10 op_sel:[0,1,0]
	v_pk_fma_f16 v11, v121, v165, v11 op_sel_hi:[1,0,1]
	;; [unrolled: 2-line block ×8, first 2 shown]
	s_waitcnt lgkmcnt(3)
	v_pk_fma_f16 v6, v148, v133, v6 op_sel:[0,1,0]
	v_pk_fma_f16 v8, v149, v132, v8 op_sel_hi:[1,0,1]
	v_pk_fma_f16 v10, v149, v132, v10 op_sel:[0,1,0]
	v_pk_fma_f16 v11, v149, v133, v11 op_sel_hi:[1,0,1]
	;; [unrolled: 2-line block ×4, first 2 shown]
	ds_load_b128 v[100:103], v208 offset:944
	ds_load_2addr_b64 v[108:111], v222 offset1:32
	v_pk_fma_f16 v6, v150, v135, v6 op_sel:[0,1,0]
	v_pk_fma_f16 v8, v151, v134, v8 op_sel_hi:[1,0,1]
	v_pk_fma_f16 v10, v151, v134, v10 op_sel:[0,1,0]
	v_pk_fma_f16 v11, v151, v135, v11 op_sel_hi:[1,0,1]
	;; [unrolled: 2-line block ×4, first 2 shown]
	ds_load_2addr_b64 v[96:99], v222 offset0:64 offset1:96
	ds_load_b128 v[104:107], v208 offset:960
	s_waitcnt lgkmcnt(4)
	v_pk_fma_f16 v6, v140, v137, v6 op_sel:[0,1,0]
	v_pk_fma_f16 v8, v141, v136, v8 op_sel_hi:[1,0,1]
	v_pk_fma_f16 v10, v141, v136, v10 op_sel:[0,1,0]
	v_pk_fma_f16 v11, v141, v137, v11 op_sel_hi:[1,0,1]
	;; [unrolled: 2-line block ×8, first 2 shown]
	s_waitcnt lgkmcnt(3)
	v_pk_fma_f16 v6, v116, v101, v6 op_sel:[0,1,0]
	v_pk_fma_f16 v8, v117, v100, v8 op_sel_hi:[1,0,1]
	v_pk_fma_f16 v10, v117, v100, v10 op_sel:[0,1,0]
	v_pk_fma_f16 v11, v117, v101, v11 op_sel_hi:[1,0,1]
	;; [unrolled: 2-line block ×4, first 2 shown]
	ds_load_b128 v[84:87], v208 offset:976
	ds_load_2addr_b64 v[92:95], v222 offset0:128 offset1:160
	v_pk_fma_f16 v6, v118, v103, v6 op_sel:[0,1,0]
	v_pk_fma_f16 v8, v119, v102, v8 op_sel_hi:[1,0,1]
	v_pk_fma_f16 v10, v119, v102, v10 op_sel:[0,1,0]
	v_pk_fma_f16 v11, v119, v103, v11 op_sel_hi:[1,0,1]
	;; [unrolled: 2-line block ×4, first 2 shown]
	ds_load_2addr_b64 v[64:67], v222 offset0:192 offset1:224
	ds_load_b128 v[88:91], v208 offset:992
	s_waitcnt lgkmcnt(4)
	v_pk_fma_f16 v6, v108, v105, v6 op_sel:[0,1,0]
	v_pk_fma_f16 v8, v109, v104, v8 op_sel_hi:[1,0,1]
	v_pk_fma_f16 v10, v109, v104, v10 op_sel:[0,1,0]
	v_pk_fma_f16 v11, v109, v105, v11 op_sel_hi:[1,0,1]
	;; [unrolled: 2-line block ×8, first 2 shown]
	ds_load_b128 v[24:27], v208 offset:1008
	s_waitcnt lgkmcnt(4)
	v_pk_fma_f16 v6, v96, v85, v6 op_sel:[0,1,0]
	v_pk_fma_f16 v8, v97, v84, v8 op_sel_hi:[1,0,1]
	v_pk_fma_f16 v10, v97, v84, v10 op_sel:[0,1,0]
	v_pk_fma_f16 v11, v97, v85, v11 op_sel_hi:[1,0,1]
	;; [unrolled: 2-line block ×4, first 2 shown]
	s_waitcnt lgkmcnt(0)
	s_barrier
	buffer_gl0_inv
	s_load_b32 s2, s[46:47], 0x4
	v_pk_fma_f16 v6, v98, v87, v6 op_sel:[0,1,0]
	v_pk_fma_f16 v8, v99, v86, v8 op_sel_hi:[1,0,1]
	v_pk_fma_f16 v10, v99, v86, v10 op_sel:[0,1,0]
	v_pk_fma_f16 v11, v99, v87, v11 op_sel_hi:[1,0,1]
	;; [unrolled: 2-line block ×16, first 2 shown]
	s_waitcnt lgkmcnt(0)
	s_lshl_b32 s2, s2, 7
	v_pk_fma_f16 v29, v66, v27, v6 op_sel:[0,1,0]
	v_pk_fma_f16 v35, v67, v26, v8 op_sel_hi:[1,0,1]
	v_pk_fma_f16 v33, v67, v26, v10 op_sel:[0,1,0]
	v_pk_fma_f16 v31, v67, v27, v11 op_sel_hi:[1,0,1]
	;; [unrolled: 2-line block ×4, first 2 shown]
	s_add_i32 s57, s2, s57
	s_delay_alu instid0(SALU_CYCLE_1)
	s_cmp_ge_i32 s57, s58
	s_cbranch_scc0 .LBB37_9
; %bb.10:
	v_mov_b32_e32 v7, v192
.LBB37_11:
	v_cmp_lt_i32_e32 vcc_lo, v198, v193
	s_cmp_lg_u64 s[44:45], 0
	s_cselect_b32 s2, -1, 0
	s_cmp_eq_u32 s14, 0
	v_cndmask_b32_e32 v4, v7, v198, vcc_lo
	v_cmp_lt_i32_e32 vcc_lo, v197, v193
	s_cselect_b32 s3, -1, 0
	s_delay_alu instid0(SALU_CYCLE_1) | instskip(SKIP_2) | instid1(VALU_DEP_2)
	s_and_b32 s2, s3, s2
	v_cndmask_b32_e32 v9, v7, v197, vcc_lo
	v_cmp_lt_i32_e32 vcc_lo, v196, v193
	v_lshlrev_b32_e32 v9, 2, v9
	v_lshlrev_b32_e32 v4, 2, v4
	ds_bpermute_b32 v5, v4, v224
	s_waitcnt lgkmcnt(0)
	v_add_f32_e32 v5, v224, v5
	ds_bpermute_b32 v6, v4, v225
	ds_bpermute_b32 v8, v4, v226
	;; [unrolled: 1-line block ×4, first 2 shown]
	s_waitcnt lgkmcnt(3)
	v_add_f32_e32 v6, v225, v6
	s_waitcnt lgkmcnt(0)
	v_dual_add_f32 v4, v223, v4 :: v_dual_add_f32 v5, v5, v10
	ds_bpermute_b32 v11, v9, v6
	v_cndmask_b32_e32 v13, v7, v196, vcc_lo
	v_cmp_lt_i32_e32 vcc_lo, v195, v193
	s_waitcnt lgkmcnt(0)
	v_add_f32_e32 v6, v6, v11
	s_delay_alu instid0(VALU_DEP_3)
	v_dual_add_f32 v8, v226, v8 :: v_dual_lshlrev_b32 v13, 2, v13
	ds_bpermute_b32 v12, v9, v8
	ds_bpermute_b32 v9, v9, v4
	;; [unrolled: 1-line block ×3, first 2 shown]
	s_waitcnt lgkmcnt(2)
	v_add_f32_e32 v8, v8, v12
	s_waitcnt lgkmcnt(1)
	v_add_f32_e32 v4, v4, v9
	ds_bpermute_b32 v9, v13, v5
	s_waitcnt lgkmcnt(1)
	v_add_f32_e32 v6, v6, v10
	ds_bpermute_b32 v11, v13, v8
	ds_bpermute_b32 v12, v13, v4
	v_cndmask_b32_e32 v13, v7, v195, vcc_lo
	v_cmp_lt_i32_e32 vcc_lo, v194, v193
	s_delay_alu instid0(VALU_DEP_2)
	v_lshlrev_b32_e32 v13, 2, v13
	v_cndmask_b32_e32 v7, v7, v194, vcc_lo
	s_and_b32 vcc_lo, exec_lo, s2
	ds_bpermute_b32 v10, v13, v6
	v_lshlrev_b32_e32 v7, 2, v7
	s_waitcnt lgkmcnt(2)
	v_dual_add_f32 v5, v5, v9 :: v_dual_add_f32 v8, v8, v11
	s_waitcnt lgkmcnt(1)
	v_add_f32_e32 v4, v4, v12
	ds_bpermute_b32 v9, v13, v5
	ds_bpermute_b32 v11, v13, v8
	;; [unrolled: 1-line block ×3, first 2 shown]
	s_waitcnt lgkmcnt(3)
	v_add_f32_e32 v6, v6, v10
	ds_bpermute_b32 v10, v7, v6
	s_waitcnt lgkmcnt(2)
	v_dual_add_f32 v5, v5, v9 :: v_dual_add_f32 v8, v8, v11
	s_waitcnt lgkmcnt(1)
	v_add_f32_e32 v9, v4, v12
	ds_bpermute_b32 v4, v7, v5
	s_waitcnt lgkmcnt(0)
	v_dual_add_f32 v4, v5, v4 :: v_dual_add_f32 v5, v6, v10
	ds_bpermute_b32 v11, v7, v8
	ds_bpermute_b32 v7, v7, v9
	s_waitcnt lgkmcnt(1)
	v_add_f32_e32 v6, v8, v11
	s_waitcnt lgkmcnt(0)
	v_add_f32_e32 v7, v9, v7
	s_cbranch_vccz .LBB37_14
; %bb.12:
	s_ashr_i32 s57, s56, 31
	v_dual_mov_b32 v8, 0 :: v_dual_max_f32 v9, v1, v1
	s_lshl_b64 s[2:3], s[56:57], 2
	v_max_f32_e32 v15, v3, v3
	s_add_u32 s2, s44, s2
	s_addc_u32 s3, s45, s3
	global_load_b64 v[12:13], v8, s[2:3]
	s_waitcnt vmcnt(0)
	v_dual_max_f32 v8, v0, v0 :: v_dual_max_f32 v11, v13, v13
	v_max_f32_e32 v10, v12, v12
	s_delay_alu instid0(VALU_DEP_2) | instskip(NEXT) | instid1(VALU_DEP_2)
	v_dual_max_f32 v14, v2, v2 :: v_dual_max_f32 v9, v9, v11
	v_dual_max_f32 v8, v8, v10 :: v_dual_max_f32 v11, v15, v11
	s_delay_alu instid0(VALU_DEP_2) | instskip(NEXT) | instid1(VALU_DEP_3)
	v_max_f32_e32 v10, v14, v10
	v_sub_f32_e32 v16, v1, v9
	s_delay_alu instid0(VALU_DEP_3) | instskip(NEXT) | instid1(VALU_DEP_3)
	v_dual_sub_f32 v14, v0, v8 :: v_dual_sub_f32 v17, v13, v9
	v_dual_sub_f32 v15, v12, v8 :: v_dual_sub_f32 v18, v2, v10
	;; [unrolled: 1-line block ×3, first 2 shown]
	v_dual_sub_f32 v19, v3, v11 :: v_dual_mov_b32 v0, v8
	v_mov_b32_e32 v3, v11
	v_dual_mov_b32 v1, v9 :: v_dual_mov_b32 v2, v10
	v_dual_mul_f32 v9, 0x3fb8aa3b, v15 :: v_dual_mul_f32 v8, 0x3fb8aa3b, v14
	v_dual_mul_f32 v11, 0x3fb8aa3b, v17 :: v_dual_mul_f32 v10, 0x3fb8aa3b, v16
	v_dual_mul_f32 v23, 0x3fb8aa3b, v13 :: v_dual_mul_f32 v20, 0x3fb8aa3b, v18
	v_mul_f32_e32 v21, 0x3fb8aa3b, v12
	s_delay_alu instid0(VALU_DEP_4)
	v_fma_f32 v24, 0x3fb8aa3b, v14, -v8
	v_rndne_f32_e32 v25, v8
	v_fma_f32 v36, 0x3fb8aa3b, v16, -v10
	v_fma_f32 v26, 0x3fb8aa3b, v15, -v9
	;; [unrolled: 1-line block ×3, first 2 shown]
	v_rndne_f32_e32 v43, v21
	v_rndne_f32_e32 v27, v9
	v_fma_f32 v38, 0x3fb8aa3b, v17, -v11
	v_rndne_f32_e32 v39, v11
	v_fmac_f32_e32 v24, 0x32a5705f, v14
	v_sub_f32_e32 v8, v8, v25
	v_dual_fmac_f32 v36, 0x32a5705f, v16 :: v_dual_sub_f32 v21, v21, v43
	v_dual_fmac_f32 v42, 0x32a5705f, v12 :: v_dual_sub_f32 v9, v9, v27
	;; [unrolled: 1-line block ×3, first 2 shown]
	s_delay_alu instid0(VALU_DEP_2) | instskip(SKIP_2) | instid1(VALU_DEP_4)
	v_dual_add_f32 v8, v8, v24 :: v_dual_add_f32 v21, v21, v42
	v_fmac_f32_e32 v26, 0x32a5705f, v15
	v_rndne_f32_e32 v37, v10
	v_dual_add_f32 v11, v11, v38 :: v_dual_mul_f32 v22, 0x3fb8aa3b, v19
	s_delay_alu instid0(VALU_DEP_4) | instskip(NEXT) | instid1(VALU_DEP_3)
	v_exp_f32_e32 v8, v8
	v_add_f32_e32 v9, v9, v26
	v_rndne_f32_e32 v47, v23
	v_cvt_i32_f32_e32 v25, v25
	v_sub_f32_e32 v10, v10, v37
	v_fma_f32 v40, 0x3fb8aa3b, v18, -v20
	v_exp_f32_e32 v9, v9
	v_rndne_f32_e32 v41, v20
	v_fma_f32 v46, 0x3fb8aa3b, v13, -v23
	v_sub_f32_e32 v23, v23, v47
	v_cvt_i32_f32_e32 v27, v27
	v_add_f32_e32 v10, v10, v36
	v_ldexp_f32 v8, v8, v25
	v_cmp_ngt_f32_e32 vcc_lo, 0xc2ce8ed0, v14
	v_fmac_f32_e32 v46, 0x32a5705f, v13
	v_sub_f32_e32 v20, v20, v41
	v_exp_f32_e32 v10, v10
	v_ldexp_f32 v9, v9, v27
	v_cndmask_b32_e32 v8, 0, v8, vcc_lo
	v_cmp_ngt_f32_e32 vcc_lo, 0xc2ce8ed0, v15
	v_fmac_f32_e32 v40, 0x32a5705f, v18
	v_cvt_i32_f32_e32 v37, v37
	v_add_f32_e32 v23, v23, v46
	v_exp_f32_e32 v11, v11
	s_delay_alu instid0(VALU_DEP_3)
	v_dual_cndmask_b32 v9, 0, v9 :: v_dual_add_f32 v20, v20, v40
	v_cvt_i32_f32_e32 v39, v39
	v_ldexp_f32 v10, v10, v37
	v_cmp_ngt_f32_e32 vcc_lo, 0xc2ce8ed0, v16
	v_cvt_i32_f32_e32 v41, v41
	v_exp_f32_e32 v20, v20
	v_exp_f32_e32 v21, v21
	;; [unrolled: 1-line block ×3, first 2 shown]
	v_ldexp_f32 v11, v11, v39
	v_cndmask_b32_e32 v10, 0, v10, vcc_lo
	v_cmp_ngt_f32_e32 vcc_lo, 0xc2ce8ed0, v17
	v_fma_f32 v44, 0x3fb8aa3b, v19, -v22
	v_rndne_f32_e32 v45, v22
	v_cvt_i32_f32_e32 v43, v43
	v_cvt_i32_f32_e32 v26, v47
	v_ldexp_f32 v20, v20, v41
	v_cndmask_b32_e32 v11, 0, v11, vcc_lo
	v_cmp_ngt_f32_e32 vcc_lo, 0xc2ce8ed0, v18
	v_ldexp_f32 v21, v21, v43
	v_ldexp_f32 v23, v23, v26
	v_sub_f32_e32 v22, v22, v45
	v_cvt_i32_f32_e32 v24, v45
	v_cndmask_b32_e32 v20, 0, v20, vcc_lo
	v_cmp_ngt_f32_e32 vcc_lo, 0xc2ce8ed0, v12
	v_dual_fmac_f32 v44, 0x32a5705f, v19 :: v_dual_cndmask_b32 v21, 0, v21
	s_delay_alu instid0(VALU_DEP_1) | instskip(SKIP_1) | instid1(VALU_DEP_2)
	v_add_f32_e32 v22, v22, v44
	v_cmp_ngt_f32_e32 vcc_lo, 0xc2ce8ed0, v19
	v_exp_f32_e32 v22, v22
	s_waitcnt_depctr 0xfff
	v_ldexp_f32 v22, v22, v24
	s_delay_alu instid0(VALU_DEP_1)
	v_cndmask_b32_e32 v22, 0, v22, vcc_lo
	v_cmp_ngt_f32_e32 vcc_lo, 0xc2ce8ed0, v13
	v_cndmask_b32_e32 v23, 0, v23, vcc_lo
	v_cmp_nlt_f32_e32 vcc_lo, 0x42b17218, v14
	v_cndmask_b32_e32 v14, 0x7f800000, v8, vcc_lo
	v_cmp_nlt_f32_e32 vcc_lo, 0x42b17218, v15
	;; [unrolled: 2-line block ×3, first 2 shown]
	s_delay_alu instid0(VALU_DEP_2)
	v_fmac_f32_e32 v8, v4, v14
	v_cndmask_b32_e32 v15, 0x7f800000, v10, vcc_lo
	v_cmp_nlt_f32_e32 vcc_lo, 0x42b17218, v17
	v_cvt_f16_f32_e32 v4, v14
	v_cndmask_b32_e32 v9, 0x7f800000, v11, vcc_lo
	v_cmp_nlt_f32_e32 vcc_lo, 0x42b17218, v18
	s_delay_alu instid0(VALU_DEP_3) | instskip(SKIP_1) | instid1(VALU_DEP_4)
	v_pk_mul_f16 v34, v4, v34 op_sel_hi:[0,1]
	v_pk_mul_f16 v35, v4, v35 op_sel_hi:[0,1]
	v_dual_mov_b32 v4, v8 :: v_dual_fmac_f32 v9, v5, v15
	v_cndmask_b32_e32 v16, 0x7f800000, v20, vcc_lo
	v_cmp_nlt_f32_e32 vcc_lo, 0x42b17218, v12
	v_cvt_f16_f32_e32 v5, v15
	v_cndmask_b32_e32 v10, 0x7f800000, v21, vcc_lo
	v_cmp_nlt_f32_e32 vcc_lo, 0x42b17218, v19
	s_delay_alu instid0(VALU_DEP_3) | instskip(SKIP_1) | instid1(VALU_DEP_4)
	v_pk_mul_f16 v32, v5, v32 op_sel_hi:[0,1]
	v_pk_mul_f16 v33, v5, v33 op_sel_hi:[0,1]
	v_dual_mov_b32 v5, v9 :: v_dual_fmac_f32 v10, v6, v16
	v_cndmask_b32_e32 v12, 0x7f800000, v22, vcc_lo
	v_cmp_nlt_f32_e32 vcc_lo, 0x42b17218, v13
	v_cvt_f16_f32_e32 v6, v16
	v_cndmask_b32_e32 v11, 0x7f800000, v23, vcc_lo
	s_delay_alu instid0(VALU_DEP_2) | instskip(SKIP_1) | instid1(VALU_DEP_3)
	v_pk_mul_f16 v30, v6, v30 op_sel_hi:[0,1]
	v_pk_mul_f16 v31, v6, v31 op_sel_hi:[0,1]
	v_dual_mov_b32 v6, v10 :: v_dual_fmac_f32 v11, v7, v12
	v_cvt_f16_f32_e32 v7, v12
	s_delay_alu instid0(VALU_DEP_1) | instskip(SKIP_1) | instid1(VALU_DEP_4)
	v_pk_mul_f16 v29, v7, v29 op_sel_hi:[0,1]
	v_pk_mul_f16 v28, v7, v28 op_sel_hi:[0,1]
	v_mov_b32_e32 v7, v11
	s_mov_b32 s2, exec_lo
	v_cmpx_gt_i32_e64 s54, v190
	s_cbranch_execnz .LBB37_15
.LBB37_13:
	s_nop 0
	s_sendmsg sendmsg(MSG_DEALLOC_VGPRS)
	s_endpgm
.LBB37_14:
	s_delay_alu instid0(VALU_DEP_1)
	v_dual_mov_b32 v11, v7 :: v_dual_mov_b32 v10, v6
	v_dual_mov_b32 v9, v5 :: v_dual_mov_b32 v8, v4
	s_mov_b32 s2, exec_lo
	v_cmpx_gt_i32_e64 s54, v190
	s_cbranch_execz .LBB37_13
.LBB37_15:
	s_load_b32 s1, s[0:1], 0xd4
	v_mov_b32_e32 v14, 1.0
	s_waitcnt lgkmcnt(0)
	s_cmp_lg_u32 s1, 1
	s_cselect_b32 s3, -1, 0
	s_cmp_eq_u32 s1, 1
	s_cselect_b32 s4, -1, 0
	s_and_b32 vcc_lo, exec_lo, s3
	s_cbranch_vccnz .LBB37_17
; %bb.16:
	v_div_scale_f32 v12, null, v4, v4, 1.0
	s_delay_alu instid0(VALU_DEP_1) | instskip(SKIP_2) | instid1(VALU_DEP_1)
	v_rcp_f32_e32 v13, v12
	s_waitcnt_depctr 0xfff
	v_fma_f32 v14, -v12, v13, 1.0
	v_fmac_f32_e32 v13, v14, v13
	v_div_scale_f32 v14, vcc_lo, 1.0, v4, 1.0
	s_delay_alu instid0(VALU_DEP_1) | instskip(NEXT) | instid1(VALU_DEP_1)
	v_mul_f32_e32 v15, v14, v13
	v_fma_f32 v16, -v12, v15, v14
	s_delay_alu instid0(VALU_DEP_1) | instskip(NEXT) | instid1(VALU_DEP_1)
	v_fmac_f32_e32 v15, v16, v13
	v_fma_f32 v12, -v12, v15, v14
	s_delay_alu instid0(VALU_DEP_1) | instskip(NEXT) | instid1(VALU_DEP_1)
	v_div_fmas_f32 v12, v12, v13, v15
	v_div_fixup_f32 v14, v12, v4, 1.0
.LBB37_17:
	s_mul_i32 s2, s62, s54
	v_cvt_f32_f16_e32 v18, v34
	s_add_i32 s2, s2, s43
	v_lshrrev_b32_e32 v17, 16, v35
	v_add_nc_u32_e32 v4, s2, v189
	v_cvt_f32_f16_e32 v21, v35
	v_cmp_eq_u32_e32 vcc_lo, 0, v191
	v_mov_b32_e32 v16, 0
	v_cvt_f32_f16_e32 v22, v17
	v_mul_lo_u32 v4, v4, s55
	v_mul_f32_e32 v17, v14, v21
	s_and_b32 s3, vcc_lo, s3
	s_delay_alu instid0(VALU_DEP_2) | instskip(NEXT) | instid1(VALU_DEP_1)
	v_add_nc_u32_e32 v15, s56, v4
	v_mad_u64_u32 v[12:13], null, s1, v15, s[14:15]
	v_lshrrev_b32_e32 v13, 16, v34
	s_delay_alu instid0(VALU_DEP_1) | instskip(NEXT) | instid1(VALU_DEP_3)
	v_cvt_f32_f16_e32 v13, v13
	v_lshl_add_u32 v15, v12, 7, v188
	s_delay_alu instid0(VALU_DEP_1) | instskip(NEXT) | instid1(VALU_DEP_3)
	v_lshlrev_b64 v[19:20], 2, v[15:16]
	v_mul_f32_e32 v16, v14, v13
	v_mul_f32_e32 v15, v14, v18
	;; [unrolled: 1-line block ×3, first 2 shown]
	s_delay_alu instid0(VALU_DEP_4) | instskip(NEXT) | instid1(VALU_DEP_1)
	v_add_co_u32 v13, s0, s48, v19
	v_add_co_ci_u32_e64 v14, s0, s49, v20, s0
	global_store_b128 v[13:14], v[15:18], off
	s_and_saveexec_b32 s0, s3
	s_cbranch_execz .LBB37_19
; %bb.18:
	v_ashrrev_i32_e32 v13, 31, v12
	v_mov_b32_e32 v14, v0
	v_mov_b32_e32 v15, v8
	s_delay_alu instid0(VALU_DEP_3) | instskip(NEXT) | instid1(VALU_DEP_1)
	v_lshlrev_b64 v[12:13], 3, v[12:13]
	v_add_co_u32 v12, vcc_lo, s50, v12
	s_delay_alu instid0(VALU_DEP_2)
	v_add_co_ci_u32_e32 v13, vcc_lo, s51, v13, vcc_lo
	global_store_b64 v[12:13], v[14:15], off
.LBB37_19:
	s_or_b32 exec_lo, exec_lo, s0
	v_cndmask_b32_e64 v12, 0, 1, s4
	v_mov_b32_e32 v0, 1.0
	s_and_not1_b32 vcc_lo, exec_lo, s4
	s_cbranch_vccnz .LBB37_21
; %bb.20:
	v_div_scale_f32 v0, null, v5, v5, 1.0
	s_delay_alu instid0(VALU_DEP_1) | instskip(SKIP_2) | instid1(VALU_DEP_1)
	v_rcp_f32_e32 v8, v0
	s_waitcnt_depctr 0xfff
	v_fma_f32 v13, -v0, v8, 1.0
	v_fmac_f32_e32 v8, v13, v8
	v_div_scale_f32 v13, vcc_lo, 1.0, v5, 1.0
	s_delay_alu instid0(VALU_DEP_1) | instskip(NEXT) | instid1(VALU_DEP_1)
	v_mul_f32_e32 v14, v13, v8
	v_fma_f32 v15, -v0, v14, v13
	s_delay_alu instid0(VALU_DEP_1) | instskip(NEXT) | instid1(VALU_DEP_1)
	v_fmac_f32_e32 v14, v15, v8
	v_fma_f32 v0, -v0, v14, v13
	s_delay_alu instid0(VALU_DEP_1) | instskip(NEXT) | instid1(VALU_DEP_1)
	v_div_fmas_f32 v0, v0, v8, v14
	v_div_fixup_f32 v0, v0, v5, 1.0
.LBB37_21:
	s_add_i32 s0, s56, 1
	v_cvt_f32_f16_e32 v15, v32
	v_add_nc_u32_e32 v8, s0, v4
	v_cvt_f32_f16_e32 v16, v33
	v_mov_b32_e32 v14, 0
	s_delay_alu instid0(VALU_DEP_3) | instskip(SKIP_2) | instid1(VALU_DEP_2)
	v_mad_u64_u32 v[4:5], null, s1, v8, s[14:15]
	v_lshrrev_b32_e32 v5, 16, v32
	v_lshrrev_b32_e32 v8, 16, v33
	v_cvt_f32_f16_e32 v5, v5
	s_delay_alu instid0(VALU_DEP_4) | instskip(NEXT) | instid1(VALU_DEP_3)
	v_lshl_add_u32 v13, v4, 7, v188
	v_cvt_f32_f16_e32 v8, v8
	s_delay_alu instid0(VALU_DEP_2)
	v_lshlrev_b64 v[17:18], 2, v[13:14]
	v_mul_f32_e32 v13, v0, v15
	v_mul_f32_e32 v15, v0, v16
	;; [unrolled: 1-line block ×4, first 2 shown]
	v_add_co_u32 v17, vcc_lo, s48, v17
	v_add_co_ci_u32_e32 v18, vcc_lo, s49, v18, vcc_lo
	global_store_b128 v[17:18], v[13:16], off
	s_and_saveexec_b32 s4, s3
	s_cbranch_execz .LBB37_23
; %bb.22:
	v_ashrrev_i32_e32 v5, 31, v4
	v_mov_b32_e32 v8, v1
	s_delay_alu instid0(VALU_DEP_2) | instskip(NEXT) | instid1(VALU_DEP_1)
	v_lshlrev_b64 v[4:5], 3, v[4:5]
	v_add_co_u32 v4, vcc_lo, s50, v4
	s_delay_alu instid0(VALU_DEP_2)
	v_add_co_ci_u32_e32 v5, vcc_lo, s51, v5, vcc_lo
	global_store_b64 v[4:5], v[8:9], off
.LBB37_23:
	s_or_b32 exec_lo, exec_lo, s4
	v_cmp_gt_i32_e32 vcc_lo, s54, v187
	s_and_b32 exec_lo, exec_lo, vcc_lo
	s_cbranch_execz .LBB37_13
; %bb.24:
	v_cmp_ne_u32_e32 vcc_lo, 1, v12
	v_mov_b32_e32 v4, 1.0
	s_cbranch_vccnz .LBB37_26
; %bb.25:
	v_div_scale_f32 v0, null, v6, v6, 1.0
	s_delay_alu instid0(VALU_DEP_1) | instskip(SKIP_2) | instid1(VALU_DEP_1)
	v_rcp_f32_e32 v1, v0
	s_waitcnt_depctr 0xfff
	v_fma_f32 v4, -v0, v1, 1.0
	v_fmac_f32_e32 v1, v4, v1
	v_div_scale_f32 v4, vcc_lo, 1.0, v6, 1.0
	s_delay_alu instid0(VALU_DEP_1) | instskip(NEXT) | instid1(VALU_DEP_1)
	v_mul_f32_e32 v5, v4, v1
	v_fma_f32 v8, -v0, v5, v4
	s_delay_alu instid0(VALU_DEP_1) | instskip(NEXT) | instid1(VALU_DEP_1)
	v_fmac_f32_e32 v5, v8, v1
	v_fma_f32 v0, -v0, v5, v4
	s_delay_alu instid0(VALU_DEP_1) | instskip(NEXT) | instid1(VALU_DEP_1)
	v_div_fmas_f32 v0, v0, v1, v5
	v_div_fixup_f32 v4, v0, v6, 1.0
.LBB37_26:
	v_cvt_f32_f16_e32 v9, v30
	v_add_nc_u32_e32 v0, s2, v186
	v_cvt_f32_f16_e32 v14, v31
	v_lshrrev_b32_e32 v8, 16, v31
	s_delay_alu instid0(VALU_DEP_4) | instskip(NEXT) | instid1(VALU_DEP_4)
	v_mul_f32_e32 v13, v4, v9
	v_mad_u64_u32 v[5:6], null, v0, s55, s[56:57]
	s_delay_alu instid0(VALU_DEP_4) | instskip(NEXT) | instid1(VALU_DEP_4)
	v_dual_mov_b32 v6, 0 :: v_dual_mul_f32 v15, v4, v14
	v_cvt_f32_f16_e32 v8, v8
	s_delay_alu instid0(VALU_DEP_3) | instskip(SKIP_1) | instid1(VALU_DEP_3)
	v_mad_u64_u32 v[0:1], null, s1, v5, s[14:15]
	v_lshrrev_b32_e32 v1, 16, v30
	v_mul_f32_e32 v16, v4, v8
	s_delay_alu instid0(VALU_DEP_2) | instskip(NEXT) | instid1(VALU_DEP_4)
	v_cvt_f32_f16_e32 v1, v1
	v_lshl_add_u32 v5, v0, 7, v188
	s_delay_alu instid0(VALU_DEP_2) | instskip(NEXT) | instid1(VALU_DEP_2)
	v_mul_f32_e32 v14, v4, v1
	v_lshlrev_b64 v[5:6], 2, v[5:6]
	s_delay_alu instid0(VALU_DEP_1) | instskip(NEXT) | instid1(VALU_DEP_2)
	v_add_co_u32 v4, vcc_lo, s48, v5
	v_add_co_ci_u32_e32 v5, vcc_lo, s49, v6, vcc_lo
	global_store_b128 v[4:5], v[13:16], off
	s_and_saveexec_b32 s4, s3
	s_cbranch_execz .LBB37_28
; %bb.27:
	v_ashrrev_i32_e32 v1, 31, v0
	v_mov_b32_e32 v9, v2
	s_delay_alu instid0(VALU_DEP_2) | instskip(NEXT) | instid1(VALU_DEP_1)
	v_lshlrev_b64 v[0:1], 3, v[0:1]
	v_add_co_u32 v0, vcc_lo, s50, v0
	s_delay_alu instid0(VALU_DEP_2)
	v_add_co_ci_u32_e32 v1, vcc_lo, s51, v1, vcc_lo
	global_store_b64 v[0:1], v[9:10], off
.LBB37_28:
	s_or_b32 exec_lo, exec_lo, s4
	v_cmp_gt_i32_e32 vcc_lo, s54, v185
	s_and_b32 exec_lo, exec_lo, vcc_lo
	s_cbranch_execz .LBB37_13
; %bb.29:
	v_cmp_ne_u32_e32 vcc_lo, 1, v12
	v_mov_b32_e32 v2, 1.0
	s_cbranch_vccnz .LBB37_31
; %bb.30:
	v_div_scale_f32 v0, null, v7, v7, 1.0
	s_delay_alu instid0(VALU_DEP_1) | instskip(SKIP_2) | instid1(VALU_DEP_1)
	v_rcp_f32_e32 v1, v0
	s_waitcnt_depctr 0xfff
	v_fma_f32 v2, -v0, v1, 1.0
	v_fmac_f32_e32 v1, v2, v1
	v_div_scale_f32 v2, vcc_lo, 1.0, v7, 1.0
	s_delay_alu instid0(VALU_DEP_1) | instskip(NEXT) | instid1(VALU_DEP_1)
	v_mul_f32_e32 v4, v2, v1
	v_fma_f32 v5, -v0, v4, v2
	s_delay_alu instid0(VALU_DEP_1) | instskip(NEXT) | instid1(VALU_DEP_1)
	v_fmac_f32_e32 v4, v5, v1
	v_fma_f32 v0, -v0, v4, v2
	s_delay_alu instid0(VALU_DEP_1) | instskip(NEXT) | instid1(VALU_DEP_1)
	v_div_fmas_f32 v0, v0, v1, v4
	v_div_fixup_f32 v2, v0, v7, 1.0
.LBB37_31:
	v_add_nc_u32_e32 v0, s2, v184
	v_lshrrev_b32_e32 v6, 16, v28
	v_cvt_f32_f16_e32 v7, v29
	v_cvt_f32_f16_e32 v10, v28
	s_delay_alu instid0(VALU_DEP_4) | instskip(SKIP_2) | instid1(VALU_DEP_4)
	v_mad_u64_u32 v[4:5], null, v0, s55, s[0:1]
	v_mov_b32_e32 v5, 0
	v_cvt_f32_f16_e32 v12, v6
	v_mul_f32_e32 v6, v2, v10
	s_delay_alu instid0(VALU_DEP_4) | instskip(SKIP_1) | instid1(VALU_DEP_1)
	v_mad_u64_u32 v[0:1], null, s1, v4, s[14:15]
	v_lshrrev_b32_e32 v1, 16, v29
	v_cvt_f32_f16_e32 v1, v1
	s_delay_alu instid0(VALU_DEP_3) | instskip(NEXT) | instid1(VALU_DEP_1)
	v_lshl_add_u32 v4, v0, 7, v188
	v_lshlrev_b64 v[8:9], 2, v[4:5]
	s_delay_alu instid0(VALU_DEP_3) | instskip(SKIP_2) | instid1(VALU_DEP_4)
	v_mul_f32_e32 v5, v2, v1
	v_mul_f32_e32 v4, v2, v7
	;; [unrolled: 1-line block ×3, first 2 shown]
	v_add_co_u32 v1, vcc_lo, s48, v8
	v_add_co_ci_u32_e32 v2, vcc_lo, s49, v9, vcc_lo
	global_store_b128 v[1:2], v[4:7], off
	s_and_b32 exec_lo, exec_lo, s3
	s_cbranch_execz .LBB37_13
; %bb.32:
	v_ashrrev_i32_e32 v1, 31, v0
	v_mov_b32_e32 v10, v3
	s_delay_alu instid0(VALU_DEP_2) | instskip(NEXT) | instid1(VALU_DEP_1)
	v_lshlrev_b64 v[0:1], 3, v[0:1]
	v_add_co_u32 v0, vcc_lo, s50, v0
	s_delay_alu instid0(VALU_DEP_2)
	v_add_co_ci_u32_e32 v1, vcc_lo, s51, v1, vcc_lo
	global_store_b64 v[0:1], v[10:11], off
	s_nop 0
	s_sendmsg sendmsg(MSG_DEALLOC_VGPRS)
	s_endpgm
	.section	.rodata,"a",@progbits
	.p2align	6, 0x0
	.amdhsa_kernel _ZL15flash_attn_tileILi128ELi128ELi16ELi2ELb0EEvPKcS1_S1_S1_S1_PKiPfP15HIP_vector_typeIfLj2EEffffjfiS5_IjLj3EEiiiiiiiiiiiliiliiiiil
		.amdhsa_group_segment_fixed_size 34816
		.amdhsa_private_segment_fixed_size 0
		.amdhsa_kernarg_size 464
		.amdhsa_user_sgpr_count 13
		.amdhsa_user_sgpr_dispatch_ptr 0
		.amdhsa_user_sgpr_queue_ptr 0
		.amdhsa_user_sgpr_kernarg_segment_ptr 1
		.amdhsa_user_sgpr_dispatch_id 0
		.amdhsa_user_sgpr_private_segment_size 0
		.amdhsa_wavefront_size32 1
		.amdhsa_uses_dynamic_stack 0
		.amdhsa_enable_private_segment 0
		.amdhsa_system_sgpr_workgroup_id_x 1
		.amdhsa_system_sgpr_workgroup_id_y 1
		.amdhsa_system_sgpr_workgroup_id_z 1
		.amdhsa_system_sgpr_workgroup_info 0
		.amdhsa_system_vgpr_workitem_id 1
		.amdhsa_next_free_vgpr 244
		.amdhsa_next_free_sgpr 67
		.amdhsa_reserve_vcc 1
		.amdhsa_float_round_mode_32 0
		.amdhsa_float_round_mode_16_64 0
		.amdhsa_float_denorm_mode_32 3
		.amdhsa_float_denorm_mode_16_64 3
		.amdhsa_dx10_clamp 1
		.amdhsa_ieee_mode 1
		.amdhsa_fp16_overflow 0
		.amdhsa_workgroup_processor_mode 1
		.amdhsa_memory_ordered 1
		.amdhsa_forward_progress 0
		.amdhsa_shared_vgpr_count 0
		.amdhsa_exception_fp_ieee_invalid_op 0
		.amdhsa_exception_fp_denorm_src 0
		.amdhsa_exception_fp_ieee_div_zero 0
		.amdhsa_exception_fp_ieee_overflow 0
		.amdhsa_exception_fp_ieee_underflow 0
		.amdhsa_exception_fp_ieee_inexact 0
		.amdhsa_exception_int_div_zero 0
	.end_amdhsa_kernel
	.section	.text._ZL15flash_attn_tileILi128ELi128ELi16ELi2ELb0EEvPKcS1_S1_S1_S1_PKiPfP15HIP_vector_typeIfLj2EEffffjfiS5_IjLj3EEiiiiiiiiiiiliiliiiiil,"axG",@progbits,_ZL15flash_attn_tileILi128ELi128ELi16ELi2ELb0EEvPKcS1_S1_S1_S1_PKiPfP15HIP_vector_typeIfLj2EEffffjfiS5_IjLj3EEiiiiiiiiiiiliiliiiiil,comdat
.Lfunc_end37:
	.size	_ZL15flash_attn_tileILi128ELi128ELi16ELi2ELb0EEvPKcS1_S1_S1_S1_PKiPfP15HIP_vector_typeIfLj2EEffffjfiS5_IjLj3EEiiiiiiiiiiiliiliiiiil, .Lfunc_end37-_ZL15flash_attn_tileILi128ELi128ELi16ELi2ELb0EEvPKcS1_S1_S1_S1_PKiPfP15HIP_vector_typeIfLj2EEffffjfiS5_IjLj3EEiiiiiiiiiiiliiliiiiil
                                        ; -- End function
	.section	.AMDGPU.csdata,"",@progbits
; Kernel info:
; codeLenInByte = 40588
; NumSgprs: 69
; NumVgprs: 244
; ScratchSize: 0
; MemoryBound: 0
; FloatMode: 240
; IeeeMode: 1
; LDSByteSize: 34816 bytes/workgroup (compile time only)
; SGPRBlocks: 8
; VGPRBlocks: 30
; NumSGPRsForWavesPerEU: 69
; NumVGPRsForWavesPerEU: 244
; Occupancy: 5
; WaveLimiterHint : 1
; COMPUTE_PGM_RSRC2:SCRATCH_EN: 0
; COMPUTE_PGM_RSRC2:USER_SGPR: 13
; COMPUTE_PGM_RSRC2:TRAP_HANDLER: 0
; COMPUTE_PGM_RSRC2:TGID_X_EN: 1
; COMPUTE_PGM_RSRC2:TGID_Y_EN: 1
; COMPUTE_PGM_RSRC2:TGID_Z_EN: 1
; COMPUTE_PGM_RSRC2:TIDIG_COMP_CNT: 1
	.section	.text._ZL33flash_attn_stream_k_fixup_uniformILi128ELi16ELi2EEvPfPK15HIP_vector_typeIfLj2EEiiiiiiS1_IjLj3EES5_S5_,"axG",@progbits,_ZL33flash_attn_stream_k_fixup_uniformILi128ELi16ELi2EEvPfPK15HIP_vector_typeIfLj2EEiiiiiiS1_IjLj3EES5_S5_,comdat
	.globl	_ZL33flash_attn_stream_k_fixup_uniformILi128ELi16ELi2EEvPfPK15HIP_vector_typeIfLj2EEiiiiiiS1_IjLj3EES5_S5_ ; -- Begin function _ZL33flash_attn_stream_k_fixup_uniformILi128ELi16ELi2EEvPfPK15HIP_vector_typeIfLj2EEiiiiiiS1_IjLj3EES5_S5_
	.p2align	8
	.type	_ZL33flash_attn_stream_k_fixup_uniformILi128ELi16ELi2EEvPfPK15HIP_vector_typeIfLj2EEiiiiiiS1_IjLj3EES5_S5_,@function
_ZL33flash_attn_stream_k_fixup_uniformILi128ELi16ELi2EEvPfPK15HIP_vector_typeIfLj2EEiiiiiiS1_IjLj3EES5_S5_: ; @_ZL33flash_attn_stream_k_fixup_uniformILi128ELi16ELi2EEvPfPK15HIP_vector_typeIfLj2EEiiiiiiS1_IjLj3EES5_S5_
; %bb.0:
	s_clause 0x1
	s_load_b256 s[4:11], s[0:1], 0x1c
	s_load_b128 s[16:19], s[0:1], 0x3c
	s_waitcnt lgkmcnt(0)
	s_mul_hi_u32 s2, s7, s13
	s_delay_alu instid0(SALU_CYCLE_1) | instskip(NEXT) | instid1(SALU_CYCLE_1)
	s_add_i32 s2, s13, s2
	s_lshr_b32 s2, s2, s8
	s_delay_alu instid0(SALU_CYCLE_1) | instskip(SKIP_2) | instid1(SALU_CYCLE_1)
	s_mul_i32 s3, s2, s9
	s_load_b64 s[8:9], s[0:1], 0x10
	s_sub_i32 s7, s13, s3
	s_mul_hi_u32 s3, s7, s10
	s_delay_alu instid0(SALU_CYCLE_1) | instskip(NEXT) | instid1(SALU_CYCLE_1)
	s_add_i32 s3, s7, s3
	s_lshr_b32 s3, s3, s11
	s_delay_alu instid0(SALU_CYCLE_1) | instskip(NEXT) | instid1(SALU_CYCLE_1)
	s_mul_i32 s10, s3, s16
	s_sub_i32 s7, s7, s10
	s_delay_alu instid0(SALU_CYCLE_1) | instskip(NEXT) | instid1(SALU_CYCLE_1)
	s_mul_hi_u32 s10, s7, s17
	s_add_i32 s10, s7, s10
	s_delay_alu instid0(SALU_CYCLE_1) | instskip(NEXT) | instid1(SALU_CYCLE_1)
	s_lshr_b32 s10, s10, s18
	s_mul_i32 s11, s10, s19
	s_lshl_b32 s10, s10, 1
	s_sub_i32 s7, s7, s11
	s_delay_alu instid0(SALU_CYCLE_1) | instskip(NEXT) | instid1(SALU_CYCLE_1)
	s_lshl_b32 s11, s7, 4
	s_add_i32 s11, s11, s14
	s_waitcnt lgkmcnt(0)
	s_cmp_lt_i32 s11, s8
	s_cselect_b32 s11, -1, 0
	s_add_i32 s12, s10, s15
	s_delay_alu instid0(SALU_CYCLE_1) | instskip(SKIP_1) | instid1(SALU_CYCLE_1)
	s_cmp_lt_i32 s12, s5
	s_cselect_b32 s12, -1, 0
	s_and_b32 s11, s11, s12
	s_delay_alu instid0(SALU_CYCLE_1)
	s_and_not1_b32 vcc_lo, exec_lo, s11
	s_cbranch_vccnz .LBB38_6
; %bb.1:
	s_mul_i32 s2, s2, s8
	s_mul_i32 s5, s3, s5
	s_add_i32 s2, s2, s14
	s_mul_i32 s7, s9, s7
	s_mul_i32 s2, s2, s9
	s_lshl_b32 s7, s7, 11
	s_add_i32 s8, s2, s15
	s_load_b128 s[0:3], s[0:1], 0x0
	s_add_i32 s5, s8, s5
	s_lshl_b32 s9, s14, 1
	s_add_i32 s5, s5, s10
	s_delay_alu instid0(SALU_CYCLE_1) | instskip(NEXT) | instid1(SALU_CYCLE_1)
	s_lshl_b32 s5, s5, 7
	s_add_i32 s7, s7, s5
	s_mul_i32 s5, s13, s6
	v_or_b32_e32 v1, s7, v0
	s_add_i32 s10, s5, s6
	s_delay_alu instid0(VALU_DEP_1) | instskip(NEXT) | instid1(VALU_DEP_1)
	v_ashrrev_i32_e32 v2, 31, v1
	v_lshlrev_b64 v[1:2], 2, v[1:2]
	s_waitcnt lgkmcnt(0)
	s_delay_alu instid0(VALU_DEP_1) | instskip(NEXT) | instid1(VALU_DEP_2)
	v_add_co_u32 v1, vcc_lo, s0, v1
	v_add_co_ci_u32_e32 v2, vcc_lo, s1, v2, vcc_lo
	s_add_i32 s0, s9, s15
	s_lshl_b32 s1, s10, 5
	s_delay_alu instid0(SALU_CYCLE_1) | instskip(SKIP_2) | instid1(SALU_CYCLE_1)
	s_add_i32 s0, s0, s1
	global_load_b32 v5, v[1:2], off
	s_sub_i32 s0, s0, 32
	s_ashr_i32 s1, s0, 31
	s_delay_alu instid0(SALU_CYCLE_1) | instskip(NEXT) | instid1(SALU_CYCLE_1)
	s_lshl_b64 s[0:1], s[0:1], 3
	s_add_u32 s0, s2, s0
	s_addc_u32 s1, s3, s1
	s_add_i32 s7, s10, -2
	s_load_b32 s11, s[0:1], 0x4
	s_cmp_lt_i32 s7, s5
	s_cbranch_scc1 .LBB38_4
; %bb.2:
	s_lshl_b32 s16, s4, 7
	s_load_b32 s12, s[0:1], 0x0
	s_ashr_i32 s17, s16, 31
	s_delay_alu instid0(SALU_CYCLE_1) | instskip(NEXT) | instid1(SALU_CYCLE_1)
	s_lshl_b64 s[0:1], s[16:17], 2
	s_add_u32 s7, s2, s0
	s_addc_u32 s8, s3, s1
	s_add_i32 s13, s13, 1
	s_lshl_b32 s0, s14, 8
	s_lshl_b32 s1, s15, 7
	s_mul_i32 s6, s6, s13
	s_add_i32 s0, s1, s0
	s_lshl_b32 s1, s6, 12
	s_delay_alu instid0(SALU_CYCLE_1)
	s_add_i32 s0, s0, s1
	s_lshl_b32 s1, s6, 5
	v_or_b32_e32 v0, s0, v0
	s_lshl_b32 s0, s4, 5
	s_add_i32 s1, s15, s1
	s_waitcnt lgkmcnt(0)
	v_mov_b32_e32 v6, s11
	s_add_i32 s0, s1, s0
	v_dual_mov_b32 v0, s12 :: v_dual_add_nc_u32 v3, 0xffffe000, v0
	s_add_i32 s0, s0, s9
	s_add_i32 s4, s10, -1
	s_sub_i32 s0, s0, 64
.LBB38_3:                               ; =>This Inner Loop Header: Depth=1
	s_delay_alu instid0(VALU_DEP_1) | instskip(SKIP_1) | instid1(SALU_CYCLE_1)
	v_ashrrev_i32_e32 v4, 31, v3
	s_ashr_i32 s1, s0, 31
	s_lshl_b64 s[10:11], s[0:1], 3
	s_delay_alu instid0(SALU_CYCLE_1) | instskip(NEXT) | instid1(VALU_DEP_1)
	s_add_u32 s10, s2, s10
	v_lshlrev_b64 v[7:8], 2, v[3:4]
	s_addc_u32 s11, s3, s11
	s_add_i32 s4, s4, -1
	s_sub_i32 s0, s0, 32
	s_cmp_le_i32 s4, s5
	s_load_b64 s[10:11], s[10:11], 0x0
	v_add_co_u32 v7, vcc_lo, s7, v7
	v_add_co_ci_u32_e32 v8, vcc_lo, s8, v8, vcc_lo
	global_load_b32 v4, v[7:8], off
	v_max_f32_e32 v7, v0, v0
	s_waitcnt lgkmcnt(0)
	v_max_f32_e64 v8, s10, s10
	s_delay_alu instid0(VALU_DEP_1) | instskip(NEXT) | instid1(VALU_DEP_1)
	v_max_f32_e32 v7, v7, v8
	v_sub_f32_e32 v8, s10, v7
	s_delay_alu instid0(VALU_DEP_1) | instskip(NEXT) | instid1(VALU_DEP_1)
	v_dual_sub_f32 v0, v0, v7 :: v_dual_mul_f32 v9, 0x3fb8aa3b, v8
	v_fma_f32 v10, 0x3fb8aa3b, v8, -v9
	v_rndne_f32_e32 v11, v9
	s_delay_alu instid0(VALU_DEP_3) | instskip(NEXT) | instid1(VALU_DEP_2)
	v_mul_f32_e32 v12, 0x3fb8aa3b, v0
	v_dual_fmac_f32 v10, 0x32a5705f, v8 :: v_dual_sub_f32 v9, v9, v11
	v_cvt_i32_f32_e32 v11, v11
	s_delay_alu instid0(VALU_DEP_3) | instskip(SKIP_1) | instid1(VALU_DEP_4)
	v_fma_f32 v13, 0x3fb8aa3b, v0, -v12
	v_rndne_f32_e32 v14, v12
	v_add_f32_e32 v9, v9, v10
	v_cmp_ngt_f32_e32 vcc_lo, 0xc2ce8ed0, v8
	s_delay_alu instid0(VALU_DEP_3) | instskip(NEXT) | instid1(VALU_DEP_3)
	v_sub_f32_e32 v10, v12, v14
	v_exp_f32_e32 v9, v9
	s_waitcnt_depctr 0xfff
	v_ldexp_f32 v9, v9, v11
	v_cvt_i32_f32_e32 v11, v14
	s_delay_alu instid0(VALU_DEP_2) | instskip(SKIP_1) | instid1(VALU_DEP_2)
	v_cndmask_b32_e32 v9, 0, v9, vcc_lo
	v_cmp_nlt_f32_e32 vcc_lo, 0x42b17218, v8
	v_cndmask_b32_e32 v9, 0x7f800000, v9, vcc_lo
	v_cmp_ngt_f32_e32 vcc_lo, 0xc2ce8ed0, v0
	v_fmac_f32_e32 v13, 0x32a5705f, v0
	s_delay_alu instid0(VALU_DEP_1) | instskip(NEXT) | instid1(VALU_DEP_1)
	v_add_f32_e32 v10, v10, v13
	v_exp_f32_e32 v10, v10
	s_waitcnt_depctr 0xfff
	v_ldexp_f32 v10, v10, v11
	s_delay_alu instid0(VALU_DEP_1)
	v_dual_mov_b32 v11, v6 :: v_dual_cndmask_b32 v10, 0, v10
	v_cmp_le_f32_e32 vcc_lo, 0xc1a00000, v8
	s_waitcnt vmcnt(1)
	v_dual_cndmask_b32 v8, 0, v9 :: v_dual_mov_b32 v9, v5
	v_cmp_nlt_f32_e32 vcc_lo, 0x42b17218, v0
	v_cndmask_b32_e32 v5, 0x7f800000, v10, vcc_lo
	s_delay_alu instid0(VALU_DEP_3) | instskip(SKIP_2) | instid1(VALU_DEP_3)
	v_mul_f32_e32 v10, s11, v8
	v_cmp_le_f32_e32 vcc_lo, 0xc1a00000, v0
	v_mov_b32_e32 v0, v7
	v_mov_b32_e32 v6, v10
	s_waitcnt vmcnt(0)
	v_dual_cndmask_b32 v12, 0, v5 :: v_dual_mul_f32 v5, v4, v8
	s_delay_alu instid0(VALU_DEP_1) | instskip(NEXT) | instid1(VALU_DEP_2)
	v_dual_fmac_f32 v6, v11, v12 :: v_dual_add_nc_u32 v3, 0xfffff000, v3
	v_fmac_f32_e32 v5, v9, v12
	s_cbranch_scc0 .LBB38_3
	s_branch .LBB38_5
.LBB38_4:
	s_waitcnt lgkmcnt(0)
	v_mov_b32_e32 v6, s11
.LBB38_5:
	s_waitcnt vmcnt(0)
	s_delay_alu instid0(VALU_DEP_1) | instskip(NEXT) | instid1(VALU_DEP_1)
	v_div_scale_f32 v0, null, v6, v6, v5
	v_rcp_f32_e32 v3, v0
	s_waitcnt_depctr 0xfff
	v_fma_f32 v4, -v0, v3, 1.0
	s_delay_alu instid0(VALU_DEP_1) | instskip(SKIP_1) | instid1(VALU_DEP_1)
	v_fmac_f32_e32 v3, v4, v3
	v_div_scale_f32 v4, vcc_lo, v5, v6, v5
	v_mul_f32_e32 v7, v4, v3
	s_delay_alu instid0(VALU_DEP_1) | instskip(NEXT) | instid1(VALU_DEP_1)
	v_fma_f32 v8, -v0, v7, v4
	v_fmac_f32_e32 v7, v8, v3
	s_delay_alu instid0(VALU_DEP_1) | instskip(NEXT) | instid1(VALU_DEP_1)
	v_fma_f32 v0, -v0, v7, v4
	v_div_fmas_f32 v0, v0, v3, v7
	s_delay_alu instid0(VALU_DEP_1)
	v_div_fixup_f32 v0, v0, v6, v5
	global_store_b32 v[1:2], v0, off
.LBB38_6:
	s_nop 0
	s_sendmsg sendmsg(MSG_DEALLOC_VGPRS)
	s_endpgm
	.section	.rodata,"a",@progbits
	.p2align	6, 0x0
	.amdhsa_kernel _ZL33flash_attn_stream_k_fixup_uniformILi128ELi16ELi2EEvPfPK15HIP_vector_typeIfLj2EEiiiiiiS1_IjLj3EES5_S5_
		.amdhsa_group_segment_fixed_size 0
		.amdhsa_private_segment_fixed_size 0
		.amdhsa_kernarg_size 76
		.amdhsa_user_sgpr_count 13
		.amdhsa_user_sgpr_dispatch_ptr 0
		.amdhsa_user_sgpr_queue_ptr 0
		.amdhsa_user_sgpr_kernarg_segment_ptr 1
		.amdhsa_user_sgpr_dispatch_id 0
		.amdhsa_user_sgpr_private_segment_size 0
		.amdhsa_wavefront_size32 1
		.amdhsa_uses_dynamic_stack 0
		.amdhsa_enable_private_segment 0
		.amdhsa_system_sgpr_workgroup_id_x 1
		.amdhsa_system_sgpr_workgroup_id_y 1
		.amdhsa_system_sgpr_workgroup_id_z 1
		.amdhsa_system_sgpr_workgroup_info 0
		.amdhsa_system_vgpr_workitem_id 0
		.amdhsa_next_free_vgpr 15
		.amdhsa_next_free_sgpr 20
		.amdhsa_reserve_vcc 1
		.amdhsa_float_round_mode_32 0
		.amdhsa_float_round_mode_16_64 0
		.amdhsa_float_denorm_mode_32 3
		.amdhsa_float_denorm_mode_16_64 3
		.amdhsa_dx10_clamp 1
		.amdhsa_ieee_mode 1
		.amdhsa_fp16_overflow 0
		.amdhsa_workgroup_processor_mode 1
		.amdhsa_memory_ordered 1
		.amdhsa_forward_progress 0
		.amdhsa_shared_vgpr_count 0
		.amdhsa_exception_fp_ieee_invalid_op 0
		.amdhsa_exception_fp_denorm_src 0
		.amdhsa_exception_fp_ieee_div_zero 0
		.amdhsa_exception_fp_ieee_overflow 0
		.amdhsa_exception_fp_ieee_underflow 0
		.amdhsa_exception_fp_ieee_inexact 0
		.amdhsa_exception_int_div_zero 0
	.end_amdhsa_kernel
	.section	.text._ZL33flash_attn_stream_k_fixup_uniformILi128ELi16ELi2EEvPfPK15HIP_vector_typeIfLj2EEiiiiiiS1_IjLj3EES5_S5_,"axG",@progbits,_ZL33flash_attn_stream_k_fixup_uniformILi128ELi16ELi2EEvPfPK15HIP_vector_typeIfLj2EEiiiiiiS1_IjLj3EES5_S5_,comdat
.Lfunc_end38:
	.size	_ZL33flash_attn_stream_k_fixup_uniformILi128ELi16ELi2EEvPfPK15HIP_vector_typeIfLj2EEiiiiiiS1_IjLj3EES5_S5_, .Lfunc_end38-_ZL33flash_attn_stream_k_fixup_uniformILi128ELi16ELi2EEvPfPK15HIP_vector_typeIfLj2EEiiiiiiS1_IjLj3EES5_S5_
                                        ; -- End function
	.section	.AMDGPU.csdata,"",@progbits
; Kernel info:
; codeLenInByte = 996
; NumSgprs: 22
; NumVgprs: 15
; ScratchSize: 0
; MemoryBound: 0
; FloatMode: 240
; IeeeMode: 1
; LDSByteSize: 0 bytes/workgroup (compile time only)
; SGPRBlocks: 2
; VGPRBlocks: 1
; NumSGPRsForWavesPerEU: 22
; NumVGPRsForWavesPerEU: 15
; Occupancy: 16
; WaveLimiterHint : 0
; COMPUTE_PGM_RSRC2:SCRATCH_EN: 0
; COMPUTE_PGM_RSRC2:USER_SGPR: 13
; COMPUTE_PGM_RSRC2:TRAP_HANDLER: 0
; COMPUTE_PGM_RSRC2:TGID_X_EN: 1
; COMPUTE_PGM_RSRC2:TGID_Y_EN: 1
; COMPUTE_PGM_RSRC2:TGID_Z_EN: 1
; COMPUTE_PGM_RSRC2:TIDIG_COMP_CNT: 0
	.section	.text._ZL33flash_attn_stream_k_fixup_generalILi128ELi16ELi2EEvPfPK15HIP_vector_typeIfLj2EEiiiiS1_IjLj3EES5_S5_S5_,"axG",@progbits,_ZL33flash_attn_stream_k_fixup_generalILi128ELi16ELi2EEvPfPK15HIP_vector_typeIfLj2EEiiiiS1_IjLj3EES5_S5_S5_,comdat
	.globl	_ZL33flash_attn_stream_k_fixup_generalILi128ELi16ELi2EEvPfPK15HIP_vector_typeIfLj2EEiiiiS1_IjLj3EES5_S5_S5_ ; -- Begin function _ZL33flash_attn_stream_k_fixup_generalILi128ELi16ELi2EEvPfPK15HIP_vector_typeIfLj2EEiiiiS1_IjLj3EES5_S5_S5_
	.p2align	8
	.type	_ZL33flash_attn_stream_k_fixup_generalILi128ELi16ELi2EEvPfPK15HIP_vector_typeIfLj2EEiiiiS1_IjLj3EES5_S5_S5_,@function
_ZL33flash_attn_stream_k_fixup_generalILi128ELi16ELi2EEvPfPK15HIP_vector_typeIfLj2EEiiiiS1_IjLj3EES5_S5_S5_: ; @_ZL33flash_attn_stream_k_fixup_generalILi128ELi16ELi2EEvPfPK15HIP_vector_typeIfLj2EEiiiiS1_IjLj3EES5_S5_S5_
; %bb.0:
	s_clause 0x1
	s_load_b128 s[4:7], s[0:1], 0x10
	s_load_b32 s20, s[0:1], 0x50
	s_mov_b32 s2, 0
	s_waitcnt lgkmcnt(0)
	s_mul_hi_i32 s3, s7, s13
	s_mul_i32 s12, s7, s13
	s_cmp_lg_u64 s[2:3], 0
	s_cbranch_scc0 .LBB39_21
; %bb.1:
	v_cvt_f32_ubyte0_e32 v1, 0
	v_cvt_f32_u32_e32 v2, s20
	s_sub_u32 s10, 0, s20
	s_subb_u32 s11, 0, 0
	s_delay_alu instid0(VALU_DEP_1) | instskip(NEXT) | instid1(VALU_DEP_1)
	v_fmamk_f32 v1, v1, 0x4f800000, v2
	v_rcp_f32_e32 v1, v1
	s_waitcnt_depctr 0xfff
	v_mul_f32_e32 v1, 0x5f7ffffc, v1
	s_delay_alu instid0(VALU_DEP_1) | instskip(NEXT) | instid1(VALU_DEP_1)
	v_mul_f32_e32 v2, 0x2f800000, v1
	v_trunc_f32_e32 v2, v2
	s_delay_alu instid0(VALU_DEP_1) | instskip(SKIP_1) | instid1(VALU_DEP_2)
	v_fmamk_f32 v1, v2, 0xcf800000, v1
	v_cvt_u32_f32_e32 v2, v2
	v_cvt_u32_f32_e32 v1, v1
	s_delay_alu instid0(VALU_DEP_2) | instskip(NEXT) | instid1(VALU_DEP_2)
	v_readfirstlane_b32 s8, v2
	v_readfirstlane_b32 s9, v1
	s_delay_alu instid0(VALU_DEP_2) | instskip(NEXT) | instid1(VALU_DEP_1)
	s_mul_i32 s16, s10, s8
	s_mul_hi_u32 s18, s10, s9
	s_mul_i32 s17, s11, s9
	s_add_i32 s16, s18, s16
	s_mul_i32 s19, s10, s9
	s_add_i32 s16, s16, s17
	s_mul_hi_u32 s18, s9, s19
	s_mul_hi_u32 s21, s8, s19
	s_mul_i32 s17, s8, s19
	s_mul_hi_u32 s19, s9, s16
	s_mul_i32 s9, s9, s16
	s_mul_hi_u32 s22, s8, s16
	s_add_u32 s9, s18, s9
	s_addc_u32 s18, 0, s19
	s_add_u32 s9, s9, s17
	s_mul_i32 s16, s8, s16
	s_addc_u32 s9, s18, s21
	s_addc_u32 s17, s22, 0
	s_add_u32 s9, s9, s16
	s_addc_u32 s16, 0, s17
	v_add_co_u32 v1, s9, v1, s9
	s_delay_alu instid0(VALU_DEP_1) | instskip(SKIP_1) | instid1(VALU_DEP_1)
	s_cmp_lg_u32 s9, 0
	s_addc_u32 s8, s8, s16
	v_readfirstlane_b32 s9, v1
	s_mul_i32 s16, s10, s8
	s_delay_alu instid0(VALU_DEP_1)
	s_mul_hi_u32 s17, s10, s9
	s_mul_i32 s11, s11, s9
	s_add_i32 s16, s17, s16
	s_mul_i32 s10, s10, s9
	s_add_i32 s16, s16, s11
	s_mul_hi_u32 s17, s8, s10
	s_mul_i32 s18, s8, s10
	s_mul_hi_u32 s10, s9, s10
	s_mul_hi_u32 s19, s9, s16
	s_mul_i32 s9, s9, s16
	s_mul_hi_u32 s11, s8, s16
	s_add_u32 s9, s10, s9
	s_addc_u32 s10, 0, s19
	s_add_u32 s9, s9, s18
	s_mul_i32 s16, s8, s16
	s_addc_u32 s9, s10, s17
	s_addc_u32 s10, s11, 0
	s_add_u32 s9, s9, s16
	s_addc_u32 s10, 0, s10
	v_add_co_u32 v1, s9, v1, s9
	s_delay_alu instid0(VALU_DEP_1) | instskip(SKIP_2) | instid1(SALU_CYCLE_1)
	s_cmp_lg_u32 s9, 0
	s_addc_u32 s16, s8, s10
	s_ashr_i32 s8, s3, 31
	s_add_u32 s10, s12, s8
	s_addc_u32 s11, s3, s8
	v_readfirstlane_b32 s3, v1
	s_mov_b32 s9, s8
	s_delay_alu instid0(SALU_CYCLE_1) | instskip(NEXT) | instid1(SALU_CYCLE_1)
	s_xor_b64 s[10:11], s[10:11], s[8:9]
	s_mul_i32 s18, s10, s16
	s_delay_alu instid0(VALU_DEP_1)
	s_mul_hi_u32 s19, s10, s3
	s_mul_hi_u32 s17, s10, s16
	;; [unrolled: 1-line block ×3, first 2 shown]
	s_mul_i32 s3, s11, s3
	s_add_u32 s18, s19, s18
	s_addc_u32 s17, 0, s17
	s_mul_hi_u32 s21, s11, s16
	s_add_u32 s3, s18, s3
	s_mul_i32 s16, s11, s16
	s_addc_u32 s3, s17, s22
	s_addc_u32 s17, s21, 0
	s_add_u32 s3, s3, s16
	s_addc_u32 s16, 0, s17
	s_mul_i32 s18, s20, s3
	s_add_u32 s17, s3, 1
	v_sub_co_u32 v1, s10, s10, s18
	s_mul_hi_u32 s18, s20, s3
	s_addc_u32 s19, s16, 0
	s_mul_i32 s21, s20, s16
	s_delay_alu instid0(VALU_DEP_1)
	v_sub_co_u32 v2, s22, v1, s20
	s_add_u32 s23, s3, 2
	s_addc_u32 s24, s16, 0
	s_add_i32 s18, s18, s21
	s_cmp_lg_u32 s10, 0
	v_readfirstlane_b32 s10, v2
	s_subb_u32 s11, s11, s18
	s_cmp_lg_u32 s22, 0
	s_subb_u32 s18, s11, 0
	s_delay_alu instid0(VALU_DEP_1) | instskip(SKIP_4) | instid1(SALU_CYCLE_1)
	s_cmp_ge_u32 s10, s20
	s_cselect_b32 s10, -1, 0
	s_cmp_eq_u32 s18, 0
	v_readfirstlane_b32 s18, v1
	s_cselect_b32 s10, s10, -1
	s_cmp_lg_u32 s10, 0
	s_cselect_b32 s10, s23, s17
	s_cselect_b32 s17, s24, s19
	s_cmp_ge_u32 s18, s20
	s_cselect_b32 s18, -1, 0
	s_cmp_eq_u32 s11, 0
	s_cselect_b32 s11, s18, -1
	s_delay_alu instid0(SALU_CYCLE_1) | instskip(SKIP_2) | instid1(SALU_CYCLE_1)
	s_cmp_lg_u32 s11, 0
	s_cselect_b32 s11, s17, s16
	s_cselect_b32 s10, s10, s3
	s_xor_b64 s[10:11], s[10:11], s[8:9]
	s_delay_alu instid0(SALU_CYCLE_1)
	s_sub_u32 s16, s10, s8
	s_load_b128 s[8:11], s[0:1], 0x44
	s_and_not1_b32 vcc_lo, exec_lo, s2
	s_cbranch_vccnz .LBB39_3
.LBB39_2:
	v_cvt_f32_u32_e32 v1, s20
	s_sub_i32 s3, 0, s20
	s_delay_alu instid0(VALU_DEP_1) | instskip(SKIP_2) | instid1(VALU_DEP_1)
	v_rcp_iflag_f32_e32 v1, v1
	s_waitcnt_depctr 0xfff
	v_mul_f32_e32 v1, 0x4f7ffffe, v1
	v_cvt_u32_f32_e32 v1, v1
	s_delay_alu instid0(VALU_DEP_1) | instskip(NEXT) | instid1(VALU_DEP_1)
	v_readfirstlane_b32 s2, v1
	s_mul_i32 s3, s3, s2
	s_delay_alu instid0(SALU_CYCLE_1) | instskip(NEXT) | instid1(SALU_CYCLE_1)
	s_mul_hi_u32 s3, s2, s3
	s_add_i32 s2, s2, s3
	s_delay_alu instid0(SALU_CYCLE_1) | instskip(NEXT) | instid1(SALU_CYCLE_1)
	s_mul_hi_u32 s2, s12, s2
	s_mul_i32 s3, s2, s20
	s_waitcnt lgkmcnt(0)
	s_add_i32 s11, s2, 1
	s_sub_i32 s3, s12, s3
	s_delay_alu instid0(SALU_CYCLE_1)
	s_sub_i32 s12, s3, s20
	s_cmp_ge_u32 s3, s20
	s_cselect_b32 s2, s11, s2
	s_cselect_b32 s3, s12, s3
	s_add_i32 s11, s2, 1
	s_cmp_ge_u32 s3, s20
	s_cselect_b32 s16, s11, s2
.LBB39_3:
	s_waitcnt lgkmcnt(0)
	s_add_i32 s11, s13, 1
	s_mov_b32 s2, 0
	s_mul_hi_i32 s3, s7, s11
	s_mul_i32 s11, s7, s11
	s_cmp_lg_u64 s[2:3], 0
	s_cbranch_scc0 .LBB39_22
; %bb.4:
	v_cvt_f32_ubyte0_e32 v1, 0
	v_cvt_f32_u32_e32 v2, s20
	s_sub_u32 s18, 0, s20
	s_subb_u32 s19, 0, 0
	s_delay_alu instid0(VALU_DEP_1) | instskip(NEXT) | instid1(VALU_DEP_1)
	v_fmamk_f32 v1, v1, 0x4f800000, v2
	v_rcp_f32_e32 v1, v1
	s_waitcnt_depctr 0xfff
	v_mul_f32_e32 v1, 0x5f7ffffc, v1
	s_delay_alu instid0(VALU_DEP_1) | instskip(NEXT) | instid1(VALU_DEP_1)
	v_mul_f32_e32 v2, 0x2f800000, v1
	v_trunc_f32_e32 v2, v2
	s_delay_alu instid0(VALU_DEP_1) | instskip(SKIP_1) | instid1(VALU_DEP_2)
	v_fmamk_f32 v1, v2, 0xcf800000, v1
	v_cvt_u32_f32_e32 v2, v2
	v_cvt_u32_f32_e32 v1, v1
	s_delay_alu instid0(VALU_DEP_2) | instskip(NEXT) | instid1(VALU_DEP_2)
	v_readfirstlane_b32 s12, v2
	v_readfirstlane_b32 s17, v1
	s_delay_alu instid0(VALU_DEP_2) | instskip(NEXT) | instid1(VALU_DEP_1)
	s_mul_i32 s21, s18, s12
	s_mul_hi_u32 s23, s18, s17
	s_mul_i32 s22, s19, s17
	s_add_i32 s21, s23, s21
	s_mul_i32 s24, s18, s17
	s_add_i32 s21, s21, s22
	s_mul_hi_u32 s23, s17, s24
	s_mul_hi_u32 s25, s12, s24
	s_mul_i32 s22, s12, s24
	s_mul_hi_u32 s24, s17, s21
	s_mul_i32 s17, s17, s21
	s_mul_hi_u32 s26, s12, s21
	s_add_u32 s17, s23, s17
	s_addc_u32 s23, 0, s24
	s_add_u32 s17, s17, s22
	s_mul_i32 s21, s12, s21
	s_addc_u32 s17, s23, s25
	s_addc_u32 s22, s26, 0
	s_add_u32 s17, s17, s21
	s_addc_u32 s21, 0, s22
	v_add_co_u32 v1, s17, v1, s17
	s_delay_alu instid0(VALU_DEP_1) | instskip(SKIP_1) | instid1(VALU_DEP_1)
	s_cmp_lg_u32 s17, 0
	s_addc_u32 s12, s12, s21
	v_readfirstlane_b32 s17, v1
	s_mul_i32 s21, s18, s12
	s_delay_alu instid0(VALU_DEP_1)
	s_mul_hi_u32 s22, s18, s17
	s_mul_i32 s19, s19, s17
	s_add_i32 s21, s22, s21
	s_mul_i32 s18, s18, s17
	s_add_i32 s21, s21, s19
	s_mul_hi_u32 s22, s12, s18
	s_mul_i32 s23, s12, s18
	s_mul_hi_u32 s18, s17, s18
	s_mul_hi_u32 s24, s17, s21
	s_mul_i32 s17, s17, s21
	s_mul_hi_u32 s19, s12, s21
	s_add_u32 s17, s18, s17
	s_addc_u32 s18, 0, s24
	s_add_u32 s17, s17, s23
	s_mul_i32 s21, s12, s21
	s_addc_u32 s17, s18, s22
	s_addc_u32 s18, s19, 0
	s_add_u32 s17, s17, s21
	s_addc_u32 s18, 0, s18
	v_add_co_u32 v1, s17, v1, s17
	s_delay_alu instid0(VALU_DEP_1) | instskip(SKIP_2) | instid1(SALU_CYCLE_1)
	s_cmp_lg_u32 s17, 0
	s_addc_u32 s12, s12, s18
	s_ashr_i32 s18, s3, 31
	s_add_u32 s22, s11, s18
	s_addc_u32 s23, s3, s18
	v_readfirstlane_b32 s3, v1
	s_mov_b32 s19, s18
	s_delay_alu instid0(SALU_CYCLE_1) | instskip(NEXT) | instid1(SALU_CYCLE_1)
	s_xor_b64 s[22:23], s[22:23], s[18:19]
	s_mul_i32 s21, s22, s12
	s_delay_alu instid0(VALU_DEP_1)
	s_mul_hi_u32 s24, s22, s3
	s_mul_hi_u32 s17, s22, s12
	s_mul_hi_u32 s26, s23, s3
	s_mul_i32 s3, s23, s3
	s_add_u32 s21, s24, s21
	s_addc_u32 s17, 0, s17
	s_mul_hi_u32 s25, s23, s12
	s_add_u32 s3, s21, s3
	s_mul_i32 s12, s23, s12
	s_addc_u32 s3, s17, s26
	s_addc_u32 s17, s25, 0
	s_add_u32 s3, s3, s12
	s_addc_u32 s12, 0, s17
	s_mul_i32 s21, s20, s3
	s_add_u32 s17, s3, 1
	v_sub_co_u32 v1, s21, s22, s21
	s_mul_hi_u32 s22, s20, s3
	s_addc_u32 s24, s12, 0
	s_mul_i32 s25, s20, s12
	s_delay_alu instid0(VALU_DEP_1)
	v_sub_co_u32 v2, s26, v1, s20
	s_add_u32 s27, s3, 2
	s_addc_u32 s28, s12, 0
	s_add_i32 s22, s22, s25
	s_cmp_lg_u32 s21, 0
	v_readfirstlane_b32 s21, v2
	s_subb_u32 s22, s23, s22
	s_cmp_lg_u32 s26, 0
	s_subb_u32 s23, s22, 0
	s_delay_alu instid0(VALU_DEP_1) | instskip(SKIP_4) | instid1(SALU_CYCLE_1)
	s_cmp_ge_u32 s21, s20
	s_cselect_b32 s21, -1, 0
	s_cmp_eq_u32 s23, 0
	v_readfirstlane_b32 s23, v1
	s_cselect_b32 s21, s21, -1
	s_cmp_lg_u32 s21, 0
	s_cselect_b32 s17, s27, s17
	s_cselect_b32 s21, s28, s24
	s_cmp_ge_u32 s23, s20
	s_cselect_b32 s23, -1, 0
	s_cmp_eq_u32 s22, 0
	s_cselect_b32 s22, s23, -1
	s_delay_alu instid0(SALU_CYCLE_1) | instskip(SKIP_2) | instid1(SALU_CYCLE_1)
	s_cmp_lg_u32 s22, 0
	s_cselect_b32 s23, s21, s12
	s_cselect_b32 s22, s17, s3
	s_xor_b64 s[22:23], s[22:23], s[18:19]
	s_delay_alu instid0(SALU_CYCLE_1)
	s_sub_u32 s18, s22, s18
	s_and_not1_b32 vcc_lo, exec_lo, s2
	s_cbranch_vccnz .LBB39_6
.LBB39_5:
	v_cvt_f32_u32_e32 v1, s20
	s_sub_i32 s3, 0, s20
	s_delay_alu instid0(VALU_DEP_1) | instskip(SKIP_2) | instid1(VALU_DEP_1)
	v_rcp_iflag_f32_e32 v1, v1
	s_waitcnt_depctr 0xfff
	v_mul_f32_e32 v1, 0x4f7ffffe, v1
	v_cvt_u32_f32_e32 v1, v1
	s_delay_alu instid0(VALU_DEP_1) | instskip(NEXT) | instid1(VALU_DEP_1)
	v_readfirstlane_b32 s2, v1
	s_mul_i32 s3, s3, s2
	s_delay_alu instid0(SALU_CYCLE_1) | instskip(NEXT) | instid1(SALU_CYCLE_1)
	s_mul_hi_u32 s3, s2, s3
	s_add_i32 s2, s2, s3
	s_delay_alu instid0(SALU_CYCLE_1) | instskip(NEXT) | instid1(SALU_CYCLE_1)
	s_mul_hi_u32 s2, s11, s2
	s_mul_i32 s3, s2, s20
	s_delay_alu instid0(SALU_CYCLE_1)
	s_sub_i32 s3, s11, s3
	s_add_i32 s11, s2, 1
	s_sub_i32 s12, s3, s20
	s_cmp_ge_u32 s3, s20
	s_cselect_b32 s2, s11, s2
	s_cselect_b32 s3, s12, s3
	s_add_i32 s11, s2, 1
	s_cmp_ge_u32 s3, s20
	s_cselect_b32 s18, s11, s2
.LBB39_6:
	s_delay_alu instid0(SALU_CYCLE_1) | instskip(SKIP_3) | instid1(SALU_CYCLE_1)
	s_cmp_eq_u32 s16, s18
	s_mul_hi_u32 s2, s16, s8
	s_cselect_b32 s3, -1, 0
	s_add_i32 s2, s2, s16
	s_lshr_b32 s11, s2, s9
	s_delay_alu instid0(SALU_CYCLE_1) | instskip(NEXT) | instid1(SALU_CYCLE_1)
	s_mul_i32 s2, s11, s10
	s_cmp_eq_u32 s2, s16
	s_mul_hi_u32 s2, s18, s8
	s_cselect_b32 s12, -1, 0
	s_add_i32 s2, s2, s18
	s_delay_alu instid0(SALU_CYCLE_1) | instskip(NEXT) | instid1(SALU_CYCLE_1)
	s_lshr_b32 s2, s2, s9
	s_cmp_eq_u32 s11, s2
	s_mul_i32 s2, s2, s10
	s_cselect_b32 s17, -1, 0
	s_cmp_lg_u32 s2, s18
	s_cselect_b32 s2, -1, 0
	s_or_b32 s3, s3, s12
	s_and_b32 s2, s17, s2
	s_delay_alu instid0(SALU_CYCLE_1) | instskip(NEXT) | instid1(SALU_CYCLE_1)
	s_or_b32 s2, s3, s2
	s_and_b32 vcc_lo, exec_lo, s2
	s_cbranch_vccnz .LBB39_24
; %bb.7:
	s_load_b256 s[24:31], s[0:1], 0x20
	s_waitcnt lgkmcnt(0)
	s_mul_hi_u32 s2, s16, s24
	s_delay_alu instid0(SALU_CYCLE_1) | instskip(NEXT) | instid1(SALU_CYCLE_1)
	s_add_i32 s2, s2, s16
	s_lshr_b32 s17, s2, s25
	s_load_b32 s2, s[0:1], 0x40
	s_mul_i32 s3, s17, s26
	s_delay_alu instid0(SALU_CYCLE_1) | instskip(NEXT) | instid1(SALU_CYCLE_1)
	s_sub_i32 s3, s16, s3
	s_mul_hi_u32 s12, s3, s27
	s_delay_alu instid0(SALU_CYCLE_1) | instskip(NEXT) | instid1(SALU_CYCLE_1)
	s_add_i32 s12, s3, s12
	s_lshr_b32 s21, s12, s28
	s_delay_alu instid0(SALU_CYCLE_1) | instskip(NEXT) | instid1(SALU_CYCLE_1)
	s_mul_i32 s12, s21, s29
	s_sub_i32 s3, s3, s12
	s_delay_alu instid0(SALU_CYCLE_1) | instskip(NEXT) | instid1(SALU_CYCLE_1)
	s_mul_hi_u32 s12, s3, s30
	s_add_i32 s12, s3, s12
	s_delay_alu instid0(SALU_CYCLE_1)
	s_lshr_b32 s12, s12, s31
	s_waitcnt lgkmcnt(0)
	s_mul_i32 s2, s12, s2
	s_lshl_b32 s23, s12, 1
	s_sub_i32 s2, s3, s2
	s_mov_b32 s12, 0
	s_mul_hi_u32 s3, s2, s8
	s_delay_alu instid0(SALU_CYCLE_1) | instskip(NEXT) | instid1(SALU_CYCLE_1)
	s_add_i32 s2, s2, s3
	s_lshr_b32 s22, s2, s9
	s_delay_alu instid0(SALU_CYCLE_1) | instskip(NEXT) | instid1(SALU_CYCLE_1)
	s_lshl_b32 s2, s22, 4
	s_add_i32 s2, s2, s14
	s_delay_alu instid0(SALU_CYCLE_1) | instskip(SKIP_2) | instid1(SALU_CYCLE_1)
	s_cmp_lt_i32 s2, s4
	s_cselect_b32 s2, -1, 0
	s_add_i32 s3, s23, s15
	s_cmp_lt_i32 s3, s6
	s_cselect_b32 s3, -1, 0
	s_delay_alu instid0(SALU_CYCLE_1) | instskip(NEXT) | instid1(SALU_CYCLE_1)
	s_and_b32 s2, s2, s3
	s_and_not1_b32 vcc_lo, exec_lo, s2
	s_cbranch_vccnz .LBB39_24
; %bb.8:
	s_load_b128 s[0:3], s[0:1], 0x0
	s_lshl_b32 s18, s20, 7
	s_mov_b32 s19, s12
	s_lshl_b32 s24, s14, 1
	s_lshl_b64 s[18:19], s[18:19], 2
	s_mul_i32 s4, s17, s4
	s_add_i32 s17, s24, s15
	s_mul_i32 s21, s21, s6
	v_cvt_f32_ubyte0_e32 v4, 0
	v_cvt_f32_u32_e32 v5, s20
	s_waitcnt lgkmcnt(0)
	s_add_u32 s18, s2, s18
	s_addc_u32 s19, s3, s19
	s_add_i32 s4, s4, s14
	s_delay_alu instid0(SALU_CYCLE_1) | instskip(SKIP_4) | instid1(SALU_CYCLE_1)
	s_mul_i32 s4, s4, s5
	s_mul_i32 s5, s5, s22
	s_add_i32 s4, s4, s15
	s_lshl_b32 s5, s5, 11
	s_add_i32 s4, s4, s21
	s_add_i32 s4, s4, s23
	s_delay_alu instid0(SALU_CYCLE_1) | instskip(NEXT) | instid1(SALU_CYCLE_1)
	s_lshl_b32 s4, s4, 7
	s_add_i32 s5, s5, s4
	s_delay_alu instid0(SALU_CYCLE_1) | instskip(SKIP_1) | instid1(VALU_DEP_2)
	v_or_b32_e32 v1, s5, v0
	v_lshl_or_b32 v0, s17, 7, v0
	v_ashrrev_i32_e32 v2, 31, v1
	s_delay_alu instid0(VALU_DEP_1) | instskip(NEXT) | instid1(VALU_DEP_1)
	v_lshlrev_b64 v[1:2], 2, v[1:2]
	v_add_co_u32 v1, vcc_lo, s0, v1
	s_delay_alu instid0(VALU_DEP_2) | instskip(SKIP_1) | instid1(SALU_CYCLE_1)
	v_add_co_ci_u32_e32 v2, vcc_lo, s1, v2, vcc_lo
	s_lshl_b32 s0, s13, 5
	s_add_i32 s0, s17, s0
	global_load_b32 v3, v[1:2], off
	s_ashr_i32 s1, s0, 31
	s_delay_alu instid0(SALU_CYCLE_1) | instskip(NEXT) | instid1(SALU_CYCLE_1)
	s_lshl_b64 s[0:1], s[0:1], 3
	s_add_u32 s0, s2, s0
	s_addc_u32 s1, s3, s1
	s_add_i32 s14, s13, -1
	s_load_b64 s[0:1], s[0:1], 0x0
	v_fmac_f32_e32 v5, 0x4f800000, v4
	s_sub_i32 s6, 0, s20
	s_waitcnt lgkmcnt(0)
	v_mov_b32_e32 v8, s0
	s_delay_alu instid0(VALU_DEP_2) | instskip(SKIP_2) | instid1(VALU_DEP_2)
	v_rcp_f32_e32 v4, v5
	v_cvt_f32_u32_e32 v5, s20
	v_mov_b32_e32 v7, s1
	v_rcp_iflag_f32_e32 v5, v5
	s_waitcnt_depctr 0xfff
	v_mul_f32_e32 v4, 0x5f7ffffc, v4
	s_delay_alu instid0(VALU_DEP_1) | instskip(SKIP_1) | instid1(VALU_DEP_2)
	v_mul_f32_e32 v6, 0x2f800000, v4
	v_mul_f32_e32 v9, 0x4f7ffffe, v5
	v_trunc_f32_e32 v6, v6
	s_delay_alu instid0(VALU_DEP_1) | instskip(SKIP_1) | instid1(VALU_DEP_4)
	v_fmac_f32_e32 v4, 0xcf800000, v6
	v_cvt_u32_f32_e32 v5, v6
	v_cvt_u32_f32_e32 v6, v9
	s_delay_alu instid0(VALU_DEP_3)
	v_cvt_u32_f32_e32 v4, v4
.LBB39_9:                               ; =>This Inner Loop Header: Depth=1
	s_mul_hi_i32 s13, s14, s7
	s_mul_i32 s4, s14, s7
	s_cmp_lg_u64 s[12:13], 0
	s_mov_b32 s5, -1
                                        ; implicit-def: $sgpr0_sgpr1
	s_cbranch_scc0 .LBB39_11
; %bb.10:                               ;   in Loop: Header=BB39_9 Depth=1
	v_readfirstlane_b32 s0, v4
	v_readfirstlane_b32 s1, v5
	s_sub_u32 s5, 0, s20
	s_subb_u32 s15, 0, 0
	s_delay_alu instid0(VALU_DEP_2) | instskip(NEXT) | instid1(VALU_DEP_1)
	s_mul_hi_u32 s21, s5, s0
	s_mul_i32 s22, s5, s1
	s_mul_i32 s23, s15, s0
	s_add_i32 s21, s21, s22
	s_mul_i32 s22, s5, s0
	s_add_i32 s21, s21, s23
	s_mul_hi_u32 s23, s0, s22
	s_mul_i32 s24, s0, s21
	s_mul_hi_u32 s0, s0, s21
	s_add_u32 s23, s23, s24
	s_mul_i32 s25, s1, s22
	s_addc_u32 s0, 0, s0
	s_mul_hi_u32 s22, s1, s22
	s_mul_hi_u32 s24, s1, s21
	s_add_u32 s23, s23, s25
	s_addc_u32 s0, s0, s22
	s_mul_i32 s21, s1, s21
	s_addc_u32 s22, s24, 0
	s_add_u32 s0, s0, s21
	s_addc_u32 s21, 0, s22
	v_add_co_u32 v9, s0, v4, s0
	s_delay_alu instid0(VALU_DEP_1) | instskip(SKIP_1) | instid1(VALU_DEP_1)
	s_cmp_lg_u32 s0, 0
	s_addc_u32 s1, s1, s21
	v_readfirstlane_b32 s0, v9
	s_mul_i32 s21, s5, s1
	s_delay_alu instid0(VALU_DEP_1)
	s_mul_hi_u32 s22, s5, s0
	s_mul_i32 s15, s15, s0
	s_add_i32 s21, s22, s21
	s_mul_i32 s5, s5, s0
	s_add_i32 s21, s21, s15
	s_mul_hi_u32 s15, s1, s5
	s_mul_i32 s23, s1, s5
	s_mul_i32 s24, s0, s21
	s_mul_hi_u32 s5, s0, s5
	s_mul_hi_u32 s0, s0, s21
	s_add_u32 s5, s5, s24
	s_addc_u32 s0, 0, s0
	s_mul_hi_u32 s22, s1, s21
	s_add_u32 s5, s5, s23
	s_addc_u32 s0, s0, s15
	s_mul_i32 s5, s1, s21
	s_addc_u32 s15, s22, 0
	s_add_u32 s0, s0, s5
	s_addc_u32 s5, 0, s15
	v_add_co_u32 v9, s0, v9, s0
	s_delay_alu instid0(VALU_DEP_1) | instskip(SKIP_2) | instid1(SALU_CYCLE_1)
	s_cmp_lg_u32 s0, 0
	s_addc_u32 s5, s1, s5
	s_ashr_i32 s0, s13, 31
	s_add_u32 s22, s4, s0
	s_addc_u32 s23, s13, s0
	v_readfirstlane_b32 s13, v9
	s_mov_b32 s1, s0
	s_delay_alu instid0(SALU_CYCLE_1) | instskip(NEXT) | instid1(SALU_CYCLE_1)
	s_xor_b64 s[22:23], s[22:23], s[0:1]
	s_mul_i32 s15, s22, s5
	s_delay_alu instid0(VALU_DEP_1)
	s_mul_hi_u32 s21, s22, s13
	s_mul_hi_u32 s24, s22, s5
	s_add_u32 s15, s21, s15
	s_mul_i32 s25, s23, s13
	s_addc_u32 s21, 0, s24
	s_mul_hi_u32 s13, s23, s13
	s_mul_hi_u32 s24, s23, s5
	s_add_u32 s15, s15, s25
	s_addc_u32 s13, s21, s13
	s_mul_i32 s5, s23, s5
	s_addc_u32 s15, s24, 0
	s_add_u32 s5, s13, s5
	s_addc_u32 s13, 0, s15
	s_mul_i32 s21, s20, s5
	s_add_u32 s15, s5, 1
	v_sub_co_u32 v9, s21, s22, s21
	s_addc_u32 s22, s13, 0
	s_mul_i32 s25, s20, s13
	s_mul_hi_u32 s27, s20, s5
	s_delay_alu instid0(VALU_DEP_1)
	v_sub_co_u32 v10, s26, v9, s20
	s_add_u32 s24, s5, 2
	s_addc_u32 s28, s13, 0
	s_add_i32 s27, s27, s25
	s_cmp_lg_u32 s21, 0
	v_readfirstlane_b32 s21, v10
	s_subb_u32 s23, s23, s27
	s_cmp_lg_u32 s26, 0
	s_subb_u32 s25, s23, 0
	s_delay_alu instid0(VALU_DEP_1) | instskip(SKIP_4) | instid1(SALU_CYCLE_1)
	s_cmp_ge_u32 s21, s20
	s_cselect_b32 s21, -1, 0
	s_cmp_eq_u32 s25, 0
	v_readfirstlane_b32 s25, v9
	s_cselect_b32 s21, s21, -1
	s_cmp_lg_u32 s21, 0
	s_cselect_b32 s15, s24, s15
	s_cselect_b32 s21, s28, s22
	s_cmp_ge_u32 s25, s20
	s_cselect_b32 s22, -1, 0
	s_cmp_eq_u32 s23, 0
	s_cselect_b32 s22, s22, -1
	s_delay_alu instid0(SALU_CYCLE_1) | instskip(SKIP_4) | instid1(SALU_CYCLE_1)
	s_cmp_lg_u32 s22, 0
	s_cselect_b32 s23, s21, s13
	s_cselect_b32 s22, s15, s5
	s_mov_b32 s5, 0
	s_xor_b64 s[22:23], s[22:23], s[0:1]
	s_sub_u32 s0, s22, s0
.LBB39_11:                              ;   in Loop: Header=BB39_9 Depth=1
	s_and_not1_b32 vcc_lo, exec_lo, s5
	s_cbranch_vccnz .LBB39_13
; %bb.12:                               ;   in Loop: Header=BB39_9 Depth=1
	v_readfirstlane_b32 s0, v6
	s_delay_alu instid0(VALU_DEP_1) | instskip(NEXT) | instid1(SALU_CYCLE_1)
	s_mul_i32 s1, s6, s0
	s_mul_hi_u32 s1, s0, s1
	s_delay_alu instid0(SALU_CYCLE_1) | instskip(NEXT) | instid1(SALU_CYCLE_1)
	s_add_i32 s0, s0, s1
	s_mul_hi_u32 s0, s4, s0
	s_delay_alu instid0(SALU_CYCLE_1) | instskip(NEXT) | instid1(SALU_CYCLE_1)
	s_mul_i32 s1, s0, s20
	s_sub_i32 s1, s4, s1
	s_add_i32 s4, s0, 1
	s_sub_i32 s5, s1, s20
	s_cmp_ge_u32 s1, s20
	s_cselect_b32 s0, s4, s0
	s_cselect_b32 s1, s5, s1
	s_add_i32 s4, s0, 1
	s_cmp_ge_u32 s1, s20
	s_cselect_b32 s0, s4, s0
.LBB39_13:                              ;   in Loop: Header=BB39_9 Depth=1
	s_delay_alu instid0(SALU_CYCLE_1)
	s_cmp_lg_u32 s16, s0
	s_cbranch_scc0 .LBB39_17
; %bb.14:                               ;   in Loop: Header=BB39_9 Depth=1
	s_add_i32 s1, s14, s20
	s_mov_b32 s5, s12
	s_lshl_b32 s1, s1, 5
	s_mov_b32 s15, s16
	s_add_i32 s4, s1, s17
	s_mul_hi_u32 s1, s0, s8
	s_lshl_b64 s[4:5], s[4:5], 3
	s_delay_alu instid0(SALU_CYCLE_1) | instskip(SKIP_2) | instid1(SALU_CYCLE_1)
	s_add_u32 s4, s2, s4
	s_addc_u32 s5, s3, s5
	s_add_i32 s1, s1, s0
	s_lshr_b32 s1, s1, s9
	s_delay_alu instid0(SALU_CYCLE_1) | instskip(NEXT) | instid1(SALU_CYCLE_1)
	s_mul_i32 s13, s1, s10
	s_cmp_eq_u32 s13, s0
	s_cselect_b32 s13, -1, 0
	s_cmp_lt_u32 s1, s11
	s_cselect_b32 s1, -1, 0
	s_delay_alu instid0(SALU_CYCLE_1)
	s_or_b32 s1, s1, s13
	s_mov_b32 s13, -1
	s_and_b32 vcc_lo, exec_lo, s1
	s_mov_b32 s1, s14
	s_cbranch_vccnz .LBB39_16
; %bb.15:                               ;   in Loop: Header=BB39_9 Depth=1
	s_add_i32 s1, s14, -1
	s_mov_b32 s13, 0
	s_mov_b32 s15, s0
.LBB39_16:                              ;   in Loop: Header=BB39_9 Depth=1
	v_lshl_add_u32 v9, s14, 12, v0
	s_load_b64 s[4:5], s[4:5], 0x0
	s_delay_alu instid0(VALU_DEP_1) | instskip(NEXT) | instid1(VALU_DEP_1)
	v_ashrrev_i32_e32 v10, 31, v9
	v_lshlrev_b64 v[9:10], 2, v[9:10]
	s_delay_alu instid0(VALU_DEP_1) | instskip(NEXT) | instid1(VALU_DEP_2)
	v_add_co_u32 v9, vcc_lo, s18, v9
	v_add_co_ci_u32_e32 v10, vcc_lo, s19, v10, vcc_lo
	s_waitcnt lgkmcnt(0)
	v_max_f32_e64 v11, s4, s4
	global_load_b32 v10, v[9:10], off
	v_max_f32_e32 v9, v8, v8
	s_delay_alu instid0(VALU_DEP_1) | instskip(NEXT) | instid1(VALU_DEP_1)
	v_max_f32_e32 v9, v9, v11
	v_sub_f32_e32 v12, v8, v9
	s_delay_alu instid0(VALU_DEP_1) | instskip(NEXT) | instid1(VALU_DEP_1)
	v_dual_mul_f32 v14, 0x3fb8aa3b, v12 :: v_dual_sub_f32 v11, s4, v9
	v_rndne_f32_e32 v18, v14
	s_delay_alu instid0(VALU_DEP_2) | instskip(SKIP_2) | instid1(VALU_DEP_4)
	v_mul_f32_e32 v13, 0x3fb8aa3b, v11
	v_fma_f32 v17, 0x3fb8aa3b, v12, -v14
	v_cmp_ngt_f32_e32 vcc_lo, 0xc2ce8ed0, v11
	v_sub_f32_e32 v14, v14, v18
	s_delay_alu instid0(VALU_DEP_4) | instskip(SKIP_2) | instid1(VALU_DEP_3)
	v_fma_f32 v15, 0x3fb8aa3b, v11, -v13
	v_rndne_f32_e32 v16, v13
	v_fmac_f32_e32 v17, 0x32a5705f, v12
	v_fmac_f32_e32 v15, 0x32a5705f, v11
	s_delay_alu instid0(VALU_DEP_2) | instskip(NEXT) | instid1(VALU_DEP_1)
	v_dual_sub_f32 v13, v13, v16 :: v_dual_add_f32 v14, v14, v17
	v_add_f32_e32 v13, v13, v15
	s_delay_alu instid0(VALU_DEP_2) | instskip(SKIP_2) | instid1(VALU_DEP_3)
	v_exp_f32_e32 v14, v14
	v_cvt_i32_f32_e32 v15, v16
	v_cvt_i32_f32_e32 v16, v18
	v_exp_f32_e32 v13, v13
	s_waitcnt_depctr 0xfff
	v_ldexp_f32 v14, v14, v16
	v_ldexp_f32 v13, v13, v15
	s_delay_alu instid0(VALU_DEP_1) | instskip(SKIP_1) | instid1(VALU_DEP_4)
	v_cndmask_b32_e32 v13, 0, v13, vcc_lo
	v_cmp_ngt_f32_e32 vcc_lo, 0xc2ce8ed0, v12
	v_cndmask_b32_e32 v14, 0, v14, vcc_lo
	v_cmp_nlt_f32_e32 vcc_lo, 0x42b17218, v11
	s_delay_alu instid0(VALU_DEP_4) | instskip(SKIP_1) | instid1(VALU_DEP_4)
	v_cndmask_b32_e32 v13, 0x7f800000, v13, vcc_lo
	v_cmp_nlt_f32_e32 vcc_lo, 0x42b17218, v12
	v_cndmask_b32_e32 v14, 0x7f800000, v14, vcc_lo
	v_cmp_le_f32_e32 vcc_lo, 0xc1a00000, v11
	s_delay_alu instid0(VALU_DEP_4) | instskip(SKIP_1) | instid1(VALU_DEP_4)
	v_cndmask_b32_e32 v11, 0, v13, vcc_lo
	v_cmp_le_f32_e32 vcc_lo, 0xc1a00000, v12
	v_cndmask_b32_e32 v12, 0, v14, vcc_lo
	s_waitcnt vmcnt(0)
	s_delay_alu instid0(VALU_DEP_3) | instskip(NEXT) | instid1(VALU_DEP_1)
	v_mul_f32_e32 v10, v10, v11
	v_dual_mul_f32 v11, s5, v11 :: v_dual_fmac_f32 v10, v3, v12
	s_delay_alu instid0(VALU_DEP_1)
	v_fmac_f32_e32 v11, v7, v12
	s_cbranch_execz .LBB39_18
	s_branch .LBB39_19
.LBB39_17:                              ;   in Loop: Header=BB39_9 Depth=1
                                        ; implicit-def: $sgpr13
                                        ; implicit-def: $vgpr10
                                        ; implicit-def: $vgpr9
                                        ; implicit-def: $vgpr11
                                        ; implicit-def: $sgpr1
                                        ; implicit-def: $sgpr15
.LBB39_18:                              ;   in Loop: Header=BB39_9 Depth=1
	v_mov_b32_e32 v11, v7
	s_waitcnt vmcnt(0)
	v_dual_mov_b32 v9, v8 :: v_dual_mov_b32 v10, v3
	s_add_i32 s1, s14, -1
	s_mov_b32 s13, 0
	s_mov_b32 s15, s16
.LBB39_19:                              ;   in Loop: Header=BB39_9 Depth=1
	s_and_not1_b32 vcc_lo, exec_lo, s13
	s_cbranch_vccz .LBB39_23
; %bb.20:                               ;   in Loop: Header=BB39_9 Depth=1
	v_dual_mov_b32 v7, v11 :: v_dual_mov_b32 v8, v9
	s_waitcnt vmcnt(0)
	v_mov_b32_e32 v3, v10
	s_mov_b32 s16, s15
	s_mov_b32 s14, s1
	s_branch .LBB39_9
.LBB39_21:
                                        ; implicit-def: $sgpr16_sgpr17
	s_load_b128 s[8:11], s[0:1], 0x44
	s_branch .LBB39_2
.LBB39_22:
                                        ; implicit-def: $sgpr18_sgpr19
	s_branch .LBB39_5
.LBB39_23:
	v_div_scale_f32 v0, null, v11, v11, v10
	s_waitcnt vmcnt(0)
	s_delay_alu instid0(VALU_DEP_1) | instskip(SKIP_2) | instid1(VALU_DEP_1)
	v_rcp_f32_e32 v3, v0
	s_waitcnt_depctr 0xfff
	v_fma_f32 v4, -v0, v3, 1.0
	v_fmac_f32_e32 v3, v4, v3
	v_div_scale_f32 v4, vcc_lo, v10, v11, v10
	s_delay_alu instid0(VALU_DEP_1) | instskip(NEXT) | instid1(VALU_DEP_1)
	v_mul_f32_e32 v5, v4, v3
	v_fma_f32 v6, -v0, v5, v4
	s_delay_alu instid0(VALU_DEP_1) | instskip(NEXT) | instid1(VALU_DEP_1)
	v_fmac_f32_e32 v5, v6, v3
	v_fma_f32 v0, -v0, v5, v4
	s_delay_alu instid0(VALU_DEP_1) | instskip(NEXT) | instid1(VALU_DEP_1)
	v_div_fmas_f32 v0, v0, v3, v5
	v_div_fixup_f32 v0, v0, v11, v10
	global_store_b32 v[1:2], v0, off
.LBB39_24:
	s_nop 0
	s_sendmsg sendmsg(MSG_DEALLOC_VGPRS)
	s_endpgm
	.section	.rodata,"a",@progbits
	.p2align	6, 0x0
	.amdhsa_kernel _ZL33flash_attn_stream_k_fixup_generalILi128ELi16ELi2EEvPfPK15HIP_vector_typeIfLj2EEiiiiS1_IjLj3EES5_S5_S5_
		.amdhsa_group_segment_fixed_size 0
		.amdhsa_private_segment_fixed_size 0
		.amdhsa_kernarg_size 336
		.amdhsa_user_sgpr_count 13
		.amdhsa_user_sgpr_dispatch_ptr 0
		.amdhsa_user_sgpr_queue_ptr 0
		.amdhsa_user_sgpr_kernarg_segment_ptr 1
		.amdhsa_user_sgpr_dispatch_id 0
		.amdhsa_user_sgpr_private_segment_size 0
		.amdhsa_wavefront_size32 1
		.amdhsa_uses_dynamic_stack 0
		.amdhsa_enable_private_segment 0
		.amdhsa_system_sgpr_workgroup_id_x 1
		.amdhsa_system_sgpr_workgroup_id_y 1
		.amdhsa_system_sgpr_workgroup_id_z 1
		.amdhsa_system_sgpr_workgroup_info 0
		.amdhsa_system_vgpr_workitem_id 0
		.amdhsa_next_free_vgpr 19
		.amdhsa_next_free_sgpr 32
		.amdhsa_reserve_vcc 1
		.amdhsa_float_round_mode_32 0
		.amdhsa_float_round_mode_16_64 0
		.amdhsa_float_denorm_mode_32 3
		.amdhsa_float_denorm_mode_16_64 3
		.amdhsa_dx10_clamp 1
		.amdhsa_ieee_mode 1
		.amdhsa_fp16_overflow 0
		.amdhsa_workgroup_processor_mode 1
		.amdhsa_memory_ordered 1
		.amdhsa_forward_progress 0
		.amdhsa_shared_vgpr_count 0
		.amdhsa_exception_fp_ieee_invalid_op 0
		.amdhsa_exception_fp_denorm_src 0
		.amdhsa_exception_fp_ieee_div_zero 0
		.amdhsa_exception_fp_ieee_overflow 0
		.amdhsa_exception_fp_ieee_underflow 0
		.amdhsa_exception_fp_ieee_inexact 0
		.amdhsa_exception_int_div_zero 0
	.end_amdhsa_kernel
	.section	.text._ZL33flash_attn_stream_k_fixup_generalILi128ELi16ELi2EEvPfPK15HIP_vector_typeIfLj2EEiiiiS1_IjLj3EES5_S5_S5_,"axG",@progbits,_ZL33flash_attn_stream_k_fixup_generalILi128ELi16ELi2EEvPfPK15HIP_vector_typeIfLj2EEiiiiS1_IjLj3EES5_S5_S5_,comdat
.Lfunc_end39:
	.size	_ZL33flash_attn_stream_k_fixup_generalILi128ELi16ELi2EEvPfPK15HIP_vector_typeIfLj2EEiiiiS1_IjLj3EES5_S5_S5_, .Lfunc_end39-_ZL33flash_attn_stream_k_fixup_generalILi128ELi16ELi2EEvPfPK15HIP_vector_typeIfLj2EEiiiiS1_IjLj3EES5_S5_S5_
                                        ; -- End function
	.section	.AMDGPU.csdata,"",@progbits
; Kernel info:
; codeLenInByte = 3224
; NumSgprs: 34
; NumVgprs: 19
; ScratchSize: 0
; MemoryBound: 0
; FloatMode: 240
; IeeeMode: 1
; LDSByteSize: 0 bytes/workgroup (compile time only)
; SGPRBlocks: 4
; VGPRBlocks: 2
; NumSGPRsForWavesPerEU: 34
; NumVGPRsForWavesPerEU: 19
; Occupancy: 16
; WaveLimiterHint : 0
; COMPUTE_PGM_RSRC2:SCRATCH_EN: 0
; COMPUTE_PGM_RSRC2:USER_SGPR: 13
; COMPUTE_PGM_RSRC2:TRAP_HANDLER: 0
; COMPUTE_PGM_RSRC2:TGID_X_EN: 1
; COMPUTE_PGM_RSRC2:TGID_Y_EN: 1
; COMPUTE_PGM_RSRC2:TGID_Z_EN: 1
; COMPUTE_PGM_RSRC2:TIDIG_COMP_CNT: 0
	.section	.text._ZL15flash_attn_tileILi128ELi128ELi8ELi2ELb0EEvPKcS1_S1_S1_S1_PKiPfP15HIP_vector_typeIfLj2EEffffjfiS5_IjLj3EEiiiiiiiiiiiliiliiiiil,"axG",@progbits,_ZL15flash_attn_tileILi128ELi128ELi8ELi2ELb0EEvPKcS1_S1_S1_S1_PKiPfP15HIP_vector_typeIfLj2EEffffjfiS5_IjLj3EEiiiiiiiiiiiliiliiiiil,comdat
	.globl	_ZL15flash_attn_tileILi128ELi128ELi8ELi2ELb0EEvPKcS1_S1_S1_S1_PKiPfP15HIP_vector_typeIfLj2EEffffjfiS5_IjLj3EEiiiiiiiiiiiliiliiiiil ; -- Begin function _ZL15flash_attn_tileILi128ELi128ELi8ELi2ELb0EEvPKcS1_S1_S1_S1_PKiPfP15HIP_vector_typeIfLj2EEffffjfiS5_IjLj3EEiiiiiiiiiiiliiliiiiil
	.p2align	8
	.type	_ZL15flash_attn_tileILi128ELi128ELi8ELi2ELb0EEvPKcS1_S1_S1_S1_PKiPfP15HIP_vector_typeIfLj2EEffffjfiS5_IjLj3EEiiiiiiiiiiiliiliiiiil,@function
_ZL15flash_attn_tileILi128ELi128ELi8ELi2ELb0EEvPKcS1_S1_S1_S1_PKiPfP15HIP_vector_typeIfLj2EEffffjfiS5_IjLj3EEiiiiiiiiiiiliiliiiiil: ; @_ZL15flash_attn_tileILi128ELi128ELi8ELi2ELb0EEvPKcS1_S1_S1_S1_PKiPfP15HIP_vector_typeIfLj2EEffffjfiS5_IjLj3EEiiiiiiiiiiiliiliiiiil
; %bb.0:
	s_clause 0x1
	s_load_b128 s[36:39], s[0:1], 0x5c
	s_load_b64 s[34:35], s[0:1], 0x80
	s_mov_b64 s[40:41], 0
	s_waitcnt lgkmcnt(0)
	s_lshr_b32 s2, s39, 31
	s_delay_alu instid0(SALU_CYCLE_1) | instskip(NEXT) | instid1(SALU_CYCLE_1)
	s_add_i32 s2, s39, s2
	s_ashr_i32 s2, s2, 1
	s_delay_alu instid0(SALU_CYCLE_1) | instskip(SKIP_1) | instid1(VALU_DEP_1)
	v_cvt_f32_u32_e32 v1, s2
	s_sub_i32 s4, 0, s2
	v_rcp_iflag_f32_e32 v1, v1
	s_waitcnt_depctr 0xfff
	v_mul_f32_e32 v1, 0x4f7ffffe, v1
	s_delay_alu instid0(VALU_DEP_1) | instskip(NEXT) | instid1(VALU_DEP_1)
	v_cvt_u32_f32_e32 v1, v1
	v_readfirstlane_b32 s3, v1
	s_delay_alu instid0(VALU_DEP_1) | instskip(NEXT) | instid1(SALU_CYCLE_1)
	s_mul_i32 s4, s4, s3
	s_mul_hi_u32 s4, s3, s4
	s_delay_alu instid0(SALU_CYCLE_1) | instskip(NEXT) | instid1(SALU_CYCLE_1)
	s_add_i32 s3, s3, s4
	s_mul_hi_u32 s3, s15, s3
	s_delay_alu instid0(SALU_CYCLE_1) | instskip(SKIP_2) | instid1(SALU_CYCLE_1)
	s_mul_i32 s4, s3, s2
	s_add_i32 s5, s3, 1
	s_sub_i32 s4, s15, s4
	s_sub_i32 s6, s4, s2
	s_cmp_ge_u32 s4, s2
	s_cselect_b32 s3, s5, s3
	s_cselect_b32 s4, s6, s4
	s_add_i32 s5, s3, 1
	s_cmp_ge_u32 s4, s2
	s_cselect_b32 s11, s5, s3
	s_abs_i32 s2, s35
	s_abs_i32 s7, s39
	v_cvt_f32_u32_e32 v1, s2
	s_sub_i32 s4, 0, s2
	s_lshl_b32 s5, s15, 1
	s_mul_i32 s6, s11, s39
	s_delay_alu instid0(VALU_DEP_1) | instskip(SKIP_3) | instid1(VALU_DEP_1)
	v_rcp_iflag_f32_e32 v1, v1
	s_sub_i32 s12, s5, s6
	s_waitcnt_depctr 0xfff
	v_mul_f32_e32 v1, 0x4f7ffffe, v1
	v_cvt_u32_f32_e32 v1, v1
	s_delay_alu instid0(VALU_DEP_1) | instskip(NEXT) | instid1(VALU_DEP_1)
	v_readfirstlane_b32 s3, v1
	s_mul_i32 s4, s4, s3
	s_delay_alu instid0(SALU_CYCLE_1) | instskip(NEXT) | instid1(SALU_CYCLE_1)
	s_mul_hi_u32 s4, s3, s4
	s_add_i32 s3, s3, s4
	s_xor_b32 s4, s39, s35
	s_mul_hi_u32 s3, s7, s3
	s_ashr_i32 s4, s4, 31
	s_mul_i32 s5, s3, s2
	s_add_i32 s6, s3, 1
	s_sub_i32 s5, s7, s5
	s_delay_alu instid0(SALU_CYCLE_1)
	s_sub_i32 s7, s5, s2
	s_cmp_ge_u32 s5, s2
	s_cselect_b32 s3, s6, s3
	s_cselect_b32 s5, s7, s5
	s_add_i32 s6, s3, 1
	s_cmp_ge_u32 s5, s2
	s_cselect_b32 s2, s6, s3
	s_delay_alu instid0(SALU_CYCLE_1) | instskip(NEXT) | instid1(SALU_CYCLE_1)
	s_xor_b32 s2, s2, s4
	s_sub_i32 s9, s2, s4
	s_clause 0x1
	s_load_b512 s[16:31], s[0:1], 0x0
	s_load_b64 s[2:3], s[0:1], 0xb8
	s_abs_i32 s8, s9
	s_delay_alu instid0(SALU_CYCLE_1) | instskip(NEXT) | instid1(VALU_DEP_1)
	v_cvt_f32_u32_e32 v1, s8
	v_rcp_iflag_f32_e32 v1, v1
	s_waitcnt_depctr 0xfff
	v_mul_f32_e32 v1, 0x4f7ffffe, v1
	s_waitcnt lgkmcnt(0)
	s_cmp_eq_u64 s[22:23], 0
	s_delay_alu instid0(VALU_DEP_1) | instskip(NEXT) | instid1(VALU_DEP_1)
	v_cvt_u32_f32_e32 v1, v1
	v_readfirstlane_b32 s10, v1
	s_cbranch_scc1 .LBB40_2
; %bb.1:
	s_abs_i32 s2, s2
	s_abs_i32 s6, s11
	v_cvt_f32_u32_e32 v1, s2
	s_sub_i32 s5, 0, s2
	s_delay_alu instid0(VALU_DEP_1) | instskip(SKIP_2) | instid1(VALU_DEP_1)
	v_rcp_iflag_f32_e32 v1, v1
	s_waitcnt_depctr 0xfff
	v_mul_f32_e32 v1, 0x4f7ffffe, v1
	v_cvt_u32_f32_e32 v1, v1
	s_delay_alu instid0(VALU_DEP_1) | instskip(NEXT) | instid1(VALU_DEP_1)
	v_readfirstlane_b32 s4, v1
	s_mul_i32 s5, s5, s4
	s_delay_alu instid0(SALU_CYCLE_1) | instskip(NEXT) | instid1(SALU_CYCLE_1)
	s_mul_hi_u32 s5, s4, s5
	s_add_i32 s7, s4, s5
	s_load_b64 s[4:5], s[0:1], 0xc8
	s_mul_hi_u32 s7, s6, s7
	s_delay_alu instid0(SALU_CYCLE_1) | instskip(NEXT) | instid1(SALU_CYCLE_1)
	s_mul_i32 s7, s7, s2
	s_sub_i32 s6, s6, s7
	s_ashr_i32 s7, s11, 31
	s_sub_i32 s15, s6, s2
	s_cmp_ge_u32 s6, s2
	s_cselect_b32 s6, s15, s6
	s_delay_alu instid0(SALU_CYCLE_1) | instskip(SKIP_2) | instid1(SALU_CYCLE_1)
	s_sub_i32 s15, s6, s2
	s_cmp_ge_u32 s6, s2
	s_cselect_b32 s2, s15, s6
	s_xor_b32 s2, s2, s7
	s_delay_alu instid0(SALU_CYCLE_1)
	s_sub_i32 s2, s2, s7
	s_waitcnt lgkmcnt(0)
	s_mul_i32 s5, s2, s5
	s_mul_hi_u32 s6, s2, s4
	s_ashr_i32 s7, s2, 31
	s_add_i32 s5, s6, s5
	s_mul_i32 s7, s7, s4
	s_mul_i32 s2, s2, s4
	s_add_i32 s5, s5, s7
	s_add_u32 s40, s22, s2
	s_addc_u32 s41, s23, s5
.LBB40_2:
	v_bfe_u32 v2, v0, 10, 10
	s_load_b128 s[4:7], s[0:1], 0x70
	v_and_b32_e32 v33, 0x3ff, v0
	s_delay_alu instid0(VALU_DEP_2) | instskip(NEXT) | instid1(VALU_DEP_2)
	v_lshl_add_u32 v32, s13, 3, v2
	v_lshlrev_b32_e32 v0, 4, v33
	v_lshlrev_b32_e32 v11, 1, v33
	s_delay_alu instid0(VALU_DEP_3) | instskip(NEXT) | instid1(VALU_DEP_1)
	v_mul_hi_u32 v1, s36, v32
	v_add_nc_u32_e32 v1, v32, v1
	s_waitcnt lgkmcnt(0)
	s_mul_i32 s2, s11, s6
	s_mul_i32 s6, s12, s5
	s_delay_alu instid0(VALU_DEP_1)
	v_lshrrev_b32_e32 v1, s37, v1
	s_ashr_i32 s7, s2, 31
	s_add_u32 s2, s16, s2
	s_addc_u32 s7, s17, s7
	s_ashr_i32 s15, s6, 31
	v_mul_lo_u32 v1, v1, s38
	s_add_u32 s2, s2, s6
	s_addc_u32 s6, s7, s15
	s_ashr_i32 s7, s4, 31
	s_delay_alu instid0(SALU_CYCLE_1) | instskip(SKIP_1) | instid1(VALU_DEP_2)
	v_alignbit_b32 v5, s7, s4, 2
	s_lshr_b32 s4, s7, 2
	v_sub_nc_u32_e32 v1, v32, v1
	s_delay_alu instid0(VALU_DEP_1) | instskip(NEXT) | instid1(VALU_DEP_1)
	v_mad_u64_u32 v[3:4], null, v5, v1, 0
	v_mad_u64_u32 v[5:6], null, s4, v1, v[4:5]
	s_and_b32 s4, s5, -4
	s_delay_alu instid0(VALU_DEP_1) | instskip(NEXT) | instid1(VALU_DEP_1)
	v_mov_b32_e32 v4, v5
	v_lshlrev_b64 v[3:4], 2, v[3:4]
	s_delay_alu instid0(VALU_DEP_1) | instskip(NEXT) | instid1(VALU_DEP_2)
	v_add_co_u32 v3, vcc_lo, s2, v3
	v_add_co_ci_u32_e32 v4, vcc_lo, s6, v4, vcc_lo
	s_ashr_i32 s2, s5, 31
	s_delay_alu instid0(VALU_DEP_2) | instskip(NEXT) | instid1(VALU_DEP_2)
	v_add_co_u32 v3, vcc_lo, v3, v0
	v_add_co_ci_u32_e32 v4, vcc_lo, 0, v4, vcc_lo
	v_lshlrev_b32_e32 v0, 7, v2
	s_delay_alu instid0(VALU_DEP_3) | instskip(NEXT) | instid1(VALU_DEP_3)
	v_add_co_u32 v7, vcc_lo, v3, s4
	v_add_co_ci_u32_e32 v8, vcc_lo, s2, v4, vcc_lo
	s_load_b32 s2, s[0:1], 0x40
	s_delay_alu instid0(VALU_DEP_3)
	v_add_lshl_u32 v0, v11, v0, 2
	s_clause 0x1
	global_load_b128 v[3:6], v[3:4], off
	global_load_b128 v[7:10], v[7:8], off
	s_cmp_eq_u64 s[26:27], 0
	v_add_nc_u32_e32 v0, 0x9800, v0
	s_waitcnt vmcnt(1) lgkmcnt(0)
	v_fma_mixlo_f16 v12, v5, s2, 0
	v_fma_mixlo_f16 v11, v3, s2, 0
	s_waitcnt vmcnt(0)
	v_fma_mixlo_f16 v14, v9, s2, 0
	v_fma_mixlo_f16 v13, v7, s2, 0
	v_fma_mixhi_f16 v12, v6, s2, 0
	v_fma_mixhi_f16 v11, v4, s2, 0
	s_delay_alu instid0(VALU_DEP_4) | instskip(NEXT) | instid1(VALU_DEP_4)
	v_fma_mixhi_f16 v14, v10, s2, 0
	v_fma_mixhi_f16 v13, v8, s2, 0
	ds_store_2addr_b64 v0, v[11:12], v[13:14] offset1:32
	s_waitcnt lgkmcnt(0)
	s_barrier
	buffer_gl0_inv
	s_cbranch_scc1 .LBB40_4
; %bb.3:
	s_load_b32 s2, s[0:1], 0xd0
	s_mov_b32 s5, 0
	s_waitcnt lgkmcnt(0)
	s_mul_i32 s2, s2, s11
	s_delay_alu instid0(SALU_CYCLE_1) | instskip(NEXT) | instid1(SALU_CYCLE_1)
	s_add_i32 s4, s2, s13
	s_lshl_b64 s[4:5], s[4:5], 2
	s_delay_alu instid0(SALU_CYCLE_1)
	s_add_u32 s4, s26, s4
	s_addc_u32 s5, s27, s5
	s_load_b32 s34, s[4:5], 0x0
.LBB40_4:
	v_mbcnt_lo_u32_b32 v72, -1, 0
	s_lshl_b32 s13, s14, 7
	s_waitcnt lgkmcnt(0)
	s_cmp_lt_i32 s13, s34
	s_cbranch_scc1 .LBB40_6
; %bb.5:
	v_mbcnt_lo_u32_b32 v0, -1, 0
	v_mov_b32_e32 v73, 32
	s_mov_b32 s2, 0
	s_mov_b32 s4, 0xfeffffff
	s_delay_alu instid0(VALU_DEP_2)
	v_xor_b32_e32 v78, 16, v0
	v_xor_b32_e32 v77, 8, v0
	;; [unrolled: 1-line block ×5, first 2 shown]
	s_branch .LBB40_7
.LBB40_6:
	s_mov_b32 s2, -1
                                        ; implicit-def: $sgpr4
                                        ; implicit-def: $vgpr0
                                        ; implicit-def: $vgpr73
                                        ; implicit-def: $vgpr78
                                        ; implicit-def: $vgpr77
                                        ; implicit-def: $vgpr76
                                        ; implicit-def: $vgpr75
                                        ; implicit-def: $vgpr74
.LBB40_7:
	s_delay_alu instid0(SALU_CYCLE_1) | instskip(SKIP_2) | instid1(VALU_DEP_3)
	v_cndmask_b32_e64 v3, 0, 1, s2
	v_dual_mov_b32 v36, s4 :: v_dual_mov_b32 v117, s2
	v_dual_mov_b32 v120, s2 :: v_dual_lshlrev_b32 v71, 2, v33
	v_cmp_ne_u32_e32 vcc_lo, 1, v3
	v_dual_mov_b32 v35, s4 :: v_dual_mov_b32 v116, s2
	v_dual_mov_b32 v121, s2 :: v_dual_mov_b32 v118, s2
	v_mov_b32_e32 v119, s2
	s_cbranch_vccnz .LBB40_11
; %bb.8:
	s_clause 0x1
	s_load_b128 s[4:7], s[0:1], 0x98
	s_load_b64 s[16:17], s[0:1], 0x8c
	s_sub_i32 s2, 0, s8
	s_abs_i32 s23, s12
	s_mul_i32 s2, s2, s10
	s_ashr_i32 s33, s12, 31
	s_mul_hi_u32 s2, s10, s2
	s_ashr_i32 s9, s9, 31
	s_add_i32 s10, s10, s2
	s_ashr_i32 s2, s3, 1
	s_mul_hi_u32 s3, s23, s10
	s_ashr_i32 s10, s11, 31
	s_load_b64 s[26:27], s[0:1], 0xa8
	s_mul_i32 s35, s3, s8
	v_lshrrev_b32_e32 v0, 4, v33
	v_dual_mov_b32 v118, 0 :: v_dual_and_b32 v31, 60, v71
	v_mad_u64_u32 v[34:35], null, v1, s2, v[33:34]
	s_delay_alu instid0(VALU_DEP_3)
	v_lshl_add_u32 v14, v2, 1, v0
	s_waitcnt lgkmcnt(0)
	s_ashr_i32 s15, s6, 2
	s_mul_i32 s5, s11, s5
	s_mul_hi_u32 s6, s11, s4
	s_ashr_i32 s22, s16, 2
	s_mul_i32 s16, s10, s4
	s_add_i32 s5, s6, s5
	s_mul_i32 s4, s11, s4
	s_add_i32 s5, s5, s16
	s_add_u32 s4, s18, s4
	s_addc_u32 s5, s19, s5
	s_xor_b32 s6, s33, s9
	s_sub_i32 s9, s23, s35
	s_add_i32 s16, s3, 1
	s_sub_i32 s18, s9, s8
	s_cmp_ge_u32 s9, s8
	s_mul_i32 s10, s10, s26
	s_cselect_b32 s3, s16, s3
	s_cselect_b32 s9, s18, s9
	s_add_i32 s16, s3, 1
	s_cmp_ge_u32 s9, s8
	s_mul_i32 s8, s11, s27
	s_cselect_b32 s3, s16, s3
	s_mul_hi_u32 s9, s11, s26
	s_xor_b32 s3, s3, s6
	v_mul_lo_u32 v3, s22, v14
	s_sub_i32 s3, s3, s6
	v_mul_lo_u32 v0, s15, v14
	s_mul_i32 s6, s3, s17
	s_mul_i32 s16, s11, s26
	s_ashr_i32 s17, s6, 31
	s_add_u32 s18, s4, s6
	s_addc_u32 s19, s5, s17
	s_add_i32 s4, s9, s8
	s_mul_i32 s3, s3, s7
	s_add_i32 s4, s4, s10
	s_add_u32 s5, s20, s16
	s_addc_u32 s4, s21, s4
	s_ashr_i32 s6, s3, 31
	s_add_u32 s20, s5, s3
	s_addc_u32 s21, s4, s6
	s_lshl_b32 s3, s22, 4
	s_lshl_b32 s4, s15, 4
	v_dual_mov_b32 v120, 0 :: v_dual_add_nc_u32 v5, s3, v3
	v_dual_mov_b32 v36, 0xfeffffff :: v_dual_add_nc_u32 v13, s4, v0
	s_delay_alu instid0(VALU_DEP_2) | instskip(SKIP_1) | instid1(VALU_DEP_3)
	v_dual_mov_b32 v116, 0 :: v_dual_add_nc_u32 v7, s3, v5
	v_dual_mov_b32 v35, 0xfeffffff :: v_dual_lshlrev_b32 v18, 2, v31
	v_add_nc_u32_e32 v17, s4, v13
	v_dual_mov_b32 v73, 32 :: v_dual_lshlrev_b32 v2, 9, v2
	s_delay_alu instid0(VALU_DEP_4) | instskip(NEXT) | instid1(VALU_DEP_4)
	v_add_nc_u32_e32 v9, s3, v7
	v_mad_u32_u24 v79, 0x110, v14, v18
	s_delay_alu instid0(VALU_DEP_4)
	v_add_nc_u32_e32 v21, s4, v17
	v_ashrrev_i32_e32 v4, 31, v3
	v_ashrrev_i32_e32 v6, 31, v5
	v_add_nc_u32_e32 v11, s3, v9
	v_ashrrev_i32_e32 v8, 31, v7
	v_add_nc_u32_e32 v25, s4, v21
	v_ashrrev_i32_e32 v10, 31, v9
	v_lshl_or_b32 v89, v14, 8, v18
	v_add_nc_u32_e32 v15, s3, v11
	v_ashrrev_i32_e32 v12, 31, v11
	v_add_nc_u32_e32 v27, s4, v25
	v_ashrrev_i32_e32 v1, 31, v0
	v_ashrrev_i32_e32 v14, 31, v13
	v_add_nc_u32_e32 v19, s3, v15
	v_ashrrev_i32_e32 v16, 31, v15
	v_add_nc_u32_e32 v29, s4, v27
	v_ashrrev_i32_e32 v18, 31, v17
	v_ashrrev_i32_e32 v22, 31, v21
	;; [unrolled: 5-line block ×3, first 2 shown]
	v_ashrrev_i32_e32 v24, 31, v23
	v_ashrrev_i32_e32 v30, 31, v29
	;; [unrolled: 1-line block ×3, first 2 shown]
	v_add_nc_u32_e32 v90, 0x8800, v2
	v_lshlrev_b32_e32 v98, 3, v33
	v_lshlrev_b64 v[37:38], 2, v[3:4]
	v_lshlrev_b64 v[39:40], 2, v[5:6]
	;; [unrolled: 1-line block ×16, first 2 shown]
	v_mul_u32_u24_e32 v80, 0x110, v33
	v_add_nc_u32_e32 v81, 0x9800, v2
	v_dual_mov_b32 v119, 0 :: v_dual_add_nc_u32 v82, 0x1100, v79
	v_add_nc_u32_e32 v83, 0x2200, v79
	v_dual_mov_b32 v121, 0 :: v_dual_add_nc_u32 v84, 0x3300, v79
	;; [unrolled: 2-line block ×3, first 2 shown]
	v_add_nc_u32_e32 v87, 0x6600, v79
	v_add_nc_u32_e32 v88, 0x7700, v79
	;; [unrolled: 1-line block ×9, first 2 shown]
	v_lshlrev_b32_e32 v99, 2, v31
	v_xor_b32_e32 v78, 16, v72
	v_xor_b32_e32 v77, 8, v72
	;; [unrolled: 1-line block ×5, first 2 shown]
	v_add_nc_u32_e32 v100, v90, v71
	v_add_nc_u32_e32 v101, 0x800, v98
	;; [unrolled: 1-line block ×16, first 2 shown]
	s_add_u32 s16, s0, 0xd0
	s_addc_u32 s17, s1, 0
.LBB40_9:                               ; =>This Inner Loop Header: Depth=1
	s_mul_hi_i32 s3, s13, s22
	s_mul_i32 s2, s13, s22
	v_dual_mov_b32 v122, 0 :: v_dual_mov_b32 v123, 0
	s_lshl_b64 s[2:3], s[2:3], 2
	v_dual_mov_b32 v124, 0 :: v_dual_mov_b32 v125, 0
	s_add_u32 s8, s18, s2
	s_addc_u32 s9, s19, s3
	v_add_co_u32 v0, vcc_lo, s8, v39
	v_add_co_u32 v1, s2, s8, v41
	v_add_co_u32 v2, s3, s8, v43
	;; [unrolled: 1-line block ×7, first 2 shown]
	s_delay_alu instid0(VALU_DEP_1)
	v_add_co_ci_u32_e64 v10, s8, s9, v38, s8
	v_add_co_ci_u32_e32 v11, vcc_lo, s9, v40, vcc_lo
	v_add_co_ci_u32_e64 v13, vcc_lo, s9, v42, s2
	v_add_co_ci_u32_e64 v14, vcc_lo, s9, v44, s3
	;; [unrolled: 1-line block ×6, first 2 shown]
	v_add_co_u32 v4, vcc_lo, v0, v99
	v_add_co_u32 v0, s8, v9, v99
	v_add_co_u32 v8, s2, v1, v99
	v_add_co_ci_u32_e64 v1, s8, 0, v10, s8
	v_add_co_u32 v12, s3, v2, v99
	v_add_co_u32 v20, s5, v5, v99
	v_add_co_ci_u32_e32 v5, vcc_lo, 0, v11, vcc_lo
	v_add_co_u32 v16, s4, v3, v99
	v_add_co_u32 v24, s6, v6, v99
	;; [unrolled: 1-line block ×3, first 2 shown]
	v_add_co_ci_u32_e64 v9, vcc_lo, 0, v13, s2
	v_add_co_ci_u32_e64 v13, vcc_lo, 0, v14, s3
	;; [unrolled: 1-line block ×6, first 2 shown]
	s_clause 0x7
	global_load_b128 v[0:3], v[0:1], off
	global_load_b128 v[4:7], v[4:5], off
	;; [unrolled: 1-line block ×8, first 2 shown]
	v_dual_mov_b32 v129, 0 :: v_dual_mov_b32 v126, 0
	v_dual_mov_b32 v128, 0 :: v_dual_add_nc_u32 v69, s13, v34
	v_mov_b32_e32 v127, 0
	s_mul_hi_i32 s3, s13, s15
	s_mul_i32 s2, s13, s15
	s_delay_alu instid0(VALU_DEP_2)
	v_ashrrev_i32_e32 v70, 31, v69
	s_lshl_b64 s[2:3], s[2:3], 2
	s_waitcnt vmcnt(7)
	ds_store_b128 v79, v[0:3]
	s_waitcnt vmcnt(6)
	ds_store_b128 v82, v[4:7]
	;; [unrolled: 2-line block ×8, first 2 shown]
	s_waitcnt lgkmcnt(0)
	s_barrier
	buffer_gl0_inv
	ds_load_b128 v[0:3], v80
	ds_load_b128 v[4:7], v81
	ds_load_b128 v[8:11], v81 offset:256
	ds_load_b128 v[12:15], v80 offset:8704
	ds_load_b128 v[16:19], v80 offset:17408
	ds_load_b128 v[20:23], v80 offset:26112
	s_waitcnt lgkmcnt(4)
	;;#ASMSTART
	v_dot2_f32_f16 v122, v0, v4, v122
	;;#ASMEND
	;;#ASMSTART
	v_dot2_f32_f16 v122, v1, v5, v122
	;;#ASMEND
	;;#ASMSTART
	v_dot2_f32_f16 v122, v2, v6, v122
	;;#ASMEND
	;;#ASMSTART
	v_dot2_f32_f16 v122, v3, v7, v122
	;;#ASMEND
	s_waitcnt lgkmcnt(3)
	;;#ASMSTART
	v_dot2_f32_f16 v123, v0, v8, v123
	;;#ASMEND
	;;#ASMSTART
	v_dot2_f32_f16 v123, v1, v9, v123
	;;#ASMEND
	;;#ASMSTART
	v_dot2_f32_f16 v123, v2, v10, v123
	;;#ASMEND
	;;#ASMSTART
	v_dot2_f32_f16 v123, v3, v11, v123
	;;#ASMEND
	;; [unrolled: 13-line block ×3, first 2 shown]
	;;#ASMSTART
	v_dot2_f32_f16 v125, v12, v8, v125
	;;#ASMEND
	;;#ASMSTART
	v_dot2_f32_f16 v125, v13, v9, v125
	;;#ASMEND
	;; [unrolled: 3-line block ×4, first 2 shown]
	s_waitcnt lgkmcnt(1)
	;;#ASMSTART
	v_dot2_f32_f16 v129, v16, v4, v129
	;;#ASMEND
	;;#ASMSTART
	v_dot2_f32_f16 v129, v17, v5, v129
	;;#ASMEND
	;; [unrolled: 3-line block ×8, first 2 shown]
	s_waitcnt lgkmcnt(0)
	;;#ASMSTART
	v_dot2_f32_f16 v126, v20, v4, v126
	;;#ASMEND
	;;#ASMSTART
	v_dot2_f32_f16 v126, v21, v5, v126
	;;#ASMEND
	;; [unrolled: 3-line block ×8, first 2 shown]
	ds_load_b128 v[0:3], v80 offset:16
	ds_load_b128 v[4:7], v81 offset:16
	;; [unrolled: 1-line block ×6, first 2 shown]
	s_waitcnt lgkmcnt(4)
	;;#ASMSTART
	v_dot2_f32_f16 v122, v0, v4, v122
	;;#ASMEND
	;;#ASMSTART
	v_dot2_f32_f16 v122, v1, v5, v122
	;;#ASMEND
	;;#ASMSTART
	v_dot2_f32_f16 v122, v2, v6, v122
	;;#ASMEND
	;;#ASMSTART
	v_dot2_f32_f16 v122, v3, v7, v122
	;;#ASMEND
	s_waitcnt lgkmcnt(3)
	;;#ASMSTART
	v_dot2_f32_f16 v123, v0, v8, v123
	;;#ASMEND
	;;#ASMSTART
	v_dot2_f32_f16 v123, v1, v9, v123
	;;#ASMEND
	;;#ASMSTART
	v_dot2_f32_f16 v123, v2, v10, v123
	;;#ASMEND
	;;#ASMSTART
	v_dot2_f32_f16 v123, v3, v11, v123
	;;#ASMEND
	;; [unrolled: 13-line block ×3, first 2 shown]
	;;#ASMSTART
	v_dot2_f32_f16 v125, v12, v8, v125
	;;#ASMEND
	;;#ASMSTART
	v_dot2_f32_f16 v125, v13, v9, v125
	;;#ASMEND
	;; [unrolled: 3-line block ×4, first 2 shown]
	s_waitcnt lgkmcnt(1)
	;;#ASMSTART
	v_dot2_f32_f16 v129, v16, v4, v129
	;;#ASMEND
	;;#ASMSTART
	v_dot2_f32_f16 v129, v17, v5, v129
	;;#ASMEND
	;; [unrolled: 3-line block ×8, first 2 shown]
	s_waitcnt lgkmcnt(0)
	;;#ASMSTART
	v_dot2_f32_f16 v126, v20, v4, v126
	;;#ASMEND
	;;#ASMSTART
	v_dot2_f32_f16 v126, v21, v5, v126
	;;#ASMEND
	;;#ASMSTART
	v_dot2_f32_f16 v126, v22, v6, v126
	;;#ASMEND
	;;#ASMSTART
	v_dot2_f32_f16 v126, v23, v7, v126
	;;#ASMEND
	;;#ASMSTART
	v_dot2_f32_f16 v127, v20, v8, v127
	;;#ASMEND
	;;#ASMSTART
	v_dot2_f32_f16 v127, v21, v9, v127
	;;#ASMEND
	;;#ASMSTART
	v_dot2_f32_f16 v127, v22, v10, v127
	;;#ASMEND
	;;#ASMSTART
	v_dot2_f32_f16 v127, v23, v11, v127
	;;#ASMEND
	ds_load_b128 v[0:3], v80 offset:32
	ds_load_b128 v[4:7], v81 offset:32
	;; [unrolled: 1-line block ×6, first 2 shown]
	s_waitcnt lgkmcnt(4)
	;;#ASMSTART
	v_dot2_f32_f16 v122, v0, v4, v122
	;;#ASMEND
	;;#ASMSTART
	v_dot2_f32_f16 v122, v1, v5, v122
	;;#ASMEND
	;;#ASMSTART
	v_dot2_f32_f16 v122, v2, v6, v122
	;;#ASMEND
	;;#ASMSTART
	v_dot2_f32_f16 v122, v3, v7, v122
	;;#ASMEND
	s_waitcnt lgkmcnt(3)
	;;#ASMSTART
	v_dot2_f32_f16 v123, v0, v8, v123
	;;#ASMEND
	;;#ASMSTART
	v_dot2_f32_f16 v123, v1, v9, v123
	;;#ASMEND
	;;#ASMSTART
	v_dot2_f32_f16 v123, v2, v10, v123
	;;#ASMEND
	;;#ASMSTART
	v_dot2_f32_f16 v123, v3, v11, v123
	;;#ASMEND
	;; [unrolled: 13-line block ×3, first 2 shown]
	;;#ASMSTART
	v_dot2_f32_f16 v125, v12, v8, v125
	;;#ASMEND
	;;#ASMSTART
	v_dot2_f32_f16 v125, v13, v9, v125
	;;#ASMEND
	;; [unrolled: 3-line block ×4, first 2 shown]
	s_waitcnt lgkmcnt(1)
	;;#ASMSTART
	v_dot2_f32_f16 v129, v16, v4, v129
	;;#ASMEND
	;;#ASMSTART
	v_dot2_f32_f16 v129, v17, v5, v129
	;;#ASMEND
	;; [unrolled: 3-line block ×8, first 2 shown]
	s_waitcnt lgkmcnt(0)
	;;#ASMSTART
	v_dot2_f32_f16 v126, v20, v4, v126
	;;#ASMEND
	;;#ASMSTART
	v_dot2_f32_f16 v126, v21, v5, v126
	;;#ASMEND
	;; [unrolled: 3-line block ×8, first 2 shown]
	ds_load_b128 v[0:3], v80 offset:48
	ds_load_b128 v[4:7], v81 offset:48
	;; [unrolled: 1-line block ×6, first 2 shown]
	s_waitcnt lgkmcnt(4)
	;;#ASMSTART
	v_dot2_f32_f16 v122, v0, v4, v122
	;;#ASMEND
	;;#ASMSTART
	v_dot2_f32_f16 v122, v1, v5, v122
	;;#ASMEND
	;;#ASMSTART
	v_dot2_f32_f16 v122, v2, v6, v122
	;;#ASMEND
	;;#ASMSTART
	v_dot2_f32_f16 v122, v3, v7, v122
	;;#ASMEND
	s_waitcnt lgkmcnt(3)
	;;#ASMSTART
	v_dot2_f32_f16 v123, v0, v8, v123
	;;#ASMEND
	;;#ASMSTART
	v_dot2_f32_f16 v123, v1, v9, v123
	;;#ASMEND
	;;#ASMSTART
	v_dot2_f32_f16 v123, v2, v10, v123
	;;#ASMEND
	;;#ASMSTART
	v_dot2_f32_f16 v123, v3, v11, v123
	;;#ASMEND
	;; [unrolled: 13-line block ×3, first 2 shown]
	;;#ASMSTART
	v_dot2_f32_f16 v125, v12, v8, v125
	;;#ASMEND
	;;#ASMSTART
	v_dot2_f32_f16 v125, v13, v9, v125
	;;#ASMEND
	;; [unrolled: 3-line block ×4, first 2 shown]
	s_waitcnt lgkmcnt(1)
	;;#ASMSTART
	v_dot2_f32_f16 v129, v16, v4, v129
	;;#ASMEND
	;;#ASMSTART
	v_dot2_f32_f16 v129, v17, v5, v129
	;;#ASMEND
	;; [unrolled: 3-line block ×8, first 2 shown]
	s_waitcnt lgkmcnt(0)
	;;#ASMSTART
	v_dot2_f32_f16 v126, v20, v4, v126
	;;#ASMEND
	;;#ASMSTART
	v_dot2_f32_f16 v126, v21, v5, v126
	;;#ASMEND
	;; [unrolled: 3-line block ×8, first 2 shown]
	ds_load_b128 v[0:3], v80 offset:64
	ds_load_b128 v[4:7], v81 offset:64
	;; [unrolled: 1-line block ×6, first 2 shown]
	s_waitcnt lgkmcnt(4)
	;;#ASMSTART
	v_dot2_f32_f16 v122, v0, v4, v122
	;;#ASMEND
	;;#ASMSTART
	v_dot2_f32_f16 v122, v1, v5, v122
	;;#ASMEND
	;;#ASMSTART
	v_dot2_f32_f16 v122, v2, v6, v122
	;;#ASMEND
	;;#ASMSTART
	v_dot2_f32_f16 v122, v3, v7, v122
	;;#ASMEND
	s_waitcnt lgkmcnt(3)
	;;#ASMSTART
	v_dot2_f32_f16 v123, v0, v8, v123
	;;#ASMEND
	;;#ASMSTART
	v_dot2_f32_f16 v123, v1, v9, v123
	;;#ASMEND
	;;#ASMSTART
	v_dot2_f32_f16 v123, v2, v10, v123
	;;#ASMEND
	;;#ASMSTART
	v_dot2_f32_f16 v123, v3, v11, v123
	;;#ASMEND
	;; [unrolled: 13-line block ×3, first 2 shown]
	;;#ASMSTART
	v_dot2_f32_f16 v125, v12, v8, v125
	;;#ASMEND
	;;#ASMSTART
	v_dot2_f32_f16 v125, v13, v9, v125
	;;#ASMEND
	;; [unrolled: 3-line block ×4, first 2 shown]
	s_waitcnt lgkmcnt(1)
	;;#ASMSTART
	v_dot2_f32_f16 v129, v16, v4, v129
	;;#ASMEND
	;;#ASMSTART
	v_dot2_f32_f16 v129, v17, v5, v129
	;;#ASMEND
	;; [unrolled: 3-line block ×8, first 2 shown]
	s_waitcnt lgkmcnt(0)
	;;#ASMSTART
	v_dot2_f32_f16 v126, v20, v4, v126
	;;#ASMEND
	;;#ASMSTART
	v_dot2_f32_f16 v126, v21, v5, v126
	;;#ASMEND
	;; [unrolled: 3-line block ×8, first 2 shown]
	ds_load_b128 v[0:3], v80 offset:80
	ds_load_b128 v[4:7], v81 offset:80
	;; [unrolled: 1-line block ×6, first 2 shown]
	s_waitcnt lgkmcnt(4)
	;;#ASMSTART
	v_dot2_f32_f16 v122, v0, v4, v122
	;;#ASMEND
	;;#ASMSTART
	v_dot2_f32_f16 v122, v1, v5, v122
	;;#ASMEND
	;;#ASMSTART
	v_dot2_f32_f16 v122, v2, v6, v122
	;;#ASMEND
	;;#ASMSTART
	v_dot2_f32_f16 v122, v3, v7, v122
	;;#ASMEND
	s_waitcnt lgkmcnt(3)
	;;#ASMSTART
	v_dot2_f32_f16 v123, v0, v8, v123
	;;#ASMEND
	;;#ASMSTART
	v_dot2_f32_f16 v123, v1, v9, v123
	;;#ASMEND
	;;#ASMSTART
	v_dot2_f32_f16 v123, v2, v10, v123
	;;#ASMEND
	;;#ASMSTART
	v_dot2_f32_f16 v123, v3, v11, v123
	;;#ASMEND
	;; [unrolled: 13-line block ×3, first 2 shown]
	;;#ASMSTART
	v_dot2_f32_f16 v125, v12, v8, v125
	;;#ASMEND
	;;#ASMSTART
	v_dot2_f32_f16 v125, v13, v9, v125
	;;#ASMEND
	;; [unrolled: 3-line block ×4, first 2 shown]
	s_waitcnt lgkmcnt(1)
	;;#ASMSTART
	v_dot2_f32_f16 v129, v16, v4, v129
	;;#ASMEND
	;;#ASMSTART
	v_dot2_f32_f16 v129, v17, v5, v129
	;;#ASMEND
	;; [unrolled: 3-line block ×8, first 2 shown]
	s_waitcnt lgkmcnt(0)
	;;#ASMSTART
	v_dot2_f32_f16 v126, v20, v4, v126
	;;#ASMEND
	;;#ASMSTART
	v_dot2_f32_f16 v126, v21, v5, v126
	;;#ASMEND
	;;#ASMSTART
	v_dot2_f32_f16 v126, v22, v6, v126
	;;#ASMEND
	;;#ASMSTART
	v_dot2_f32_f16 v126, v23, v7, v126
	;;#ASMEND
	;;#ASMSTART
	v_dot2_f32_f16 v127, v20, v8, v127
	;;#ASMEND
	;;#ASMSTART
	v_dot2_f32_f16 v127, v21, v9, v127
	;;#ASMEND
	;;#ASMSTART
	v_dot2_f32_f16 v127, v22, v10, v127
	;;#ASMEND
	;;#ASMSTART
	v_dot2_f32_f16 v127, v23, v11, v127
	;;#ASMEND
	ds_load_b128 v[0:3], v80 offset:96
	ds_load_b128 v[4:7], v81 offset:96
	;; [unrolled: 1-line block ×6, first 2 shown]
	s_waitcnt lgkmcnt(4)
	;;#ASMSTART
	v_dot2_f32_f16 v122, v0, v4, v122
	;;#ASMEND
	;;#ASMSTART
	v_dot2_f32_f16 v122, v1, v5, v122
	;;#ASMEND
	;;#ASMSTART
	v_dot2_f32_f16 v122, v2, v6, v122
	;;#ASMEND
	;;#ASMSTART
	v_dot2_f32_f16 v122, v3, v7, v122
	;;#ASMEND
	s_waitcnt lgkmcnt(3)
	;;#ASMSTART
	v_dot2_f32_f16 v123, v0, v8, v123
	;;#ASMEND
	;;#ASMSTART
	v_dot2_f32_f16 v123, v1, v9, v123
	;;#ASMEND
	;;#ASMSTART
	v_dot2_f32_f16 v123, v2, v10, v123
	;;#ASMEND
	;;#ASMSTART
	v_dot2_f32_f16 v123, v3, v11, v123
	;;#ASMEND
	;; [unrolled: 13-line block ×3, first 2 shown]
	;;#ASMSTART
	v_dot2_f32_f16 v125, v12, v8, v125
	;;#ASMEND
	;;#ASMSTART
	v_dot2_f32_f16 v125, v13, v9, v125
	;;#ASMEND
	;;#ASMSTART
	v_dot2_f32_f16 v125, v14, v10, v125
	;;#ASMEND
	;;#ASMSTART
	v_dot2_f32_f16 v125, v15, v11, v125
	;;#ASMEND
	s_waitcnt lgkmcnt(1)
	;;#ASMSTART
	v_dot2_f32_f16 v129, v16, v4, v129
	;;#ASMEND
	;;#ASMSTART
	v_dot2_f32_f16 v129, v17, v5, v129
	;;#ASMEND
	;; [unrolled: 3-line block ×8, first 2 shown]
	s_waitcnt lgkmcnt(0)
	;;#ASMSTART
	v_dot2_f32_f16 v126, v20, v4, v126
	;;#ASMEND
	;;#ASMSTART
	v_dot2_f32_f16 v126, v21, v5, v126
	;;#ASMEND
	;; [unrolled: 3-line block ×8, first 2 shown]
	ds_load_b128 v[0:3], v80 offset:112
	ds_load_b128 v[4:7], v81 offset:112
	;; [unrolled: 1-line block ×6, first 2 shown]
	s_waitcnt lgkmcnt(4)
	;;#ASMSTART
	v_dot2_f32_f16 v122, v0, v4, v122
	;;#ASMEND
	;;#ASMSTART
	v_dot2_f32_f16 v122, v1, v5, v122
	;;#ASMEND
	;;#ASMSTART
	v_dot2_f32_f16 v122, v2, v6, v122
	;;#ASMEND
	;;#ASMSTART
	v_dot2_f32_f16 v122, v3, v7, v122
	;;#ASMEND
	s_waitcnt lgkmcnt(3)
	;;#ASMSTART
	v_dot2_f32_f16 v123, v0, v8, v123
	;;#ASMEND
	;;#ASMSTART
	v_dot2_f32_f16 v123, v1, v9, v123
	;;#ASMEND
	;;#ASMSTART
	v_dot2_f32_f16 v123, v2, v10, v123
	;;#ASMEND
	;;#ASMSTART
	v_dot2_f32_f16 v123, v3, v11, v123
	;;#ASMEND
	;; [unrolled: 13-line block ×3, first 2 shown]
	;;#ASMSTART
	v_dot2_f32_f16 v125, v12, v8, v125
	;;#ASMEND
	;;#ASMSTART
	v_dot2_f32_f16 v125, v13, v9, v125
	;;#ASMEND
	;; [unrolled: 3-line block ×4, first 2 shown]
	s_waitcnt lgkmcnt(1)
	;;#ASMSTART
	v_dot2_f32_f16 v129, v16, v4, v129
	;;#ASMEND
	;;#ASMSTART
	v_dot2_f32_f16 v129, v17, v5, v129
	;;#ASMEND
	;; [unrolled: 3-line block ×8, first 2 shown]
	s_waitcnt lgkmcnt(0)
	;;#ASMSTART
	v_dot2_f32_f16 v126, v20, v4, v126
	;;#ASMEND
	;;#ASMSTART
	v_dot2_f32_f16 v126, v21, v5, v126
	;;#ASMEND
	;; [unrolled: 3-line block ×8, first 2 shown]
	ds_load_b128 v[0:3], v80 offset:128
	ds_load_b128 v[4:7], v81 offset:128
	;; [unrolled: 1-line block ×6, first 2 shown]
	s_waitcnt lgkmcnt(4)
	;;#ASMSTART
	v_dot2_f32_f16 v122, v0, v4, v122
	;;#ASMEND
	;;#ASMSTART
	v_dot2_f32_f16 v122, v1, v5, v122
	;;#ASMEND
	;;#ASMSTART
	v_dot2_f32_f16 v122, v2, v6, v122
	;;#ASMEND
	;;#ASMSTART
	v_dot2_f32_f16 v122, v3, v7, v122
	;;#ASMEND
	s_waitcnt lgkmcnt(3)
	;;#ASMSTART
	v_dot2_f32_f16 v123, v0, v8, v123
	;;#ASMEND
	;;#ASMSTART
	v_dot2_f32_f16 v123, v1, v9, v123
	;;#ASMEND
	;;#ASMSTART
	v_dot2_f32_f16 v123, v2, v10, v123
	;;#ASMEND
	;;#ASMSTART
	v_dot2_f32_f16 v123, v3, v11, v123
	;;#ASMEND
	;; [unrolled: 13-line block ×3, first 2 shown]
	;;#ASMSTART
	v_dot2_f32_f16 v125, v12, v8, v125
	;;#ASMEND
	;;#ASMSTART
	v_dot2_f32_f16 v125, v13, v9, v125
	;;#ASMEND
	;; [unrolled: 3-line block ×4, first 2 shown]
	s_waitcnt lgkmcnt(1)
	;;#ASMSTART
	v_dot2_f32_f16 v129, v16, v4, v129
	;;#ASMEND
	;;#ASMSTART
	v_dot2_f32_f16 v129, v17, v5, v129
	;;#ASMEND
	;; [unrolled: 3-line block ×8, first 2 shown]
	s_waitcnt lgkmcnt(0)
	;;#ASMSTART
	v_dot2_f32_f16 v126, v20, v4, v126
	;;#ASMEND
	;;#ASMSTART
	v_dot2_f32_f16 v126, v21, v5, v126
	;;#ASMEND
	;; [unrolled: 3-line block ×8, first 2 shown]
	ds_load_b128 v[0:3], v80 offset:144
	ds_load_b128 v[4:7], v81 offset:144
	;; [unrolled: 1-line block ×6, first 2 shown]
	s_waitcnt lgkmcnt(4)
	;;#ASMSTART
	v_dot2_f32_f16 v122, v0, v4, v122
	;;#ASMEND
	;;#ASMSTART
	v_dot2_f32_f16 v122, v1, v5, v122
	;;#ASMEND
	;;#ASMSTART
	v_dot2_f32_f16 v122, v2, v6, v122
	;;#ASMEND
	;;#ASMSTART
	v_dot2_f32_f16 v122, v3, v7, v122
	;;#ASMEND
	s_waitcnt lgkmcnt(3)
	;;#ASMSTART
	v_dot2_f32_f16 v123, v0, v8, v123
	;;#ASMEND
	;;#ASMSTART
	v_dot2_f32_f16 v123, v1, v9, v123
	;;#ASMEND
	;;#ASMSTART
	v_dot2_f32_f16 v123, v2, v10, v123
	;;#ASMEND
	;;#ASMSTART
	v_dot2_f32_f16 v123, v3, v11, v123
	;;#ASMEND
	;; [unrolled: 13-line block ×3, first 2 shown]
	;;#ASMSTART
	v_dot2_f32_f16 v125, v12, v8, v125
	;;#ASMEND
	;;#ASMSTART
	v_dot2_f32_f16 v125, v13, v9, v125
	;;#ASMEND
	;; [unrolled: 3-line block ×4, first 2 shown]
	s_waitcnt lgkmcnt(1)
	;;#ASMSTART
	v_dot2_f32_f16 v129, v16, v4, v129
	;;#ASMEND
	;;#ASMSTART
	v_dot2_f32_f16 v129, v17, v5, v129
	;;#ASMEND
	;; [unrolled: 3-line block ×8, first 2 shown]
	s_waitcnt lgkmcnt(0)
	;;#ASMSTART
	v_dot2_f32_f16 v126, v20, v4, v126
	;;#ASMEND
	;;#ASMSTART
	v_dot2_f32_f16 v126, v21, v5, v126
	;;#ASMEND
	;; [unrolled: 3-line block ×8, first 2 shown]
	ds_load_b128 v[0:3], v80 offset:160
	ds_load_b128 v[4:7], v81 offset:160
	;; [unrolled: 1-line block ×6, first 2 shown]
	s_waitcnt lgkmcnt(4)
	;;#ASMSTART
	v_dot2_f32_f16 v122, v0, v4, v122
	;;#ASMEND
	;;#ASMSTART
	v_dot2_f32_f16 v122, v1, v5, v122
	;;#ASMEND
	;;#ASMSTART
	v_dot2_f32_f16 v122, v2, v6, v122
	;;#ASMEND
	;;#ASMSTART
	v_dot2_f32_f16 v122, v3, v7, v122
	;;#ASMEND
	s_waitcnt lgkmcnt(3)
	;;#ASMSTART
	v_dot2_f32_f16 v123, v0, v8, v123
	;;#ASMEND
	;;#ASMSTART
	v_dot2_f32_f16 v123, v1, v9, v123
	;;#ASMEND
	;;#ASMSTART
	v_dot2_f32_f16 v123, v2, v10, v123
	;;#ASMEND
	;;#ASMSTART
	v_dot2_f32_f16 v123, v3, v11, v123
	;;#ASMEND
	;; [unrolled: 13-line block ×3, first 2 shown]
	;;#ASMSTART
	v_dot2_f32_f16 v125, v12, v8, v125
	;;#ASMEND
	;;#ASMSTART
	v_dot2_f32_f16 v125, v13, v9, v125
	;;#ASMEND
	;; [unrolled: 3-line block ×4, first 2 shown]
	s_waitcnt lgkmcnt(1)
	;;#ASMSTART
	v_dot2_f32_f16 v129, v16, v4, v129
	;;#ASMEND
	;;#ASMSTART
	v_dot2_f32_f16 v129, v17, v5, v129
	;;#ASMEND
	;; [unrolled: 3-line block ×8, first 2 shown]
	s_waitcnt lgkmcnt(0)
	;;#ASMSTART
	v_dot2_f32_f16 v126, v20, v4, v126
	;;#ASMEND
	;;#ASMSTART
	v_dot2_f32_f16 v126, v21, v5, v126
	;;#ASMEND
	;; [unrolled: 3-line block ×8, first 2 shown]
	ds_load_b128 v[0:3], v80 offset:176
	ds_load_b128 v[4:7], v81 offset:176
	;; [unrolled: 1-line block ×6, first 2 shown]
	s_waitcnt lgkmcnt(4)
	;;#ASMSTART
	v_dot2_f32_f16 v122, v0, v4, v122
	;;#ASMEND
	;;#ASMSTART
	v_dot2_f32_f16 v122, v1, v5, v122
	;;#ASMEND
	;;#ASMSTART
	v_dot2_f32_f16 v122, v2, v6, v122
	;;#ASMEND
	;;#ASMSTART
	v_dot2_f32_f16 v122, v3, v7, v122
	;;#ASMEND
	s_waitcnt lgkmcnt(3)
	;;#ASMSTART
	v_dot2_f32_f16 v123, v0, v8, v123
	;;#ASMEND
	;;#ASMSTART
	v_dot2_f32_f16 v123, v1, v9, v123
	;;#ASMEND
	;;#ASMSTART
	v_dot2_f32_f16 v123, v2, v10, v123
	;;#ASMEND
	;;#ASMSTART
	v_dot2_f32_f16 v123, v3, v11, v123
	;;#ASMEND
	;; [unrolled: 13-line block ×3, first 2 shown]
	;;#ASMSTART
	v_dot2_f32_f16 v125, v12, v8, v125
	;;#ASMEND
	;;#ASMSTART
	v_dot2_f32_f16 v125, v13, v9, v125
	;;#ASMEND
	;; [unrolled: 3-line block ×4, first 2 shown]
	s_waitcnt lgkmcnt(1)
	;;#ASMSTART
	v_dot2_f32_f16 v129, v16, v4, v129
	;;#ASMEND
	;;#ASMSTART
	v_dot2_f32_f16 v129, v17, v5, v129
	;;#ASMEND
	;; [unrolled: 3-line block ×8, first 2 shown]
	s_waitcnt lgkmcnt(0)
	;;#ASMSTART
	v_dot2_f32_f16 v126, v20, v4, v126
	;;#ASMEND
	;;#ASMSTART
	v_dot2_f32_f16 v126, v21, v5, v126
	;;#ASMEND
	;; [unrolled: 3-line block ×8, first 2 shown]
	ds_load_b128 v[0:3], v80 offset:192
	ds_load_b128 v[4:7], v81 offset:192
	;; [unrolled: 1-line block ×6, first 2 shown]
	s_waitcnt lgkmcnt(4)
	;;#ASMSTART
	v_dot2_f32_f16 v122, v0, v4, v122
	;;#ASMEND
	;;#ASMSTART
	v_dot2_f32_f16 v122, v1, v5, v122
	;;#ASMEND
	;;#ASMSTART
	v_dot2_f32_f16 v122, v2, v6, v122
	;;#ASMEND
	;;#ASMSTART
	v_dot2_f32_f16 v122, v3, v7, v122
	;;#ASMEND
	s_waitcnt lgkmcnt(3)
	;;#ASMSTART
	v_dot2_f32_f16 v123, v0, v8, v123
	;;#ASMEND
	;;#ASMSTART
	v_dot2_f32_f16 v123, v1, v9, v123
	;;#ASMEND
	;;#ASMSTART
	v_dot2_f32_f16 v123, v2, v10, v123
	;;#ASMEND
	;;#ASMSTART
	v_dot2_f32_f16 v123, v3, v11, v123
	;;#ASMEND
	s_waitcnt lgkmcnt(2)
	;;#ASMSTART
	v_dot2_f32_f16 v124, v12, v4, v124
	;;#ASMEND
	;;#ASMSTART
	v_dot2_f32_f16 v124, v13, v5, v124
	;;#ASMEND
	;;#ASMSTART
	v_dot2_f32_f16 v124, v14, v6, v124
	;;#ASMEND
	;;#ASMSTART
	v_dot2_f32_f16 v124, v15, v7, v124
	;;#ASMEND
	;;#ASMSTART
	v_dot2_f32_f16 v125, v12, v8, v125
	;;#ASMEND
	;;#ASMSTART
	v_dot2_f32_f16 v125, v13, v9, v125
	;;#ASMEND
	;; [unrolled: 3-line block ×4, first 2 shown]
	s_waitcnt lgkmcnt(1)
	;;#ASMSTART
	v_dot2_f32_f16 v129, v16, v4, v129
	;;#ASMEND
	;;#ASMSTART
	v_dot2_f32_f16 v129, v17, v5, v129
	;;#ASMEND
	;; [unrolled: 3-line block ×8, first 2 shown]
	s_waitcnt lgkmcnt(0)
	;;#ASMSTART
	v_dot2_f32_f16 v126, v20, v4, v126
	;;#ASMEND
	;;#ASMSTART
	v_dot2_f32_f16 v126, v21, v5, v126
	;;#ASMEND
	;; [unrolled: 3-line block ×8, first 2 shown]
	ds_load_b128 v[0:3], v80 offset:208
	ds_load_b128 v[4:7], v81 offset:208
	;; [unrolled: 1-line block ×6, first 2 shown]
	s_waitcnt lgkmcnt(4)
	;;#ASMSTART
	v_dot2_f32_f16 v122, v0, v4, v122
	;;#ASMEND
	;;#ASMSTART
	v_dot2_f32_f16 v122, v1, v5, v122
	;;#ASMEND
	;;#ASMSTART
	v_dot2_f32_f16 v122, v2, v6, v122
	;;#ASMEND
	;;#ASMSTART
	v_dot2_f32_f16 v122, v3, v7, v122
	;;#ASMEND
	s_waitcnt lgkmcnt(3)
	;;#ASMSTART
	v_dot2_f32_f16 v123, v0, v8, v123
	;;#ASMEND
	;;#ASMSTART
	v_dot2_f32_f16 v123, v1, v9, v123
	;;#ASMEND
	;;#ASMSTART
	v_dot2_f32_f16 v123, v2, v10, v123
	;;#ASMEND
	;;#ASMSTART
	v_dot2_f32_f16 v123, v3, v11, v123
	;;#ASMEND
	;; [unrolled: 13-line block ×3, first 2 shown]
	;;#ASMSTART
	v_dot2_f32_f16 v125, v12, v8, v125
	;;#ASMEND
	;;#ASMSTART
	v_dot2_f32_f16 v125, v13, v9, v125
	;;#ASMEND
	;; [unrolled: 3-line block ×4, first 2 shown]
	s_waitcnt lgkmcnt(1)
	;;#ASMSTART
	v_dot2_f32_f16 v129, v16, v4, v129
	;;#ASMEND
	;;#ASMSTART
	v_dot2_f32_f16 v129, v17, v5, v129
	;;#ASMEND
	;; [unrolled: 3-line block ×8, first 2 shown]
	s_waitcnt lgkmcnt(0)
	;;#ASMSTART
	v_dot2_f32_f16 v126, v20, v4, v126
	;;#ASMEND
	;;#ASMSTART
	v_dot2_f32_f16 v126, v21, v5, v126
	;;#ASMEND
	;; [unrolled: 3-line block ×8, first 2 shown]
	ds_load_b128 v[0:3], v80 offset:224
	ds_load_b128 v[4:7], v81 offset:224
	;; [unrolled: 1-line block ×6, first 2 shown]
	s_waitcnt lgkmcnt(4)
	;;#ASMSTART
	v_dot2_f32_f16 v122, v0, v4, v122
	;;#ASMEND
	;;#ASMSTART
	v_dot2_f32_f16 v122, v1, v5, v122
	;;#ASMEND
	;;#ASMSTART
	v_dot2_f32_f16 v122, v2, v6, v122
	;;#ASMEND
	;;#ASMSTART
	v_dot2_f32_f16 v122, v3, v7, v122
	;;#ASMEND
	s_waitcnt lgkmcnt(3)
	;;#ASMSTART
	v_dot2_f32_f16 v123, v0, v8, v123
	;;#ASMEND
	;;#ASMSTART
	v_dot2_f32_f16 v123, v1, v9, v123
	;;#ASMEND
	;;#ASMSTART
	v_dot2_f32_f16 v123, v2, v10, v123
	;;#ASMEND
	;;#ASMSTART
	v_dot2_f32_f16 v123, v3, v11, v123
	;;#ASMEND
	;; [unrolled: 13-line block ×3, first 2 shown]
	;;#ASMSTART
	v_dot2_f32_f16 v125, v12, v8, v125
	;;#ASMEND
	;;#ASMSTART
	v_dot2_f32_f16 v125, v13, v9, v125
	;;#ASMEND
	;;#ASMSTART
	v_dot2_f32_f16 v125, v14, v10, v125
	;;#ASMEND
	;;#ASMSTART
	v_dot2_f32_f16 v125, v15, v11, v125
	;;#ASMEND
	s_waitcnt lgkmcnt(1)
	;;#ASMSTART
	v_dot2_f32_f16 v129, v16, v4, v129
	;;#ASMEND
	;;#ASMSTART
	v_dot2_f32_f16 v129, v17, v5, v129
	;;#ASMEND
	;; [unrolled: 3-line block ×8, first 2 shown]
	s_waitcnt lgkmcnt(0)
	;;#ASMSTART
	v_dot2_f32_f16 v126, v20, v4, v126
	;;#ASMEND
	;;#ASMSTART
	v_dot2_f32_f16 v126, v21, v5, v126
	;;#ASMEND
	;;#ASMSTART
	v_dot2_f32_f16 v126, v22, v6, v126
	;;#ASMEND
	;;#ASMSTART
	v_dot2_f32_f16 v126, v23, v7, v126
	;;#ASMEND
	;;#ASMSTART
	v_dot2_f32_f16 v127, v20, v8, v127
	;;#ASMEND
	;;#ASMSTART
	v_dot2_f32_f16 v127, v21, v9, v127
	;;#ASMEND
	;;#ASMSTART
	v_dot2_f32_f16 v127, v22, v10, v127
	;;#ASMEND
	;;#ASMSTART
	v_dot2_f32_f16 v127, v23, v11, v127
	;;#ASMEND
	ds_load_b128 v[0:3], v80 offset:240
	ds_load_b128 v[4:7], v81 offset:240
	ds_load_b128 v[8:11], v81 offset:496
	ds_load_b128 v[12:15], v80 offset:8944
	ds_load_b128 v[16:19], v80 offset:17648
	ds_load_b128 v[20:23], v80 offset:26352
	s_waitcnt lgkmcnt(4)
	;;#ASMSTART
	v_dot2_f32_f16 v122, v0, v4, v122
	;;#ASMEND
	;;#ASMSTART
	v_dot2_f32_f16 v122, v1, v5, v122
	;;#ASMEND
	;;#ASMSTART
	v_dot2_f32_f16 v122, v2, v6, v122
	;;#ASMEND
	;;#ASMSTART
	v_dot2_f32_f16 v122, v3, v7, v122
	;;#ASMEND
	s_waitcnt lgkmcnt(3)
	;;#ASMSTART
	v_dot2_f32_f16 v123, v0, v8, v123
	;;#ASMEND
	;;#ASMSTART
	v_dot2_f32_f16 v123, v1, v9, v123
	;;#ASMEND
	;;#ASMSTART
	v_dot2_f32_f16 v123, v2, v10, v123
	;;#ASMEND
	;;#ASMSTART
	v_dot2_f32_f16 v123, v3, v11, v123
	;;#ASMEND
	;; [unrolled: 13-line block ×3, first 2 shown]
	;;#ASMSTART
	v_dot2_f32_f16 v125, v12, v8, v125
	;;#ASMEND
	;;#ASMSTART
	v_dot2_f32_f16 v125, v13, v9, v125
	;;#ASMEND
	v_lshlrev_b64 v[69:70], 1, v[69:70]
	;;#ASMSTART
	v_dot2_f32_f16 v125, v14, v10, v125
	;;#ASMEND
	;;#ASMSTART
	v_dot2_f32_f16 v125, v15, v11, v125
	;;#ASMEND
	s_waitcnt lgkmcnt(1)
	;;#ASMSTART
	v_dot2_f32_f16 v129, v16, v4, v129
	;;#ASMEND
	;;#ASMSTART
	v_dot2_f32_f16 v129, v17, v5, v129
	;;#ASMEND
	;; [unrolled: 3-line block ×6, first 2 shown]
	v_add_co_u32 v69, vcc_lo, s40, v69
	;;#ASMSTART
	v_dot2_f32_f16 v128, v18, v10, v128
	;;#ASMEND
	;;#ASMSTART
	v_dot2_f32_f16 v128, v19, v11, v128
	;;#ASMEND
	s_waitcnt lgkmcnt(0)
	;;#ASMSTART
	v_dot2_f32_f16 v126, v20, v4, v126
	;;#ASMEND
	v_add_co_ci_u32_e32 v70, vcc_lo, s41, v70, vcc_lo
	;;#ASMSTART
	v_dot2_f32_f16 v126, v21, v5, v126
	;;#ASMEND
	;;#ASMSTART
	v_dot2_f32_f16 v126, v22, v6, v126
	;;#ASMEND
	;; [unrolled: 3-line block ×7, first 2 shown]
	s_clause 0x3
	flat_load_u16 v142, v[69:70] offset:64
	flat_load_u16 v143, v[69:70] offset:128
	flat_load_u16 v144, v[69:70]
	flat_load_u16 v69, v[69:70] offset:192
	v_mov_b32_e32 v70, v36
	v_cmp_gt_i32_e32 vcc_lo, 32, v78
	v_mov_b32_e32 v145, v35
	s_add_u32 s8, s20, s2
	s_addc_u32 s9, s21, s3
	v_add_co_u32 v5, s4, s8, v61
	v_cndmask_b32_e32 v0, v72, v78, vcc_lo
	v_cmp_gt_i32_e32 vcc_lo, 32, v77
	v_add_co_u32 v7, s5, s8, v63
	v_add_co_u32 v9, s6, s8, v65
	s_delay_alu instid0(VALU_DEP_4) | instskip(SKIP_2) | instid1(VALU_DEP_3)
	v_dual_cndmask_b32 v1, v72, v77 :: v_dual_lshlrev_b32 v146, 2, v0
	v_cmp_gt_i32_e32 vcc_lo, 32, v76
	v_add_co_u32 v10, s7, s8, v67
	v_lshlrev_b32_e32 v147, 2, v1
	v_add_co_u32 v1, s2, s8, v57
	v_cndmask_b32_e32 v2, v72, v76, vcc_lo
	v_cmp_gt_i32_e32 vcc_lo, 32, v75
	s_waitcnt vmcnt(0) lgkmcnt(0)
	s_barrier
	buffer_gl0_inv
	v_dual_cndmask_b32 v3, v72, v75 :: v_dual_lshlrev_b32 v148, 2, v2
	v_cmp_gt_i32_e32 vcc_lo, 32, v74
	s_delay_alu instid0(VALU_DEP_2) | instskip(SKIP_3) | instid1(VALU_DEP_1)
	v_dual_cndmask_b32 v4, v72, v74 :: v_dual_lshlrev_b32 v149, 2, v3
	v_add_co_u32 v0, vcc_lo, s8, v55
	v_add_co_u32 v3, s3, s8, v59
	v_add_co_u32 v11, s8, s8, v53
	v_add_co_ci_u32_e64 v12, s8, s9, v54, s8
	v_add_co_ci_u32_e32 v13, vcc_lo, s9, v56, vcc_lo
	v_add_co_ci_u32_e64 v14, vcc_lo, s9, v58, s2
	v_add_co_ci_u32_e64 v15, vcc_lo, s9, v60, s3
	;; [unrolled: 1-line block ×6, first 2 shown]
	v_add_co_u32 v35, s7, v10, v99
	v_add_co_u32 v10, s8, v11, v99
	v_add_co_u32 v0, vcc_lo, v0, v99
	v_add_co_u32 v2, s2, v1, v99
	v_add_co_ci_u32_e64 v11, s8, 0, v12, s8
	v_lshlrev_b32_e32 v150, 2, v4
	v_add_co_u32 v4, s3, v3, v99
	v_add_co_ci_u32_e32 v1, vcc_lo, 0, v13, vcc_lo
	v_add_co_u32 v6, s4, v5, v99
	v_add_co_ci_u32_e64 v3, vcc_lo, 0, v14, s2
	v_add_co_u32 v8, s5, v7, v99
	v_add_co_u32 v30, s6, v9, v99
	v_add_co_ci_u32_e64 v5, vcc_lo, 0, v15, s3
	v_add_co_ci_u32_e64 v7, vcc_lo, 0, v16, s4
	v_add_co_ci_u32_e64 v9, vcc_lo, 0, v17, s5
	v_add_co_ci_u32_e64 v31, vcc_lo, 0, v18, s6
	v_add_co_ci_u32_e64 v36, vcc_lo, 0, v19, s7
	s_clause 0x7
	global_load_b128 v[10:13], v[10:11], off
	global_load_b128 v[14:17], v[0:1], off
	;; [unrolled: 1-line block ×8, first 2 shown]
	v_cvt_f32_f16_e64 v0, v142
	v_cvt_f32_f16_e64 v1, v143
	;; [unrolled: 1-line block ×3, first 2 shown]
	v_cvt_f32_f16_e32 v3, v69
	s_delay_alu instid0(VALU_DEP_3) | instskip(SKIP_1) | instid1(VALU_DEP_4)
	v_dual_add_f32 v4, v124, v0 :: v_dual_add_f32 v5, v129, v1
	v_dual_add_f32 v0, v125, v0 :: v_dual_add_f32 v1, v128, v1
	v_add_f32_e32 v6, v123, v2
	s_delay_alu instid0(VALU_DEP_4) | instskip(NEXT) | instid1(VALU_DEP_3)
	v_dual_add_f32 v2, v122, v2 :: v_dual_add_f32 v7, v127, v3
	v_add_f32_e32 v9, 0x40051340, v0
	v_dual_add_f32 v3, v126, v3 :: v_dual_add_f32 v8, 0x40051340, v4
	s_delay_alu instid0(VALU_DEP_4) | instskip(NEXT) | instid1(VALU_DEP_4)
	v_add_f32_e32 v31, 0x40051340, v6
	v_dual_add_f32 v30, 0x40051340, v2 :: v_dual_add_f32 v35, 0x40051340, v5
	s_delay_alu instid0(VALU_DEP_3) | instskip(NEXT) | instid1(VALU_DEP_3)
	v_dual_add_f32 v36, 0x40051340, v1 :: v_dual_add_f32 v69, 0x40051340, v3
	v_max3_f32 v9, v70, v31, v9
	s_delay_alu instid0(VALU_DEP_3) | instskip(NEXT) | instid1(VALU_DEP_1)
	v_max3_f32 v8, v145, v30, v8
	v_max3_f32 v8, v8, v35, v69
	ds_bpermute_b32 v30, v146, v8
	s_waitcnt lgkmcnt(0)
	v_max_f32_e32 v30, v30, v30
	s_delay_alu instid0(VALU_DEP_1) | instskip(SKIP_3) | instid1(VALU_DEP_1)
	v_max_f32_e32 v8, v8, v30
	ds_bpermute_b32 v30, v147, v8
	s_waitcnt lgkmcnt(0)
	v_max_f32_e32 v30, v30, v30
	v_max_f32_e32 v8, v8, v30
	ds_bpermute_b32 v30, v148, v8
	s_waitcnt lgkmcnt(0)
	v_max_f32_e32 v30, v30, v30
	s_delay_alu instid0(VALU_DEP_1) | instskip(SKIP_3) | instid1(VALU_DEP_1)
	v_max_f32_e32 v8, v8, v30
	ds_bpermute_b32 v30, v149, v8
	s_waitcnt lgkmcnt(0)
	v_max_f32_e32 v30, v30, v30
	v_max_f32_e32 v8, v8, v30
	ds_bpermute_b32 v30, v150, v8
	s_waitcnt lgkmcnt(0)
	v_max_f32_e32 v30, v30, v30
	s_delay_alu instid0(VALU_DEP_1) | instskip(NEXT) | instid1(VALU_DEP_1)
	v_dual_add_f32 v122, 0x40051340, v7 :: v_dual_max_f32 v35, v8, v30
	v_max3_f32 v9, v9, v36, v122
	s_delay_alu instid0(VALU_DEP_2) | instskip(SKIP_4) | instid1(VALU_DEP_1)
	v_sub_f32_e32 v5, v5, v35
	ds_bpermute_b32 v31, v146, v9
	v_cmp_ngt_f32_e64 s3, 0xc2ce8ed0, v5
	s_waitcnt lgkmcnt(0)
	v_max_f32_e32 v31, v31, v31
	v_max_f32_e32 v9, v9, v31
	ds_bpermute_b32 v31, v147, v9
	s_waitcnt lgkmcnt(0)
	v_max_f32_e32 v31, v31, v31
	s_delay_alu instid0(VALU_DEP_1) | instskip(SKIP_3) | instid1(VALU_DEP_1)
	v_max_f32_e32 v9, v9, v31
	ds_bpermute_b32 v31, v148, v9
	s_waitcnt lgkmcnt(0)
	v_max_f32_e32 v31, v31, v31
	v_max_f32_e32 v9, v9, v31
	ds_bpermute_b32 v31, v149, v9
	s_waitcnt lgkmcnt(0)
	v_max_f32_e32 v31, v31, v31
	s_delay_alu instid0(VALU_DEP_1) | instskip(SKIP_3) | instid1(VALU_DEP_1)
	v_max_f32_e32 v9, v9, v31
	ds_bpermute_b32 v31, v150, v9
	s_waitcnt lgkmcnt(0)
	v_max_f32_e32 v31, v31, v31
	v_max_f32_e32 v36, v9, v31
	s_delay_alu instid0(VALU_DEP_1) | instskip(NEXT) | instid1(VALU_DEP_1)
	v_sub_f32_e32 v6, v6, v36
	v_dual_mul_f32 v9, 0x3fb8aa3b, v6 :: v_dual_sub_f32 v4, v4, v35
	v_dual_sub_f32 v1, v1, v36 :: v_dual_sub_f32 v2, v2, v35
	v_sub_f32_e32 v7, v7, v36
	v_dual_sub_f32 v3, v3, v35 :: v_dual_sub_f32 v0, v0, v36
	s_delay_alu instid0(VALU_DEP_3) | instskip(SKIP_2) | instid1(VALU_DEP_4)
	v_dual_mul_f32 v8, 0x3fb8aa3b, v4 :: v_dual_mul_f32 v69, 0x3fb8aa3b, v2
	v_dual_sub_f32 v30, v145, v35 :: v_dual_sub_f32 v31, v70, v36
	v_mul_f32_e32 v70, 0x3fb8aa3b, v5
	v_dual_mul_f32 v122, 0x3fb8aa3b, v3 :: v_dual_mul_f32 v125, 0x3fb8aa3b, v1
	s_delay_alu instid0(VALU_DEP_4)
	v_fma_f32 v128, 0x3fb8aa3b, v4, -v8
	v_fma_f32 v142, 0x3fb8aa3b, v6, -v9
	v_rndne_f32_e32 v143, v9
	v_mul_f32_e32 v123, 0x3fb8aa3b, v30
	v_fma_f32 v146, 0x3fb8aa3b, v5, -v70
	v_rndne_f32_e32 v155, v125
	s_delay_alu instid0(VALU_DEP_4) | instskip(SKIP_2) | instid1(VALU_DEP_4)
	v_dual_fmac_f32 v128, 0x32a5705f, v4 :: v_dual_sub_f32 v9, v9, v143
	v_fmac_f32_e32 v142, 0x32a5705f, v6
	v_fma_f32 v154, 0x3fb8aa3b, v1, -v125
	v_dual_sub_f32 v125, v125, v155 :: v_dual_fmac_f32 v146, 0x32a5705f, v5
	v_cvt_i32_f32_e32 v143, v143
	s_delay_alu instid0(VALU_DEP_4) | instskip(SKIP_3) | instid1(VALU_DEP_4)
	v_dual_add_f32 v9, v9, v142 :: v_dual_mul_f32 v124, 0x3fb8aa3b, v0
	v_mul_f32_e32 v127, 0x3fb8aa3b, v31
	v_rndne_f32_e32 v145, v69
	v_mul_f32_e32 v126, 0x3fb8aa3b, v7
	v_exp_f32_e32 v9, v9
	v_fma_f32 v150, 0x3fb8aa3b, v30, -v123
	v_cmp_ngt_f32_e32 vcc_lo, 0xc2ce8ed0, v6
	v_rndne_f32_e32 v129, v8
	v_fma_f32 v144, 0x3fb8aa3b, v2, -v69
	v_sub_f32_e32 v69, v69, v145
	v_rndne_f32_e32 v147, v70
	v_fma_f32 v148, 0x3fb8aa3b, v3, -v122
	v_rndne_f32_e32 v149, v122
	v_rndne_f32_e32 v151, v123
	v_ldexp_f32 v9, v9, v143
	v_fma_f32 v152, 0x3fb8aa3b, v0, -v124
	v_rndne_f32_e32 v153, v124
	v_fma_f32 v156, 0x3fb8aa3b, v7, -v126
	v_rndne_f32_e32 v157, v126
	;; [unrolled: 2-line block ×3, first 2 shown]
	v_dual_fmac_f32 v150, 0x32a5705f, v30 :: v_dual_cndmask_b32 v9, 0, v9
	v_cmp_nlt_f32_e32 vcc_lo, 0x42b17218, v6
	v_dual_sub_f32 v8, v8, v129 :: v_dual_sub_f32 v123, v123, v151
	s_delay_alu instid0(VALU_DEP_4) | instskip(SKIP_1) | instid1(VALU_DEP_3)
	v_dual_fmac_f32 v144, 0x32a5705f, v2 :: v_dual_sub_f32 v127, v127, v159
	v_sub_f32_e32 v70, v70, v147
	v_dual_fmac_f32 v148, 0x32a5705f, v3 :: v_dual_add_f32 v123, v123, v150
	v_fmac_f32_e32 v154, 0x32a5705f, v1
	v_sub_f32_e32 v122, v122, v149
	v_fmac_f32_e32 v156, 0x32a5705f, v7
	v_sub_f32_e32 v126, v126, v157
	v_fmac_f32_e32 v158, 0x32a5705f, v31
	v_fmac_f32_e32 v152, 0x32a5705f, v0
	v_cndmask_b32_e32 v6, 0x7f800000, v9, vcc_lo
	v_dual_sub_f32 v124, v124, v153 :: v_dual_add_f32 v69, v69, v144
	v_add_f32_e32 v70, v70, v146
	v_dual_add_f32 v125, v125, v154 :: v_dual_add_f32 v122, v122, v148
	v_dual_add_f32 v126, v126, v156 :: v_dual_add_f32 v127, v127, v158
	s_delay_alu instid0(VALU_DEP_4)
	v_add_f32_e32 v124, v124, v152
	v_exp_f32_e32 v69, v69
	v_exp_f32_e32 v70, v70
	;; [unrolled: 1-line block ×7, first 2 shown]
	v_cvt_i32_f32_e32 v145, v145
	v_cvt_i32_f32_e32 v147, v147
	;; [unrolled: 1-line block ×7, first 2 shown]
	v_ldexp_f32 v69, v69, v145
	v_cmp_ngt_f32_e64 s2, 0xc2ce8ed0, v2
	v_ldexp_f32 v70, v70, v147
	v_ldexp_f32 v122, v122, v149
	v_cmp_ngt_f32_e64 s4, 0xc2ce8ed0, v3
	v_ldexp_f32 v123, v123, v151
	v_cmp_ngt_f32_e64 s5, 0xc2ce8ed0, v30
	v_ldexp_f32 v124, v124, v153
	v_cmp_ngt_f32_e64 s6, 0xc2ce8ed0, v0
	v_ldexp_f32 v125, v125, v155
	v_cmp_ngt_f32_e64 s7, 0xc2ce8ed0, v1
	v_ldexp_f32 v126, v126, v157
	v_cmp_ngt_f32_e64 s8, 0xc2ce8ed0, v7
	v_cndmask_b32_e64 v69, 0, v69, s2
	v_cmp_nlt_f32_e64 s2, 0x42b17218, v2
	v_cndmask_b32_e64 v2, 0, v70, s3
	v_cmp_nlt_f32_e64 s3, 0x42b17218, v5
	v_cndmask_b32_e64 v70, 0, v122, s4
	v_cndmask_b32_e64 v122, 0, v123, s5
	;; [unrolled: 1-line block ×3, first 2 shown]
	v_cmp_nlt_f32_e64 s5, 0x42b17218, v0
	v_cndmask_b32_e64 v0, 0, v125, s7
	v_cmp_nlt_f32_e64 s6, 0x42b17218, v1
	v_cndmask_b32_e64 v1, 0, v126, s8
	;; [unrolled: 2-line block ×3, first 2 shown]
	v_cvt_i32_f32_e32 v129, v129
	v_cmp_ngt_f32_e64 s10, 0xc2ce8ed0, v4
	v_cmp_nlt_f32_e64 s8, 0x42b17218, v4
	v_cndmask_b32_e64 v2, 0x7f800000, v1, s7
	v_add_f32_e32 v8, v8, v128
	v_cmp_nlt_f32_e64 s4, 0x42b17218, v3
	v_cndmask_b32_e64 v9, 0x7f800000, v69, s2
	v_cndmask_b32_e64 v7, 0x7f800000, v123, s5
	;; [unrolled: 1-line block ×3, first 2 shown]
	v_exp_f32_e32 v8, v8
	v_cndmask_b32_e64 v3, 0x7f800000, v70, s4
	v_exp_f32_e32 v127, v127
	v_cvt_f16_f32_e32 v70, v6
	v_cvt_f16_f32_e32 v123, v9
	;; [unrolled: 1-line block ×7, first 2 shown]
	v_ldexp_f32 v8, v8, v129
	v_cvt_i32_f32_e32 v159, v159
	v_pack_b32_f16 v70, v123, v70
	v_pack_b32_f16 v1, v1, v125
	;; [unrolled: 1-line block ×3, first 2 shown]
	v_cndmask_b32_e64 v8, 0, v8, s10
	v_ldexp_f32 v127, v127, v159
	v_cmp_ngt_f32_e64 s9, 0xc2ce8ed0, v31
	v_cmp_nlt_f32_e32 vcc_lo, 0x42b17218, v31
	v_cmp_nlt_f32_e64 s2, 0x42b17218, v30
	v_cndmask_b32_e64 v8, 0x7f800000, v8, s8
	s_delay_alu instid0(VALU_DEP_1) | instskip(NEXT) | instid1(VALU_DEP_1)
	v_cvt_f16_f32_e32 v0, v8
	v_pack_b32_f16 v0, v0, v124
	ds_store_2addr_b32 v100, v70, v0 offset1:32
	ds_store_2addr_b32 v100, v1, v69 offset0:64 offset1:96
	s_waitcnt vmcnt(7)
	ds_store_b128 v89, v[10:13]
	s_waitcnt vmcnt(6)
	ds_store_b128 v91, v[14:17]
	;; [unrolled: 2-line block ×8, first 2 shown]
	s_waitcnt lgkmcnt(0)
	s_barrier
	buffer_gl0_inv
	ds_load_2addr_b64 v[10:13], v98 offset1:32
	ds_load_b128 v[14:17], v90
	v_cndmask_b32_e64 v0, 0, v127, s9
	v_cndmask_b32_e64 v1, 0x7f800000, v122, s2
	ds_load_2addr_b64 v[18:21], v98 offset0:64 offset1:96
	ds_load_b128 v[22:25], v90 offset:16
	ds_load_2addr_b64 v[26:29], v98 offset0:128 offset1:160
	v_cndmask_b32_e32 v0, 0x7f800000, v0, vcc_lo
	v_cvt_f16_f32_e32 v30, v1
	s_delay_alu instid0(VALU_DEP_2) | instskip(NEXT) | instid1(VALU_DEP_1)
	v_cvt_f16_f32_e32 v31, v0
	v_pk_mul_f16 v69, v31, v118 op_sel_hi:[0,1]
	s_waitcnt lgkmcnt(3)
	v_pk_mul_f16 v70, v10, v14 op_sel_hi:[1,0]
	v_pk_mul_f16 v10, v10, v14 op_sel:[0,1]
	v_pk_mul_f16 v118, v11, v14 op_sel_hi:[1,0]
	v_pk_fma_f16 v11, v11, v14, v69 op_sel:[0,1,0]
	s_delay_alu instid0(VALU_DEP_4) | instskip(NEXT) | instid1(VALU_DEP_4)
	v_pk_fma_f16 v14, v30, v120, v70 op_sel_hi:[0,1,1]
	v_pk_fma_f16 v10, v31, v119, v10 op_sel_hi:[0,1,1]
	s_delay_alu instid0(VALU_DEP_4) | instskip(NEXT) | instid1(VALU_DEP_4)
	v_pk_fma_f16 v30, v30, v121, v118 op_sel_hi:[0,1,1]
	v_pk_fma_f16 v31, v13, v15, v11 op_sel:[0,1,0]
	ds_load_2addr_b64 v[118:121], v101 offset1:32
	v_pk_fma_f16 v14, v12, v15, v14 op_sel_hi:[1,0,1]
	v_pk_fma_f16 v69, v12, v15, v10 op_sel:[0,1,0]
	v_pk_fma_f16 v15, v13, v15, v30 op_sel_hi:[1,0,1]
	ds_load_2addr_b64 v[10:13], v98 offset0:192 offset1:224
	s_waitcnt lgkmcnt(4)
	v_pk_fma_f16 v30, v19, v16, v31 op_sel:[0,1,0]
	v_pk_fma_f16 v14, v18, v16, v14 op_sel_hi:[1,0,1]
	v_pk_fma_f16 v18, v18, v16, v69 op_sel:[0,1,0]
	v_pk_fma_f16 v15, v19, v16, v15 op_sel_hi:[1,0,1]
	v_mov_b32_e32 v70, v117
	v_pk_fma_f16 v19, v21, v17, v30 op_sel:[0,1,0]
	v_pk_fma_f16 v30, v20, v17, v14 op_sel_hi:[1,0,1]
	v_pk_fma_f16 v18, v20, v17, v18 op_sel:[0,1,0]
	v_pk_fma_f16 v20, v21, v17, v15 op_sel_hi:[1,0,1]
	ds_load_b128 v[14:17], v90 offset:32
	s_waitcnt lgkmcnt(3)
	v_pk_fma_f16 v19, v27, v22, v19 op_sel:[0,1,0]
	v_pk_fma_f16 v21, v26, v22, v30 op_sel_hi:[1,0,1]
	v_pk_fma_f16 v18, v26, v22, v18 op_sel:[0,1,0]
	v_pk_fma_f16 v20, v27, v22, v20 op_sel_hi:[1,0,1]
	s_delay_alu instid0(VALU_DEP_4) | instskip(NEXT) | instid1(VALU_DEP_4)
	v_pk_fma_f16 v22, v29, v23, v19 op_sel:[0,1,0]
	v_pk_fma_f16 v26, v28, v23, v21 op_sel_hi:[1,0,1]
	s_delay_alu instid0(VALU_DEP_4) | instskip(NEXT) | instid1(VALU_DEP_4)
	v_pk_fma_f16 v27, v28, v23, v18 op_sel:[0,1,0]
	v_pk_fma_f16 v23, v29, v23, v20 op_sel_hi:[1,0,1]
	ds_load_2addr_b64 v[18:21], v101 offset0:64 offset1:96
	s_waitcnt lgkmcnt(2)
	v_pk_fma_f16 v22, v11, v24, v22 op_sel:[0,1,0]
	v_pk_fma_f16 v30, v10, v24, v26 op_sel_hi:[1,0,1]
	v_pk_fma_f16 v10, v10, v24, v27 op_sel:[0,1,0]
	v_pk_fma_f16 v11, v11, v24, v23 op_sel_hi:[1,0,1]
	ds_load_2addr_b64 v[26:29], v101 offset0:128 offset1:160
	v_pk_fma_f16 v22, v13, v25, v22 op_sel:[0,1,0]
	v_pk_fma_f16 v23, v12, v25, v30 op_sel_hi:[1,0,1]
	v_pk_fma_f16 v24, v12, v25, v10 op_sel:[0,1,0]
	v_pk_fma_f16 v25, v13, v25, v11 op_sel_hi:[1,0,1]
	ds_load_b128 v[10:13], v90 offset:48
	s_waitcnt lgkmcnt(3)
	v_pk_fma_f16 v22, v119, v14, v22 op_sel:[0,1,0]
	v_pk_fma_f16 v23, v118, v14, v23 op_sel_hi:[1,0,1]
	v_pk_fma_f16 v24, v118, v14, v24 op_sel:[0,1,0]
	v_pk_fma_f16 v14, v119, v14, v25 op_sel_hi:[1,0,1]
	s_delay_alu instid0(VALU_DEP_4) | instskip(NEXT) | instid1(VALU_DEP_4)
	v_pk_fma_f16 v30, v121, v15, v22 op_sel:[0,1,0]
	v_pk_fma_f16 v31, v120, v15, v23 op_sel_hi:[1,0,1]
	s_delay_alu instid0(VALU_DEP_4) | instskip(NEXT) | instid1(VALU_DEP_4)
	v_pk_fma_f16 v69, v120, v15, v24 op_sel:[0,1,0]
	v_pk_fma_f16 v14, v121, v15, v14 op_sel_hi:[1,0,1]
	ds_load_2addr_b64 v[22:25], v101 offset0:192 offset1:224
	s_waitcnt lgkmcnt(3)
	v_pk_fma_f16 v15, v19, v16, v30 op_sel:[0,1,0]
	v_pk_fma_f16 v30, v18, v16, v31 op_sel_hi:[1,0,1]
	v_pk_fma_f16 v18, v18, v16, v69 op_sel:[0,1,0]
	v_pk_fma_f16 v14, v19, v16, v14 op_sel_hi:[1,0,1]
	ds_load_2addr_b64 v[118:121], v102 offset1:32
	v_pk_fma_f16 v19, v21, v17, v15 op_sel:[0,1,0]
	v_pk_fma_f16 v30, v20, v17, v30 op_sel_hi:[1,0,1]
	v_pk_fma_f16 v18, v20, v17, v18 op_sel:[0,1,0]
	v_pk_fma_f16 v20, v21, v17, v14 op_sel_hi:[1,0,1]
	ds_load_b128 v[14:17], v90 offset:64
	s_waitcnt lgkmcnt(3)
	v_pk_fma_f16 v19, v27, v10, v19 op_sel:[0,1,0]
	v_pk_fma_f16 v21, v26, v10, v30 op_sel_hi:[1,0,1]
	v_pk_fma_f16 v18, v26, v10, v18 op_sel:[0,1,0]
	v_pk_fma_f16 v10, v27, v10, v20 op_sel_hi:[1,0,1]
	s_delay_alu instid0(VALU_DEP_4) | instskip(NEXT) | instid1(VALU_DEP_4)
	v_pk_fma_f16 v26, v29, v11, v19 op_sel:[0,1,0]
	v_pk_fma_f16 v27, v28, v11, v21 op_sel_hi:[1,0,1]
	s_delay_alu instid0(VALU_DEP_4) | instskip(NEXT) | instid1(VALU_DEP_4)
	v_pk_fma_f16 v28, v28, v11, v18 op_sel:[0,1,0]
	v_pk_fma_f16 v10, v29, v11, v10 op_sel_hi:[1,0,1]
	ds_load_2addr_b64 v[18:21], v102 offset0:64 offset1:96
	s_waitcnt lgkmcnt(3)
	v_pk_fma_f16 v11, v23, v12, v26 op_sel:[0,1,0]
	v_pk_fma_f16 v30, v22, v12, v27 op_sel_hi:[1,0,1]
	v_pk_fma_f16 v22, v22, v12, v28 op_sel:[0,1,0]
	v_pk_fma_f16 v10, v23, v12, v10 op_sel_hi:[1,0,1]
	ds_load_2addr_b64 v[26:29], v102 offset0:128 offset1:160
	v_pk_fma_f16 v23, v25, v13, v11 op_sel:[0,1,0]
	v_pk_fma_f16 v30, v24, v13, v30 op_sel_hi:[1,0,1]
	v_pk_fma_f16 v22, v24, v13, v22 op_sel:[0,1,0]
	v_pk_fma_f16 v24, v25, v13, v10 op_sel_hi:[1,0,1]
	ds_load_b128 v[10:13], v90 offset:80
	s_waitcnt lgkmcnt(3)
	v_pk_fma_f16 v23, v119, v14, v23 op_sel:[0,1,0]
	v_pk_fma_f16 v25, v118, v14, v30 op_sel_hi:[1,0,1]
	v_pk_fma_f16 v22, v118, v14, v22 op_sel:[0,1,0]
	v_pk_fma_f16 v14, v119, v14, v24 op_sel_hi:[1,0,1]
	s_delay_alu instid0(VALU_DEP_4) | instskip(NEXT) | instid1(VALU_DEP_4)
	v_pk_fma_f16 v30, v121, v15, v23 op_sel:[0,1,0]
	v_pk_fma_f16 v31, v120, v15, v25 op_sel_hi:[1,0,1]
	s_delay_alu instid0(VALU_DEP_4) | instskip(NEXT) | instid1(VALU_DEP_4)
	v_pk_fma_f16 v69, v120, v15, v22 op_sel:[0,1,0]
	v_pk_fma_f16 v14, v121, v15, v14 op_sel_hi:[1,0,1]
	ds_load_2addr_b64 v[22:25], v102 offset0:192 offset1:224
	s_waitcnt lgkmcnt(3)
	v_pk_fma_f16 v15, v19, v16, v30 op_sel:[0,1,0]
	v_pk_fma_f16 v30, v18, v16, v31 op_sel_hi:[1,0,1]
	v_pk_fma_f16 v18, v18, v16, v69 op_sel:[0,1,0]
	v_pk_fma_f16 v14, v19, v16, v14 op_sel_hi:[1,0,1]
	ds_load_2addr_b64 v[118:121], v103 offset1:32
	;; [unrolled: 46-line block ×9, first 2 shown]
	v_pk_fma_f16 v19, v21, v17, v15 op_sel:[0,1,0]
	v_pk_fma_f16 v30, v20, v17, v30 op_sel_hi:[1,0,1]
	v_pk_fma_f16 v18, v20, v17, v18 op_sel:[0,1,0]
	v_pk_fma_f16 v20, v21, v17, v14 op_sel_hi:[1,0,1]
	ds_load_b128 v[14:17], v90 offset:320
	s_waitcnt lgkmcnt(3)
	v_pk_fma_f16 v19, v27, v10, v19 op_sel:[0,1,0]
	v_pk_fma_f16 v21, v26, v10, v30 op_sel_hi:[1,0,1]
	v_pk_fma_f16 v18, v26, v10, v18 op_sel:[0,1,0]
	v_pk_fma_f16 v10, v27, v10, v20 op_sel_hi:[1,0,1]
	v_mov_b32_e32 v69, v116
	v_pk_fma_f16 v26, v29, v11, v19 op_sel:[0,1,0]
	v_pk_fma_f16 v27, v28, v11, v21 op_sel_hi:[1,0,1]
	v_pk_fma_f16 v28, v28, v11, v18 op_sel:[0,1,0]
	v_pk_fma_f16 v10, v29, v11, v10 op_sel_hi:[1,0,1]
	ds_load_2addr_b64 v[18:21], v110 offset0:64 offset1:96
	s_waitcnt lgkmcnt(3)
	v_pk_fma_f16 v11, v23, v12, v26 op_sel:[0,1,0]
	v_pk_fma_f16 v30, v22, v12, v27 op_sel_hi:[1,0,1]
	v_pk_fma_f16 v22, v22, v12, v28 op_sel:[0,1,0]
	v_pk_fma_f16 v10, v23, v12, v10 op_sel_hi:[1,0,1]
	ds_load_2addr_b64 v[26:29], v110 offset0:128 offset1:160
	v_pk_fma_f16 v23, v25, v13, v11 op_sel:[0,1,0]
	v_pk_fma_f16 v30, v24, v13, v30 op_sel_hi:[1,0,1]
	v_pk_fma_f16 v22, v24, v13, v22 op_sel:[0,1,0]
	v_pk_fma_f16 v24, v25, v13, v10 op_sel_hi:[1,0,1]
	ds_load_b128 v[10:13], v90 offset:336
	s_waitcnt lgkmcnt(3)
	v_pk_fma_f16 v23, v119, v14, v23 op_sel:[0,1,0]
	v_pk_fma_f16 v25, v118, v14, v30 op_sel_hi:[1,0,1]
	v_pk_fma_f16 v22, v118, v14, v22 op_sel:[0,1,0]
	v_pk_fma_f16 v14, v119, v14, v24 op_sel_hi:[1,0,1]
	s_delay_alu instid0(VALU_DEP_4) | instskip(NEXT) | instid1(VALU_DEP_4)
	v_pk_fma_f16 v30, v121, v15, v23 op_sel:[0,1,0]
	v_pk_fma_f16 v31, v120, v15, v25 op_sel_hi:[1,0,1]
	s_delay_alu instid0(VALU_DEP_4) | instskip(NEXT) | instid1(VALU_DEP_4)
	v_pk_fma_f16 v116, v120, v15, v22 op_sel:[0,1,0]
	v_pk_fma_f16 v14, v121, v15, v14 op_sel_hi:[1,0,1]
	ds_load_2addr_b64 v[22:25], v110 offset0:192 offset1:224
	s_waitcnt lgkmcnt(3)
	v_pk_fma_f16 v15, v19, v16, v30 op_sel:[0,1,0]
	v_pk_fma_f16 v30, v18, v16, v31 op_sel_hi:[1,0,1]
	v_pk_fma_f16 v18, v18, v16, v116 op_sel:[0,1,0]
	v_pk_fma_f16 v14, v19, v16, v14 op_sel_hi:[1,0,1]
	ds_load_2addr_b64 v[116:119], v111 offset1:32
	v_pk_fma_f16 v19, v21, v17, v15 op_sel:[0,1,0]
	v_pk_fma_f16 v30, v20, v17, v30 op_sel_hi:[1,0,1]
	v_pk_fma_f16 v18, v20, v17, v18 op_sel:[0,1,0]
	v_pk_fma_f16 v20, v21, v17, v14 op_sel_hi:[1,0,1]
	ds_load_b128 v[14:17], v90 offset:352
	s_waitcnt lgkmcnt(3)
	v_pk_fma_f16 v19, v27, v10, v19 op_sel:[0,1,0]
	v_pk_fma_f16 v21, v26, v10, v30 op_sel_hi:[1,0,1]
	v_pk_fma_f16 v18, v26, v10, v18 op_sel:[0,1,0]
	v_pk_fma_f16 v10, v27, v10, v20 op_sel_hi:[1,0,1]
	v_add_f32_e32 v30, v9, v8
	v_pk_fma_f16 v19, v29, v11, v19 op_sel:[0,1,0]
	v_pk_fma_f16 v20, v28, v11, v21 op_sel_hi:[1,0,1]
	v_pk_fma_f16 v18, v28, v11, v18 op_sel:[0,1,0]
	v_pk_fma_f16 v21, v29, v11, v10 op_sel_hi:[1,0,1]
	ds_load_2addr_b64 v[8:11], v111 offset0:64 offset1:96
	s_waitcnt lgkmcnt(3)
	v_pk_fma_f16 v26, v23, v12, v19 op_sel:[0,1,0]
	v_pk_fma_f16 v27, v22, v12, v20 op_sel_hi:[1,0,1]
	v_pk_fma_f16 v22, v22, v12, v18 op_sel:[0,1,0]
	v_pk_fma_f16 v12, v23, v12, v21 op_sel_hi:[1,0,1]
	ds_load_2addr_b64 v[18:21], v111 offset0:128 offset1:160
	v_pk_fma_f16 v26, v25, v13, v26 op_sel:[0,1,0]
	v_pk_fma_f16 v27, v24, v13, v27 op_sel_hi:[1,0,1]
	v_pk_fma_f16 v28, v24, v13, v22 op_sel:[0,1,0]
	v_pk_fma_f16 v12, v25, v13, v12 op_sel_hi:[1,0,1]
	ds_load_b128 v[22:25], v90 offset:368
	s_waitcnt lgkmcnt(3)
	v_pk_fma_f16 v13, v117, v14, v26 op_sel:[0,1,0]
	v_pk_fma_f16 v26, v116, v14, v27 op_sel_hi:[1,0,1]
	v_pk_fma_f16 v27, v116, v14, v28 op_sel:[0,1,0]
	v_pk_fma_f16 v12, v117, v14, v12 op_sel_hi:[1,0,1]
	v_add_f32_e32 v31, v6, v7
	v_pk_fma_f16 v6, v119, v15, v13 op_sel:[0,1,0]
	v_pk_fma_f16 v7, v118, v15, v26 op_sel_hi:[1,0,1]
	v_pk_fma_f16 v26, v118, v15, v27 op_sel:[0,1,0]
	v_pk_fma_f16 v27, v119, v15, v12 op_sel_hi:[1,0,1]
	ds_load_2addr_b64 v[12:15], v111 offset0:192 offset1:224
	s_waitcnt lgkmcnt(3)
	v_pk_fma_f16 v28, v9, v16, v6 op_sel:[0,1,0]
	v_pk_fma_f16 v29, v8, v16, v7 op_sel_hi:[1,0,1]
	v_pk_fma_f16 v26, v8, v16, v26 op_sel:[0,1,0]
	v_pk_fma_f16 v16, v9, v16, v27 op_sel_hi:[1,0,1]
	ds_load_2addr_b64 v[6:9], v112 offset1:32
	v_pk_fma_f16 v116, v11, v17, v28 op_sel:[0,1,0]
	v_pk_fma_f16 v117, v10, v17, v29 op_sel_hi:[1,0,1]
	v_pk_fma_f16 v10, v10, v17, v26 op_sel:[0,1,0]
	ds_load_b128 v[26:29], v90 offset:384
	v_pk_fma_f16 v11, v11, v17, v16 op_sel_hi:[1,0,1]
	s_waitcnt lgkmcnt(3)
	v_pk_fma_f16 v16, v19, v22, v116 op_sel:[0,1,0]
	v_pk_fma_f16 v17, v18, v22, v117 op_sel_hi:[1,0,1]
	v_pk_fma_f16 v10, v18, v22, v10 op_sel:[0,1,0]
	v_add_f32_e32 v30, v5, v30
	v_pk_fma_f16 v11, v19, v22, v11 op_sel_hi:[1,0,1]
	v_pk_fma_f16 v5, v21, v23, v16 op_sel:[0,1,0]
	v_pk_fma_f16 v22, v20, v23, v17 op_sel_hi:[1,0,1]
	v_pk_fma_f16 v10, v20, v23, v10 op_sel:[0,1,0]
	ds_load_2addr_b64 v[16:19], v112 offset0:64 offset1:96
	v_pk_fma_f16 v11, v21, v23, v11 op_sel_hi:[1,0,1]
	s_waitcnt lgkmcnt(3)
	v_pk_fma_f16 v5, v13, v24, v5 op_sel:[0,1,0]
	v_pk_fma_f16 v20, v12, v24, v22 op_sel_hi:[1,0,1]
	v_pk_fma_f16 v21, v12, v24, v10 op_sel:[0,1,0]
	v_add_f32_e32 v31, v4, v31
	v_pk_fma_f16 v22, v13, v24, v11 op_sel_hi:[1,0,1]
	v_pk_fma_f16 v5, v15, v25, v5 op_sel:[0,1,0]
	v_pk_fma_f16 v24, v14, v25, v20 op_sel_hi:[1,0,1]
	v_pk_fma_f16 v14, v14, v25, v21 op_sel:[0,1,0]
	ds_load_2addr_b64 v[10:13], v112 offset0:128 offset1:160
	v_pk_fma_f16 v15, v15, v25, v22 op_sel_hi:[1,0,1]
	ds_load_b128 v[20:23], v90 offset:400
	s_waitcnt lgkmcnt(3)
	v_pk_fma_f16 v5, v7, v26, v5 op_sel:[0,1,0]
	v_pk_fma_f16 v24, v6, v26, v24 op_sel_hi:[1,0,1]
	v_pk_fma_f16 v6, v6, v26, v14 op_sel:[0,1,0]
	v_pk_fma_f16 v7, v7, v26, v15 op_sel_hi:[1,0,1]
	v_add_f32_e32 v121, v2, v31
	v_pk_fma_f16 v14, v9, v27, v5 op_sel:[0,1,0]
	v_pk_fma_f16 v15, v8, v27, v24 op_sel_hi:[1,0,1]
	v_pk_fma_f16 v8, v8, v27, v6 op_sel:[0,1,0]
	v_pk_fma_f16 v9, v9, v27, v7 op_sel_hi:[1,0,1]
	ds_load_2addr_b64 v[4:7], v112 offset0:192 offset1:224
	s_waitcnt lgkmcnt(3)
	v_pk_fma_f16 v24, v17, v28, v14 op_sel:[0,1,0]
	v_pk_fma_f16 v25, v16, v28, v15 op_sel_hi:[1,0,1]
	v_pk_fma_f16 v8, v16, v28, v8 op_sel:[0,1,0]
	v_pk_fma_f16 v9, v17, v28, v9 op_sel_hi:[1,0,1]
	ds_load_2addr_b64 v[14:17], v113 offset1:32
	v_pk_fma_f16 v28, v19, v29, v24 op_sel:[0,1,0]
	v_pk_fma_f16 v116, v18, v29, v25 op_sel_hi:[1,0,1]
	ds_load_b128 v[24:27], v90 offset:416
	v_pk_fma_f16 v8, v18, v29, v8 op_sel:[0,1,0]
	v_pk_fma_f16 v9, v19, v29, v9 op_sel_hi:[1,0,1]
	s_waitcnt lgkmcnt(3)
	v_pk_fma_f16 v18, v11, v20, v28 op_sel:[0,1,0]
	v_pk_fma_f16 v19, v10, v20, v116 op_sel_hi:[1,0,1]
	v_add_f32_e32 v116, v3, v30
	v_pk_fma_f16 v8, v10, v20, v8 op_sel:[0,1,0]
	v_pk_fma_f16 v9, v11, v20, v9 op_sel_hi:[1,0,1]
	v_pk_fma_f16 v3, v13, v21, v18 op_sel:[0,1,0]
	v_pk_fma_f16 v18, v12, v21, v19 op_sel_hi:[1,0,1]
	ds_load_2addr_b64 v[117:120], v115 offset0:64 offset1:96
	v_pk_fma_f16 v12, v12, v21, v8 op_sel:[0,1,0]
	v_pk_fma_f16 v13, v13, v21, v9 op_sel_hi:[1,0,1]
	ds_load_2addr_b64 v[8:11], v113 offset0:64 offset1:96
	s_waitcnt lgkmcnt(4)
	v_pk_fma_f16 v3, v5, v22, v3 op_sel:[0,1,0]
	v_pk_fma_f16 v28, v4, v22, v18 op_sel_hi:[1,0,1]
	v_pk_fma_f16 v4, v4, v22, v12 op_sel:[0,1,0]
	v_pk_fma_f16 v5, v5, v22, v13 op_sel_hi:[1,0,1]
	ds_load_2addr_b64 v[18:21], v113 offset0:128 offset1:160
	v_pk_fma_f16 v12, v7, v23, v3 op_sel:[0,1,0]
	v_pk_fma_f16 v13, v6, v23, v28 op_sel_hi:[1,0,1]
	v_pk_fma_f16 v22, v6, v23, v4 op_sel:[0,1,0]
	v_pk_fma_f16 v7, v7, v23, v5 op_sel_hi:[1,0,1]
	ds_load_b128 v[3:6], v90 offset:432
	s_waitcnt lgkmcnt(4)
	v_pk_fma_f16 v12, v15, v24, v12 op_sel:[0,1,0]
	v_pk_fma_f16 v13, v14, v24, v13 op_sel_hi:[1,0,1]
	v_pk_fma_f16 v14, v14, v24, v22 op_sel:[0,1,0]
	v_pk_fma_f16 v7, v15, v24, v7 op_sel_hi:[1,0,1]
	v_fmac_f32_e32 v116, v69, v1
	v_pk_fma_f16 v2, v17, v25, v12 op_sel:[0,1,0]
	v_pk_fma_f16 v22, v16, v25, v13 op_sel_hi:[1,0,1]
	v_pk_fma_f16 v16, v16, v25, v14 op_sel:[0,1,0]
	v_pk_fma_f16 v7, v17, v25, v7 op_sel_hi:[1,0,1]
	ds_load_2addr_b64 v[12:15], v113 offset0:192 offset1:224
	s_waitcnt lgkmcnt(3)
	v_pk_fma_f16 v2, v9, v26, v2 op_sel:[0,1,0]
	v_pk_fma_f16 v17, v8, v26, v22 op_sel_hi:[1,0,1]
	v_pk_fma_f16 v8, v8, v26, v16 op_sel:[0,1,0]
	v_pk_fma_f16 v7, v9, v26, v7 op_sel_hi:[1,0,1]
	ds_load_2addr_b64 v[22:25], v114 offset1:32
	v_pk_fma_f16 v2, v11, v27, v2 op_sel:[0,1,0]
	v_pk_fma_f16 v16, v10, v27, v17 op_sel_hi:[1,0,1]
	v_pk_fma_f16 v17, v10, v27, v8 op_sel:[0,1,0]
	v_pk_fma_f16 v11, v11, v27, v7 op_sel_hi:[1,0,1]
	ds_load_b128 v[7:10], v90 offset:448
	s_waitcnt lgkmcnt(3)
	v_pk_fma_f16 v2, v19, v3, v2 op_sel:[0,1,0]
	v_pk_fma_f16 v26, v18, v3, v16 op_sel_hi:[1,0,1]
	v_pk_fma_f16 v27, v18, v3, v17 op_sel:[0,1,0]
	v_pk_fma_f16 v3, v19, v3, v11 op_sel_hi:[1,0,1]
	ds_load_2addr_b64 v[16:19], v114 offset0:64 offset1:96
	v_pk_fma_f16 v2, v21, v4, v2 op_sel:[0,1,0]
	v_pk_fma_f16 v11, v20, v4, v26 op_sel_hi:[1,0,1]
	v_pk_fma_f16 v20, v20, v4, v27 op_sel:[0,1,0]
	v_pk_fma_f16 v3, v21, v4, v3 op_sel_hi:[1,0,1]
	ds_load_2addr_b64 v[26:29], v114 offset0:128 offset1:160
	s_waitcnt lgkmcnt(4)
	v_pk_fma_f16 v21, v13, v5, v2 op_sel:[0,1,0]
	v_pk_fma_f16 v11, v12, v5, v11 op_sel_hi:[1,0,1]
	v_pk_fma_f16 v12, v12, v5, v20 op_sel:[0,1,0]
	v_pk_fma_f16 v13, v13, v5, v3 op_sel_hi:[1,0,1]
	ds_load_b128 v[2:5], v90 offset:464
	v_pk_fma_f16 v20, v15, v6, v21 op_sel:[0,1,0]
	v_pk_fma_f16 v21, v14, v6, v11 op_sel_hi:[1,0,1]
	v_pk_fma_f16 v30, v14, v6, v12 op_sel:[0,1,0]
	v_pk_fma_f16 v6, v15, v6, v13 op_sel_hi:[1,0,1]
	ds_load_2addr_b64 v[11:14], v114 offset0:192 offset1:224
	s_waitcnt lgkmcnt(4)
	v_pk_fma_f16 v15, v23, v7, v20 op_sel:[0,1,0]
	v_pk_fma_f16 v31, v22, v7, v21 op_sel_hi:[1,0,1]
	v_pk_fma_f16 v30, v22, v7, v30 op_sel:[0,1,0]
	v_pk_fma_f16 v6, v23, v7, v6 op_sel_hi:[1,0,1]
	ds_load_2addr_b64 v[20:23], v115 offset1:32
	v_pk_fma_f16 v7, v25, v8, v15 op_sel:[0,1,0]
	v_pk_fma_f16 v15, v24, v8, v31 op_sel_hi:[1,0,1]
	v_pk_fma_f16 v24, v24, v8, v30 op_sel:[0,1,0]
	v_pk_fma_f16 v6, v25, v8, v6 op_sel_hi:[1,0,1]
	s_waitcnt lgkmcnt(4)
	v_pk_fma_f16 v25, v17, v9, v7 op_sel:[0,1,0]
	v_pk_fma_f16 v15, v16, v9, v15 op_sel_hi:[1,0,1]
	v_pk_fma_f16 v16, v16, v9, v24 op_sel:[0,1,0]
	v_pk_fma_f16 v17, v17, v9, v6 op_sel_hi:[1,0,1]
	ds_load_2addr_b64 v[6:9], v115 offset0:128 offset1:160
	v_pk_fma_f16 v24, v19, v10, v25 op_sel:[0,1,0]
	v_pk_fma_f16 v25, v18, v10, v15 op_sel_hi:[1,0,1]
	v_pk_fma_f16 v30, v18, v10, v16 op_sel:[0,1,0]
	v_pk_fma_f16 v10, v19, v10, v17 op_sel_hi:[1,0,1]
	ds_load_b128 v[15:18], v90 offset:480
	s_waitcnt lgkmcnt(4)
	v_pk_fma_f16 v19, v27, v2, v24 op_sel:[0,1,0]
	v_pk_fma_f16 v31, v26, v2, v25 op_sel_hi:[1,0,1]
	v_pk_fma_f16 v30, v26, v2, v30 op_sel:[0,1,0]
	v_pk_fma_f16 v2, v27, v2, v10 op_sel_hi:[1,0,1]
	ds_load_b128 v[24:27], v90 offset:496
	v_pk_fma_f16 v10, v29, v3, v19 op_sel:[0,1,0]
	v_pk_fma_f16 v19, v28, v3, v31 op_sel_hi:[1,0,1]
	v_pk_fma_f16 v122, v28, v3, v30 op_sel:[0,1,0]
	v_pk_fma_f16 v2, v29, v3, v2 op_sel_hi:[1,0,1]
	ds_load_2addr_b64 v[28:31], v115 offset0:192 offset1:224
	s_waitcnt lgkmcnt(5)
	v_pk_fma_f16 v3, v12, v4, v10 op_sel:[0,1,0]
	v_pk_fma_f16 v10, v11, v4, v19 op_sel_hi:[1,0,1]
	v_pk_fma_f16 v11, v11, v4, v122 op_sel:[0,1,0]
	v_pk_fma_f16 v2, v12, v4, v2 op_sel_hi:[1,0,1]
	s_waitcnt lgkmcnt(0)
	v_pk_fma_f16 v3, v14, v5, v3 op_sel:[0,1,0]
	v_pk_fma_f16 v4, v13, v5, v10 op_sel_hi:[1,0,1]
	v_pk_fma_f16 v10, v13, v5, v11 op_sel:[0,1,0]
	v_pk_fma_f16 v2, v14, v5, v2 op_sel_hi:[1,0,1]
	s_barrier
	v_pk_fma_f16 v3, v21, v15, v3 op_sel:[0,1,0]
	v_pk_fma_f16 v4, v20, v15, v4 op_sel_hi:[1,0,1]
	v_pk_fma_f16 v5, v20, v15, v10 op_sel:[0,1,0]
	v_pk_fma_f16 v2, v21, v15, v2 op_sel_hi:[1,0,1]
	buffer_gl0_inv
	v_pk_fma_f16 v3, v23, v16, v3 op_sel:[0,1,0]
	v_pk_fma_f16 v4, v22, v16, v4 op_sel_hi:[1,0,1]
	v_pk_fma_f16 v5, v22, v16, v5 op_sel:[0,1,0]
	v_pk_fma_f16 v2, v23, v16, v2 op_sel_hi:[1,0,1]
	s_load_b32 s2, s[16:17], 0x4
	v_pk_fma_f16 v3, v118, v17, v3 op_sel:[0,1,0]
	v_pk_fma_f16 v4, v117, v17, v4 op_sel_hi:[1,0,1]
	v_pk_fma_f16 v5, v117, v17, v5 op_sel:[0,1,0]
	v_pk_fma_f16 v2, v118, v17, v2 op_sel_hi:[1,0,1]
	v_mov_b32_e32 v117, v121
	v_pk_fma_f16 v1, v120, v18, v3 op_sel:[0,1,0]
	v_pk_fma_f16 v3, v119, v18, v4 op_sel_hi:[1,0,1]
	v_pk_fma_f16 v4, v119, v18, v5 op_sel:[0,1,0]
	v_pk_fma_f16 v2, v120, v18, v2 op_sel_hi:[1,0,1]
	v_fmac_f32_e32 v117, v70, v0
	v_pk_fma_f16 v1, v7, v24, v1 op_sel:[0,1,0]
	v_pk_fma_f16 v3, v6, v24, v3 op_sel_hi:[1,0,1]
	v_pk_fma_f16 v4, v6, v24, v4 op_sel:[0,1,0]
	v_pk_fma_f16 v2, v7, v24, v2 op_sel_hi:[1,0,1]
	s_delay_alu instid0(VALU_DEP_4) | instskip(NEXT) | instid1(VALU_DEP_4)
	v_pk_fma_f16 v0, v9, v25, v1 op_sel:[0,1,0]
	v_pk_fma_f16 v1, v8, v25, v3 op_sel_hi:[1,0,1]
	s_delay_alu instid0(VALU_DEP_4) | instskip(NEXT) | instid1(VALU_DEP_4)
	v_pk_fma_f16 v3, v8, v25, v4 op_sel:[0,1,0]
	v_pk_fma_f16 v2, v9, v25, v2 op_sel_hi:[1,0,1]
	s_waitcnt lgkmcnt(0)
	s_lshl_b32 s2, s2, 7
	v_pk_fma_f16 v0, v29, v26, v0 op_sel:[0,1,0]
	v_pk_fma_f16 v1, v28, v26, v1 op_sel_hi:[1,0,1]
	v_pk_fma_f16 v3, v28, v26, v3 op_sel:[0,1,0]
	v_pk_fma_f16 v2, v29, v26, v2 op_sel_hi:[1,0,1]
	s_add_i32 s13, s2, s13
	v_pk_fma_f16 v118, v31, v27, v0 op_sel:[0,1,0]
	v_pk_fma_f16 v120, v30, v27, v1 op_sel_hi:[1,0,1]
	v_pk_fma_f16 v119, v30, v27, v3 op_sel:[0,1,0]
	v_pk_fma_f16 v121, v31, v27, v2 op_sel_hi:[1,0,1]
	s_cmp_ge_i32 s13, s34
	s_cbranch_scc0 .LBB40_9
; %bb.10:
	v_mov_b32_e32 v0, v72
.LBB40_11:
	v_cmp_lt_i32_e32 vcc_lo, v78, v73
	s_cmp_lg_u64 s[24:25], 0
	s_cselect_b32 s2, -1, 0
	s_cmp_eq_u32 s14, 0
	v_cndmask_b32_e32 v1, v0, v78, vcc_lo
	v_cmp_lt_i32_e32 vcc_lo, v77, v73
	s_cselect_b32 s3, -1, 0
	s_delay_alu instid0(SALU_CYCLE_1) | instskip(NEXT) | instid1(VALU_DEP_2)
	s_and_b32 s2, s3, s2
	v_lshlrev_b32_e32 v1, 2, v1
	v_cndmask_b32_e32 v3, v0, v77, vcc_lo
	v_cmp_lt_i32_e32 vcc_lo, v76, v73
	ds_bpermute_b32 v2, v1, v116
	v_lshlrev_b32_e32 v3, 2, v3
	v_cndmask_b32_e32 v5, v0, v76, vcc_lo
	v_cmp_lt_i32_e32 vcc_lo, v75, v73
	s_waitcnt lgkmcnt(0)
	s_delay_alu instid0(VALU_DEP_2)
	v_dual_add_f32 v2, v116, v2 :: v_dual_lshlrev_b32 v5, 2, v5
	ds_bpermute_b32 v1, v1, v117
	ds_bpermute_b32 v4, v3, v2
	s_waitcnt lgkmcnt(0)
	v_dual_add_f32 v2, v2, v4 :: v_dual_add_f32 v1, v117, v1
	ds_bpermute_b32 v3, v3, v1
	s_waitcnt lgkmcnt(0)
	v_add_f32_e32 v1, v1, v3
	ds_bpermute_b32 v3, v5, v2
	ds_bpermute_b32 v4, v5, v1
	v_cndmask_b32_e32 v5, v0, v75, vcc_lo
	v_cmp_lt_i32_e32 vcc_lo, v74, v73
	s_delay_alu instid0(VALU_DEP_2) | instskip(SKIP_1) | instid1(VALU_DEP_1)
	v_dual_cndmask_b32 v0, v0, v74 :: v_dual_lshlrev_b32 v5, 2, v5
	s_and_b32 vcc_lo, exec_lo, s2
	v_lshlrev_b32_e32 v0, 2, v0
	s_waitcnt lgkmcnt(0)
	v_dual_add_f32 v2, v2, v3 :: v_dual_add_f32 v1, v1, v4
	ds_bpermute_b32 v3, v5, v2
	ds_bpermute_b32 v4, v5, v1
	s_waitcnt lgkmcnt(0)
	v_dual_add_f32 v2, v2, v3 :: v_dual_add_f32 v1, v1, v4
	ds_bpermute_b32 v3, v0, v2
	ds_bpermute_b32 v4, v0, v1
	s_waitcnt lgkmcnt(0)
	v_dual_add_f32 v0, v2, v3 :: v_dual_add_f32 v1, v1, v4
	s_cbranch_vccz .LBB40_14
; %bb.12:
	s_ashr_i32 s13, s12, 31
	v_mov_b32_e32 v2, 0
	s_lshl_b64 s[2:3], s[12:13], 2
	s_delay_alu instid0(SALU_CYCLE_1)
	s_add_u32 s2, s24, s2
	s_addc_u32 s3, s25, s3
	global_load_b64 v[2:3], v2, s[2:3]
	v_max_f32_e32 v4, v35, v35
	s_waitcnt vmcnt(0)
	v_dual_max_f32 v6, v36, v36 :: v_dual_max_f32 v5, v2, v2
	s_delay_alu instid0(VALU_DEP_1) | instskip(NEXT) | instid1(VALU_DEP_1)
	v_dual_max_f32 v7, v3, v3 :: v_dual_max_f32 v4, v4, v5
	v_dual_max_f32 v5, v6, v7 :: v_dual_sub_f32 v6, v35, v4
	s_delay_alu instid0(VALU_DEP_1) | instskip(SKIP_2) | instid1(VALU_DEP_4)
	v_sub_f32_e32 v7, v36, v5
	v_dual_sub_f32 v3, v3, v5 :: v_dual_sub_f32 v2, v2, v4
	v_mov_b32_e32 v36, v5
	v_cmp_ngt_f32_e32 vcc_lo, 0xc2ce8ed0, v6
	s_delay_alu instid0(VALU_DEP_4) | instskip(NEXT) | instid1(VALU_DEP_4)
	v_mul_f32_e32 v10, 0x3fb8aa3b, v7
	v_mul_f32_e32 v11, 0x3fb8aa3b, v3
	;; [unrolled: 1-line block ×3, first 2 shown]
	v_mov_b32_e32 v35, v4
	s_delay_alu instid0(VALU_DEP_4) | instskip(NEXT) | instid1(VALU_DEP_4)
	v_fma_f32 v16, 0x3fb8aa3b, v7, -v10
	v_fma_f32 v18, 0x3fb8aa3b, v3, -v11
	s_delay_alu instid0(VALU_DEP_4)
	v_rndne_f32_e32 v15, v9
	v_mul_f32_e32 v8, 0x3fb8aa3b, v6
	v_fma_f32 v14, 0x3fb8aa3b, v2, -v9
	v_rndne_f32_e32 v19, v11
	v_fmac_f32_e32 v18, 0x32a5705f, v3
	v_sub_f32_e32 v9, v9, v15
	v_fma_f32 v12, 0x3fb8aa3b, v6, -v8
	v_rndne_f32_e32 v13, v8
	v_sub_f32_e32 v11, v11, v19
	v_fmac_f32_e32 v16, 0x32a5705f, v7
	v_fmac_f32_e32 v14, 0x32a5705f, v2
	;; [unrolled: 1-line block ×3, first 2 shown]
	s_delay_alu instid0(VALU_DEP_4) | instskip(SKIP_1) | instid1(VALU_DEP_2)
	v_dual_sub_f32 v8, v8, v13 :: v_dual_add_f32 v11, v11, v18
	v_rndne_f32_e32 v17, v10
	v_dual_add_f32 v9, v9, v14 :: v_dual_add_f32 v8, v8, v12
	s_delay_alu instid0(VALU_DEP_3)
	v_exp_f32_e32 v11, v11
	v_cvt_i32_f32_e32 v12, v13
	v_cvt_i32_f32_e32 v13, v15
	;; [unrolled: 1-line block ×3, first 2 shown]
	v_exp_f32_e32 v8, v8
	v_exp_f32_e32 v9, v9
	v_cvt_i32_f32_e32 v14, v17
	s_delay_alu instid0(TRANS32_DEP_3) | instid1(VALU_DEP_2)
	v_ldexp_f32 v11, v11, v15
	v_sub_f32_e32 v10, v10, v17
	s_waitcnt_depctr 0xfff
	v_ldexp_f32 v8, v8, v12
	v_ldexp_f32 v9, v9, v13
	v_add_f32_e32 v10, v10, v16
	s_delay_alu instid0(VALU_DEP_3) | instskip(SKIP_1) | instid1(VALU_DEP_3)
	v_cndmask_b32_e32 v8, 0, v8, vcc_lo
	v_cmp_ngt_f32_e32 vcc_lo, 0xc2ce8ed0, v2
	v_exp_f32_e32 v10, v10
	v_cndmask_b32_e32 v9, 0, v9, vcc_lo
	v_cmp_ngt_f32_e32 vcc_lo, 0xc2ce8ed0, v7
	s_waitcnt_depctr 0xfff
	v_ldexp_f32 v10, v10, v14
	s_delay_alu instid0(VALU_DEP_1)
	v_cndmask_b32_e32 v10, 0, v10, vcc_lo
	v_cmp_ngt_f32_e32 vcc_lo, 0xc2ce8ed0, v3
	v_cndmask_b32_e32 v11, 0, v11, vcc_lo
	v_cmp_nlt_f32_e32 vcc_lo, 0x42b17218, v6
	v_cndmask_b32_e32 v6, 0x7f800000, v8, vcc_lo
	v_cmp_nlt_f32_e32 vcc_lo, 0x42b17218, v2
	s_delay_alu instid0(VALU_DEP_2) | instskip(SKIP_2) | instid1(VALU_DEP_3)
	v_cvt_f16_f32_e32 v8, v6
	v_cndmask_b32_e32 v2, 0x7f800000, v9, vcc_lo
	v_cmp_nlt_f32_e32 vcc_lo, 0x42b17218, v7
	v_pk_mul_f16 v120, v8, v120 op_sel_hi:[0,1]
	s_delay_alu instid0(VALU_DEP_3) | instskip(SKIP_3) | instid1(VALU_DEP_4)
	v_fmac_f32_e32 v2, v0, v6
	v_cndmask_b32_e32 v7, 0x7f800000, v10, vcc_lo
	v_cmp_nlt_f32_e32 vcc_lo, 0x42b17218, v3
	v_pk_mul_f16 v121, v8, v121 op_sel_hi:[0,1]
	v_mov_b32_e32 v0, v2
	s_delay_alu instid0(VALU_DEP_4) | instskip(SKIP_1) | instid1(VALU_DEP_2)
	v_cvt_f16_f32_e32 v4, v7
	v_cndmask_b32_e32 v3, 0x7f800000, v11, vcc_lo
	v_pk_mul_f16 v119, v4, v119 op_sel_hi:[0,1]
	s_delay_alu instid0(VALU_DEP_2) | instskip(SKIP_1) | instid1(VALU_DEP_2)
	v_fmac_f32_e32 v3, v1, v7
	v_pk_mul_f16 v118, v4, v118 op_sel_hi:[0,1]
	v_mov_b32_e32 v1, v3
	s_mov_b32 s2, exec_lo
	v_cmpx_gt_i32_e64 s38, v32
	s_cbranch_execnz .LBB40_15
.LBB40_13:
	s_nop 0
	s_sendmsg sendmsg(MSG_DEALLOC_VGPRS)
	s_endpgm
.LBB40_14:
	s_delay_alu instid0(VALU_DEP_1)
	v_dual_mov_b32 v3, v1 :: v_dual_mov_b32 v2, v0
	s_mov_b32 s2, exec_lo
	v_cmpx_gt_i32_e64 s38, v32
	s_cbranch_execz .LBB40_13
.LBB40_15:
	s_load_b32 s1, s[0:1], 0xd4
	v_mov_b32_e32 v6, 1.0
	s_waitcnt lgkmcnt(0)
	s_cmp_lg_u32 s1, 1
	s_cselect_b32 s3, -1, 0
	s_cmp_eq_u32 s1, 1
	s_cselect_b32 s2, -1, 0
	s_and_b32 vcc_lo, exec_lo, s3
	s_cbranch_vccnz .LBB40_17
; %bb.16:
	v_div_scale_f32 v4, null, v0, v0, 1.0
	s_delay_alu instid0(VALU_DEP_1) | instskip(SKIP_2) | instid1(VALU_DEP_1)
	v_rcp_f32_e32 v5, v4
	s_waitcnt_depctr 0xfff
	v_fma_f32 v6, -v4, v5, 1.0
	v_fmac_f32_e32 v5, v6, v5
	v_div_scale_f32 v6, vcc_lo, 1.0, v0, 1.0
	s_delay_alu instid0(VALU_DEP_1) | instskip(NEXT) | instid1(VALU_DEP_1)
	v_mul_f32_e32 v7, v6, v5
	v_fma_f32 v8, -v4, v7, v6
	s_delay_alu instid0(VALU_DEP_1) | instskip(NEXT) | instid1(VALU_DEP_1)
	v_fmac_f32_e32 v7, v8, v5
	v_fma_f32 v4, -v4, v7, v6
	s_delay_alu instid0(VALU_DEP_1) | instskip(NEXT) | instid1(VALU_DEP_1)
	v_div_fmas_f32 v4, v4, v5, v7
	v_div_fixup_f32 v6, v4, v0, 1.0
.LBB40_17:
	v_mad_u64_u32 v[4:5], null, s11, s38, v[32:33]
	v_cvt_f32_f16_e32 v9, v120
	v_lshrrev_b32_e32 v0, 16, v120
	v_cvt_f32_f16_e32 v10, v121
	v_cmp_eq_u32_e32 vcc_lo, 0, v33
	s_delay_alu instid0(VALU_DEP_3) | instskip(SKIP_2) | instid1(VALU_DEP_2)
	v_cvt_f32_f16_e32 v0, v0
	v_mad_u64_u32 v[7:8], null, v4, s39, s[12:13]
	v_mov_b32_e32 v8, 0
	v_mad_u64_u32 v[4:5], null, s1, v7, s[14:15]
	v_lshrrev_b32_e32 v5, 16, v121
	s_delay_alu instid0(VALU_DEP_1) | instskip(NEXT) | instid1(VALU_DEP_3)
	v_cvt_f32_f16_e32 v5, v5
	v_lshl_add_u32 v7, v4, 7, v71
	s_delay_alu instid0(VALU_DEP_1)
	v_lshlrev_b64 v[11:12], 2, v[7:8]
	v_mul_f32_e32 v7, v6, v9
	v_mul_f32_e32 v9, v6, v10
	;; [unrolled: 1-line block ×4, first 2 shown]
	v_add_co_u32 v5, s0, s28, v11
	s_delay_alu instid0(VALU_DEP_1)
	v_add_co_ci_u32_e64 v6, s0, s29, v12, s0
	s_and_b32 s0, vcc_lo, s3
	global_store_b128 v[5:6], v[7:10], off
	s_and_saveexec_b32 s3, s0
	s_cbranch_execz .LBB40_19
; %bb.18:
	v_ashrrev_i32_e32 v5, 31, v4
	v_dual_mov_b32 v7, v35 :: v_dual_mov_b32 v8, v2
	s_delay_alu instid0(VALU_DEP_2) | instskip(NEXT) | instid1(VALU_DEP_1)
	v_lshlrev_b64 v[5:6], 3, v[4:5]
	v_add_co_u32 v5, vcc_lo, s30, v5
	s_delay_alu instid0(VALU_DEP_2)
	v_add_co_ci_u32_e32 v6, vcc_lo, s31, v6, vcc_lo
	global_store_b64 v[5:6], v[7:8], off
.LBB40_19:
	s_or_b32 exec_lo, exec_lo, s3
	v_mov_b32_e32 v2, 1.0
	s_and_not1_b32 vcc_lo, exec_lo, s2
	s_cbranch_vccnz .LBB40_21
; %bb.20:
	v_div_scale_f32 v0, null, v1, v1, 1.0
	s_delay_alu instid0(VALU_DEP_1) | instskip(SKIP_2) | instid1(VALU_DEP_1)
	v_rcp_f32_e32 v2, v0
	s_waitcnt_depctr 0xfff
	v_fma_f32 v5, -v0, v2, 1.0
	v_fmac_f32_e32 v2, v5, v2
	v_div_scale_f32 v5, vcc_lo, 1.0, v1, 1.0
	s_delay_alu instid0(VALU_DEP_1) | instskip(NEXT) | instid1(VALU_DEP_1)
	v_mul_f32_e32 v6, v5, v2
	v_fma_f32 v7, -v0, v6, v5
	s_delay_alu instid0(VALU_DEP_1) | instskip(NEXT) | instid1(VALU_DEP_1)
	v_fmac_f32_e32 v6, v7, v2
	v_fma_f32 v0, -v0, v6, v5
	s_delay_alu instid0(VALU_DEP_1) | instskip(NEXT) | instid1(VALU_DEP_1)
	v_div_fmas_f32 v0, v0, v2, v6
	v_div_fixup_f32 v2, v0, v1, 1.0
.LBB40_21:
	v_dual_mov_b32 v5, 0 :: v_dual_add_nc_u32 v0, s1, v4
	v_lshrrev_b32_e32 v1, 16, v119
	v_lshrrev_b32_e32 v6, 16, v118
	v_cvt_f32_f16_e32 v7, v119
	s_delay_alu instid0(VALU_DEP_4) | instskip(SKIP_3) | instid1(VALU_DEP_4)
	v_lshl_add_u32 v4, v0, 7, v71
	v_cvt_f32_f16_e32 v10, v118
	v_cvt_f32_f16_e32 v1, v1
	;; [unrolled: 1-line block ×3, first 2 shown]
	v_lshlrev_b64 v[8:9], 2, v[4:5]
	v_mul_f32_e32 v4, v2, v7
	s_delay_alu instid0(VALU_DEP_4)
	v_mul_f32_e32 v5, v2, v1
	v_mul_f32_e32 v6, v2, v10
	;; [unrolled: 1-line block ×3, first 2 shown]
	v_add_co_u32 v1, vcc_lo, s28, v8
	v_add_co_ci_u32_e32 v2, vcc_lo, s29, v9, vcc_lo
	global_store_b128 v[1:2], v[4:7], off
	s_and_b32 exec_lo, exec_lo, s0
	s_cbranch_execz .LBB40_13
; %bb.22:
	v_ashrrev_i32_e32 v1, 31, v0
	v_mov_b32_e32 v2, v36
	s_delay_alu instid0(VALU_DEP_2) | instskip(NEXT) | instid1(VALU_DEP_1)
	v_lshlrev_b64 v[0:1], 3, v[0:1]
	v_add_co_u32 v0, vcc_lo, s30, v0
	s_delay_alu instid0(VALU_DEP_2)
	v_add_co_ci_u32_e32 v1, vcc_lo, s31, v1, vcc_lo
	global_store_b64 v[0:1], v[2:3], off
	s_nop 0
	s_sendmsg sendmsg(MSG_DEALLOC_VGPRS)
	s_endpgm
	.section	.rodata,"a",@progbits
	.p2align	6, 0x0
	.amdhsa_kernel _ZL15flash_attn_tileILi128ELi128ELi8ELi2ELb0EEvPKcS1_S1_S1_S1_PKiPfP15HIP_vector_typeIfLj2EEffffjfiS5_IjLj3EEiiiiiiiiiiiliiliiiiil
		.amdhsa_group_segment_fixed_size 43008
		.amdhsa_private_segment_fixed_size 0
		.amdhsa_kernarg_size 464
		.amdhsa_user_sgpr_count 13
		.amdhsa_user_sgpr_dispatch_ptr 0
		.amdhsa_user_sgpr_queue_ptr 0
		.amdhsa_user_sgpr_kernarg_segment_ptr 1
		.amdhsa_user_sgpr_dispatch_id 0
		.amdhsa_user_sgpr_private_segment_size 0
		.amdhsa_wavefront_size32 1
		.amdhsa_uses_dynamic_stack 0
		.amdhsa_enable_private_segment 0
		.amdhsa_system_sgpr_workgroup_id_x 1
		.amdhsa_system_sgpr_workgroup_id_y 1
		.amdhsa_system_sgpr_workgroup_id_z 1
		.amdhsa_system_sgpr_workgroup_info 0
		.amdhsa_system_vgpr_workitem_id 1
		.amdhsa_next_free_vgpr 160
		.amdhsa_next_free_sgpr 42
		.amdhsa_reserve_vcc 1
		.amdhsa_float_round_mode_32 0
		.amdhsa_float_round_mode_16_64 0
		.amdhsa_float_denorm_mode_32 3
		.amdhsa_float_denorm_mode_16_64 3
		.amdhsa_dx10_clamp 1
		.amdhsa_ieee_mode 1
		.amdhsa_fp16_overflow 0
		.amdhsa_workgroup_processor_mode 1
		.amdhsa_memory_ordered 1
		.amdhsa_forward_progress 0
		.amdhsa_shared_vgpr_count 0
		.amdhsa_exception_fp_ieee_invalid_op 0
		.amdhsa_exception_fp_denorm_src 0
		.amdhsa_exception_fp_ieee_div_zero 0
		.amdhsa_exception_fp_ieee_overflow 0
		.amdhsa_exception_fp_ieee_underflow 0
		.amdhsa_exception_fp_ieee_inexact 0
		.amdhsa_exception_int_div_zero 0
	.end_amdhsa_kernel
	.section	.text._ZL15flash_attn_tileILi128ELi128ELi8ELi2ELb0EEvPKcS1_S1_S1_S1_PKiPfP15HIP_vector_typeIfLj2EEffffjfiS5_IjLj3EEiiiiiiiiiiiliiliiiiil,"axG",@progbits,_ZL15flash_attn_tileILi128ELi128ELi8ELi2ELb0EEvPKcS1_S1_S1_S1_PKiPfP15HIP_vector_typeIfLj2EEffffjfiS5_IjLj3EEiiiiiiiiiiiliiliiiiil,comdat
.Lfunc_end40:
	.size	_ZL15flash_attn_tileILi128ELi128ELi8ELi2ELb0EEvPKcS1_S1_S1_S1_PKiPfP15HIP_vector_typeIfLj2EEffffjfiS5_IjLj3EEiiiiiiiiiiiliiliiiiil, .Lfunc_end40-_ZL15flash_attn_tileILi128ELi128ELi8ELi2ELb0EEvPKcS1_S1_S1_S1_PKiPfP15HIP_vector_typeIfLj2EEffffjfiS5_IjLj3EEiiiiiiiiiiiliiliiiiil
                                        ; -- End function
	.section	.AMDGPU.csdata,"",@progbits
; Kernel info:
; codeLenInByte = 22792
; NumSgprs: 44
; NumVgprs: 160
; ScratchSize: 0
; MemoryBound: 0
; FloatMode: 240
; IeeeMode: 1
; LDSByteSize: 43008 bytes/workgroup (compile time only)
; SGPRBlocks: 5
; VGPRBlocks: 19
; NumSGPRsForWavesPerEU: 44
; NumVGPRsForWavesPerEU: 160
; Occupancy: 6
; WaveLimiterHint : 1
; COMPUTE_PGM_RSRC2:SCRATCH_EN: 0
; COMPUTE_PGM_RSRC2:USER_SGPR: 13
; COMPUTE_PGM_RSRC2:TRAP_HANDLER: 0
; COMPUTE_PGM_RSRC2:TGID_X_EN: 1
; COMPUTE_PGM_RSRC2:TGID_Y_EN: 1
; COMPUTE_PGM_RSRC2:TGID_Z_EN: 1
; COMPUTE_PGM_RSRC2:TIDIG_COMP_CNT: 1
	.section	.text._ZL33flash_attn_stream_k_fixup_uniformILi128ELi8ELi2EEvPfPK15HIP_vector_typeIfLj2EEiiiiiiS1_IjLj3EES5_S5_,"axG",@progbits,_ZL33flash_attn_stream_k_fixup_uniformILi128ELi8ELi2EEvPfPK15HIP_vector_typeIfLj2EEiiiiiiS1_IjLj3EES5_S5_,comdat
	.globl	_ZL33flash_attn_stream_k_fixup_uniformILi128ELi8ELi2EEvPfPK15HIP_vector_typeIfLj2EEiiiiiiS1_IjLj3EES5_S5_ ; -- Begin function _ZL33flash_attn_stream_k_fixup_uniformILi128ELi8ELi2EEvPfPK15HIP_vector_typeIfLj2EEiiiiiiS1_IjLj3EES5_S5_
	.p2align	8
	.type	_ZL33flash_attn_stream_k_fixup_uniformILi128ELi8ELi2EEvPfPK15HIP_vector_typeIfLj2EEiiiiiiS1_IjLj3EES5_S5_,@function
_ZL33flash_attn_stream_k_fixup_uniformILi128ELi8ELi2EEvPfPK15HIP_vector_typeIfLj2EEiiiiiiS1_IjLj3EES5_S5_: ; @_ZL33flash_attn_stream_k_fixup_uniformILi128ELi8ELi2EEvPfPK15HIP_vector_typeIfLj2EEiiiiiiS1_IjLj3EES5_S5_
; %bb.0:
	s_clause 0x1
	s_load_b256 s[4:11], s[0:1], 0x1c
	s_load_b128 s[16:19], s[0:1], 0x3c
	s_waitcnt lgkmcnt(0)
	s_mul_hi_u32 s2, s7, s13
	s_delay_alu instid0(SALU_CYCLE_1) | instskip(NEXT) | instid1(SALU_CYCLE_1)
	s_add_i32 s2, s13, s2
	s_lshr_b32 s2, s2, s8
	s_delay_alu instid0(SALU_CYCLE_1) | instskip(SKIP_2) | instid1(SALU_CYCLE_1)
	s_mul_i32 s3, s2, s9
	s_load_b64 s[8:9], s[0:1], 0x10
	s_sub_i32 s7, s13, s3
	s_mul_hi_u32 s3, s7, s10
	s_delay_alu instid0(SALU_CYCLE_1) | instskip(NEXT) | instid1(SALU_CYCLE_1)
	s_add_i32 s3, s7, s3
	s_lshr_b32 s3, s3, s11
	s_delay_alu instid0(SALU_CYCLE_1) | instskip(NEXT) | instid1(SALU_CYCLE_1)
	s_mul_i32 s10, s3, s16
	s_sub_i32 s7, s7, s10
	s_delay_alu instid0(SALU_CYCLE_1) | instskip(NEXT) | instid1(SALU_CYCLE_1)
	s_mul_hi_u32 s10, s7, s17
	s_add_i32 s10, s7, s10
	s_delay_alu instid0(SALU_CYCLE_1) | instskip(NEXT) | instid1(SALU_CYCLE_1)
	s_lshr_b32 s10, s10, s18
	s_mul_i32 s11, s10, s19
	s_lshl_b32 s10, s10, 1
	s_sub_i32 s7, s7, s11
	s_delay_alu instid0(SALU_CYCLE_1) | instskip(NEXT) | instid1(SALU_CYCLE_1)
	s_lshl_b32 s11, s7, 3
	s_add_i32 s11, s11, s14
	s_waitcnt lgkmcnt(0)
	s_cmp_lt_i32 s11, s8
	s_cselect_b32 s11, -1, 0
	s_add_i32 s12, s10, s15
	s_delay_alu instid0(SALU_CYCLE_1) | instskip(SKIP_1) | instid1(SALU_CYCLE_1)
	s_cmp_lt_i32 s12, s5
	s_cselect_b32 s12, -1, 0
	s_and_b32 s11, s11, s12
	s_delay_alu instid0(SALU_CYCLE_1)
	s_and_not1_b32 vcc_lo, exec_lo, s11
	s_cbranch_vccnz .LBB41_6
; %bb.1:
	s_mul_i32 s2, s2, s8
	s_mul_i32 s5, s3, s5
	s_add_i32 s2, s2, s14
	s_mul_i32 s7, s9, s7
	s_mul_i32 s2, s2, s9
	s_lshl_b32 s7, s7, 10
	s_add_i32 s8, s2, s15
	s_load_b128 s[0:3], s[0:1], 0x0
	s_add_i32 s5, s8, s5
	s_lshl_b32 s9, s14, 1
	s_add_i32 s5, s5, s10
	s_delay_alu instid0(SALU_CYCLE_1) | instskip(NEXT) | instid1(SALU_CYCLE_1)
	s_lshl_b32 s5, s5, 7
	s_add_i32 s7, s7, s5
	s_mul_i32 s5, s13, s6
	v_or_b32_e32 v1, s7, v0
	s_add_i32 s10, s5, s6
	s_delay_alu instid0(VALU_DEP_1) | instskip(NEXT) | instid1(VALU_DEP_1)
	v_ashrrev_i32_e32 v2, 31, v1
	v_lshlrev_b64 v[1:2], 2, v[1:2]
	s_waitcnt lgkmcnt(0)
	s_delay_alu instid0(VALU_DEP_1) | instskip(NEXT) | instid1(VALU_DEP_2)
	v_add_co_u32 v1, vcc_lo, s0, v1
	v_add_co_ci_u32_e32 v2, vcc_lo, s1, v2, vcc_lo
	s_add_i32 s0, s9, s15
	s_lshl_b32 s1, s10, 4
	s_delay_alu instid0(SALU_CYCLE_1) | instskip(SKIP_2) | instid1(SALU_CYCLE_1)
	s_add_i32 s0, s0, s1
	global_load_b32 v5, v[1:2], off
	s_add_i32 s0, s0, -16
	s_ashr_i32 s1, s0, 31
	s_delay_alu instid0(SALU_CYCLE_1) | instskip(NEXT) | instid1(SALU_CYCLE_1)
	s_lshl_b64 s[0:1], s[0:1], 3
	s_add_u32 s0, s2, s0
	s_addc_u32 s1, s3, s1
	s_add_i32 s7, s10, -2
	s_load_b32 s11, s[0:1], 0x4
	s_cmp_lt_i32 s7, s5
	s_cbranch_scc1 .LBB41_4
; %bb.2:
	s_lshl_b32 s16, s4, 6
	s_load_b32 s12, s[0:1], 0x0
	s_ashr_i32 s17, s16, 31
	s_delay_alu instid0(SALU_CYCLE_1) | instskip(NEXT) | instid1(SALU_CYCLE_1)
	s_lshl_b64 s[0:1], s[16:17], 2
	s_add_u32 s7, s2, s0
	s_addc_u32 s8, s3, s1
	s_add_i32 s13, s13, 1
	s_lshl_b32 s0, s14, 8
	s_lshl_b32 s1, s15, 7
	s_mul_i32 s6, s6, s13
	s_add_i32 s0, s1, s0
	s_lshl_b32 s1, s6, 11
	s_delay_alu instid0(SALU_CYCLE_1)
	s_add_i32 s0, s0, s1
	s_lshl_b32 s1, s6, 4
	v_or_b32_e32 v0, s0, v0
	s_lshl_b32 s0, s4, 4
	s_add_i32 s1, s15, s1
	s_waitcnt lgkmcnt(0)
	v_mov_b32_e32 v6, s11
	s_add_i32 s0, s1, s0
	v_dual_mov_b32 v0, s12 :: v_dual_add_nc_u32 v3, 0xfffff000, v0
	s_add_i32 s0, s0, s9
	s_add_i32 s4, s10, -1
	s_sub_i32 s0, s0, 32
.LBB41_3:                               ; =>This Inner Loop Header: Depth=1
	s_delay_alu instid0(VALU_DEP_1) | instskip(SKIP_1) | instid1(SALU_CYCLE_1)
	v_ashrrev_i32_e32 v4, 31, v3
	s_ashr_i32 s1, s0, 31
	s_lshl_b64 s[10:11], s[0:1], 3
	s_delay_alu instid0(SALU_CYCLE_1) | instskip(NEXT) | instid1(VALU_DEP_1)
	s_add_u32 s10, s2, s10
	v_lshlrev_b64 v[7:8], 2, v[3:4]
	s_addc_u32 s11, s3, s11
	s_add_i32 s4, s4, -1
	s_add_i32 s0, s0, -16
	s_cmp_le_i32 s4, s5
	s_load_b64 s[10:11], s[10:11], 0x0
	v_add_co_u32 v7, vcc_lo, s7, v7
	v_add_co_ci_u32_e32 v8, vcc_lo, s8, v8, vcc_lo
	global_load_b32 v4, v[7:8], off
	v_max_f32_e32 v7, v0, v0
	s_waitcnt lgkmcnt(0)
	v_max_f32_e64 v8, s10, s10
	s_delay_alu instid0(VALU_DEP_1) | instskip(NEXT) | instid1(VALU_DEP_1)
	v_max_f32_e32 v7, v7, v8
	v_sub_f32_e32 v8, s10, v7
	s_delay_alu instid0(VALU_DEP_1) | instskip(NEXT) | instid1(VALU_DEP_1)
	v_dual_sub_f32 v0, v0, v7 :: v_dual_mul_f32 v9, 0x3fb8aa3b, v8
	v_fma_f32 v10, 0x3fb8aa3b, v8, -v9
	v_rndne_f32_e32 v11, v9
	s_delay_alu instid0(VALU_DEP_3) | instskip(NEXT) | instid1(VALU_DEP_2)
	v_mul_f32_e32 v12, 0x3fb8aa3b, v0
	v_dual_fmac_f32 v10, 0x32a5705f, v8 :: v_dual_sub_f32 v9, v9, v11
	v_cvt_i32_f32_e32 v11, v11
	s_delay_alu instid0(VALU_DEP_3) | instskip(SKIP_1) | instid1(VALU_DEP_4)
	v_fma_f32 v13, 0x3fb8aa3b, v0, -v12
	v_rndne_f32_e32 v14, v12
	v_add_f32_e32 v9, v9, v10
	v_cmp_ngt_f32_e32 vcc_lo, 0xc2ce8ed0, v8
	s_delay_alu instid0(VALU_DEP_3) | instskip(NEXT) | instid1(VALU_DEP_3)
	v_sub_f32_e32 v10, v12, v14
	v_exp_f32_e32 v9, v9
	s_waitcnt_depctr 0xfff
	v_ldexp_f32 v9, v9, v11
	v_cvt_i32_f32_e32 v11, v14
	s_delay_alu instid0(VALU_DEP_2) | instskip(SKIP_1) | instid1(VALU_DEP_2)
	v_cndmask_b32_e32 v9, 0, v9, vcc_lo
	v_cmp_nlt_f32_e32 vcc_lo, 0x42b17218, v8
	v_cndmask_b32_e32 v9, 0x7f800000, v9, vcc_lo
	v_cmp_ngt_f32_e32 vcc_lo, 0xc2ce8ed0, v0
	v_fmac_f32_e32 v13, 0x32a5705f, v0
	s_delay_alu instid0(VALU_DEP_1) | instskip(NEXT) | instid1(VALU_DEP_1)
	v_add_f32_e32 v10, v10, v13
	v_exp_f32_e32 v10, v10
	s_waitcnt_depctr 0xfff
	v_ldexp_f32 v10, v10, v11
	s_delay_alu instid0(VALU_DEP_1)
	v_dual_mov_b32 v11, v6 :: v_dual_cndmask_b32 v10, 0, v10
	v_cmp_le_f32_e32 vcc_lo, 0xc1a00000, v8
	s_waitcnt vmcnt(1)
	v_dual_cndmask_b32 v8, 0, v9 :: v_dual_mov_b32 v9, v5
	v_cmp_nlt_f32_e32 vcc_lo, 0x42b17218, v0
	v_cndmask_b32_e32 v5, 0x7f800000, v10, vcc_lo
	s_delay_alu instid0(VALU_DEP_3) | instskip(SKIP_2) | instid1(VALU_DEP_3)
	v_mul_f32_e32 v10, s11, v8
	v_cmp_le_f32_e32 vcc_lo, 0xc1a00000, v0
	v_mov_b32_e32 v0, v7
	v_mov_b32_e32 v6, v10
	s_waitcnt vmcnt(0)
	v_dual_cndmask_b32 v12, 0, v5 :: v_dual_mul_f32 v5, v4, v8
	s_delay_alu instid0(VALU_DEP_1) | instskip(NEXT) | instid1(VALU_DEP_2)
	v_dual_fmac_f32 v6, v11, v12 :: v_dual_add_nc_u32 v3, 0xfffff800, v3
	v_fmac_f32_e32 v5, v9, v12
	s_cbranch_scc0 .LBB41_3
	s_branch .LBB41_5
.LBB41_4:
	s_waitcnt lgkmcnt(0)
	v_mov_b32_e32 v6, s11
.LBB41_5:
	s_waitcnt vmcnt(0)
	s_delay_alu instid0(VALU_DEP_1) | instskip(NEXT) | instid1(VALU_DEP_1)
	v_div_scale_f32 v0, null, v6, v6, v5
	v_rcp_f32_e32 v3, v0
	s_waitcnt_depctr 0xfff
	v_fma_f32 v4, -v0, v3, 1.0
	s_delay_alu instid0(VALU_DEP_1) | instskip(SKIP_1) | instid1(VALU_DEP_1)
	v_fmac_f32_e32 v3, v4, v3
	v_div_scale_f32 v4, vcc_lo, v5, v6, v5
	v_mul_f32_e32 v7, v4, v3
	s_delay_alu instid0(VALU_DEP_1) | instskip(NEXT) | instid1(VALU_DEP_1)
	v_fma_f32 v8, -v0, v7, v4
	v_fmac_f32_e32 v7, v8, v3
	s_delay_alu instid0(VALU_DEP_1) | instskip(NEXT) | instid1(VALU_DEP_1)
	v_fma_f32 v0, -v0, v7, v4
	v_div_fmas_f32 v0, v0, v3, v7
	s_delay_alu instid0(VALU_DEP_1)
	v_div_fixup_f32 v0, v0, v6, v5
	global_store_b32 v[1:2], v0, off
.LBB41_6:
	s_nop 0
	s_sendmsg sendmsg(MSG_DEALLOC_VGPRS)
	s_endpgm
	.section	.rodata,"a",@progbits
	.p2align	6, 0x0
	.amdhsa_kernel _ZL33flash_attn_stream_k_fixup_uniformILi128ELi8ELi2EEvPfPK15HIP_vector_typeIfLj2EEiiiiiiS1_IjLj3EES5_S5_
		.amdhsa_group_segment_fixed_size 0
		.amdhsa_private_segment_fixed_size 0
		.amdhsa_kernarg_size 76
		.amdhsa_user_sgpr_count 13
		.amdhsa_user_sgpr_dispatch_ptr 0
		.amdhsa_user_sgpr_queue_ptr 0
		.amdhsa_user_sgpr_kernarg_segment_ptr 1
		.amdhsa_user_sgpr_dispatch_id 0
		.amdhsa_user_sgpr_private_segment_size 0
		.amdhsa_wavefront_size32 1
		.amdhsa_uses_dynamic_stack 0
		.amdhsa_enable_private_segment 0
		.amdhsa_system_sgpr_workgroup_id_x 1
		.amdhsa_system_sgpr_workgroup_id_y 1
		.amdhsa_system_sgpr_workgroup_id_z 1
		.amdhsa_system_sgpr_workgroup_info 0
		.amdhsa_system_vgpr_workitem_id 0
		.amdhsa_next_free_vgpr 15
		.amdhsa_next_free_sgpr 20
		.amdhsa_reserve_vcc 1
		.amdhsa_float_round_mode_32 0
		.amdhsa_float_round_mode_16_64 0
		.amdhsa_float_denorm_mode_32 3
		.amdhsa_float_denorm_mode_16_64 3
		.amdhsa_dx10_clamp 1
		.amdhsa_ieee_mode 1
		.amdhsa_fp16_overflow 0
		.amdhsa_workgroup_processor_mode 1
		.amdhsa_memory_ordered 1
		.amdhsa_forward_progress 0
		.amdhsa_shared_vgpr_count 0
		.amdhsa_exception_fp_ieee_invalid_op 0
		.amdhsa_exception_fp_denorm_src 0
		.amdhsa_exception_fp_ieee_div_zero 0
		.amdhsa_exception_fp_ieee_overflow 0
		.amdhsa_exception_fp_ieee_underflow 0
		.amdhsa_exception_fp_ieee_inexact 0
		.amdhsa_exception_int_div_zero 0
	.end_amdhsa_kernel
	.section	.text._ZL33flash_attn_stream_k_fixup_uniformILi128ELi8ELi2EEvPfPK15HIP_vector_typeIfLj2EEiiiiiiS1_IjLj3EES5_S5_,"axG",@progbits,_ZL33flash_attn_stream_k_fixup_uniformILi128ELi8ELi2EEvPfPK15HIP_vector_typeIfLj2EEiiiiiiS1_IjLj3EES5_S5_,comdat
.Lfunc_end41:
	.size	_ZL33flash_attn_stream_k_fixup_uniformILi128ELi8ELi2EEvPfPK15HIP_vector_typeIfLj2EEiiiiiiS1_IjLj3EES5_S5_, .Lfunc_end41-_ZL33flash_attn_stream_k_fixup_uniformILi128ELi8ELi2EEvPfPK15HIP_vector_typeIfLj2EEiiiiiiS1_IjLj3EES5_S5_
                                        ; -- End function
	.section	.AMDGPU.csdata,"",@progbits
; Kernel info:
; codeLenInByte = 996
; NumSgprs: 22
; NumVgprs: 15
; ScratchSize: 0
; MemoryBound: 0
; FloatMode: 240
; IeeeMode: 1
; LDSByteSize: 0 bytes/workgroup (compile time only)
; SGPRBlocks: 2
; VGPRBlocks: 1
; NumSGPRsForWavesPerEU: 22
; NumVGPRsForWavesPerEU: 15
; Occupancy: 16
; WaveLimiterHint : 0
; COMPUTE_PGM_RSRC2:SCRATCH_EN: 0
; COMPUTE_PGM_RSRC2:USER_SGPR: 13
; COMPUTE_PGM_RSRC2:TRAP_HANDLER: 0
; COMPUTE_PGM_RSRC2:TGID_X_EN: 1
; COMPUTE_PGM_RSRC2:TGID_Y_EN: 1
; COMPUTE_PGM_RSRC2:TGID_Z_EN: 1
; COMPUTE_PGM_RSRC2:TIDIG_COMP_CNT: 0
	.section	.text._ZL33flash_attn_stream_k_fixup_generalILi128ELi8ELi2EEvPfPK15HIP_vector_typeIfLj2EEiiiiS1_IjLj3EES5_S5_S5_,"axG",@progbits,_ZL33flash_attn_stream_k_fixup_generalILi128ELi8ELi2EEvPfPK15HIP_vector_typeIfLj2EEiiiiS1_IjLj3EES5_S5_S5_,comdat
	.globl	_ZL33flash_attn_stream_k_fixup_generalILi128ELi8ELi2EEvPfPK15HIP_vector_typeIfLj2EEiiiiS1_IjLj3EES5_S5_S5_ ; -- Begin function _ZL33flash_attn_stream_k_fixup_generalILi128ELi8ELi2EEvPfPK15HIP_vector_typeIfLj2EEiiiiS1_IjLj3EES5_S5_S5_
	.p2align	8
	.type	_ZL33flash_attn_stream_k_fixup_generalILi128ELi8ELi2EEvPfPK15HIP_vector_typeIfLj2EEiiiiS1_IjLj3EES5_S5_S5_,@function
_ZL33flash_attn_stream_k_fixup_generalILi128ELi8ELi2EEvPfPK15HIP_vector_typeIfLj2EEiiiiS1_IjLj3EES5_S5_S5_: ; @_ZL33flash_attn_stream_k_fixup_generalILi128ELi8ELi2EEvPfPK15HIP_vector_typeIfLj2EEiiiiS1_IjLj3EES5_S5_S5_
; %bb.0:
	s_clause 0x1
	s_load_b128 s[4:7], s[0:1], 0x10
	s_load_b32 s20, s[0:1], 0x50
	s_mov_b32 s2, 0
	s_waitcnt lgkmcnt(0)
	s_mul_hi_i32 s3, s7, s13
	s_mul_i32 s12, s7, s13
	s_cmp_lg_u64 s[2:3], 0
	s_cbranch_scc0 .LBB42_21
; %bb.1:
	v_cvt_f32_ubyte0_e32 v1, 0
	v_cvt_f32_u32_e32 v2, s20
	s_sub_u32 s10, 0, s20
	s_subb_u32 s11, 0, 0
	s_delay_alu instid0(VALU_DEP_1) | instskip(NEXT) | instid1(VALU_DEP_1)
	v_fmamk_f32 v1, v1, 0x4f800000, v2
	v_rcp_f32_e32 v1, v1
	s_waitcnt_depctr 0xfff
	v_mul_f32_e32 v1, 0x5f7ffffc, v1
	s_delay_alu instid0(VALU_DEP_1) | instskip(NEXT) | instid1(VALU_DEP_1)
	v_mul_f32_e32 v2, 0x2f800000, v1
	v_trunc_f32_e32 v2, v2
	s_delay_alu instid0(VALU_DEP_1) | instskip(SKIP_1) | instid1(VALU_DEP_2)
	v_fmamk_f32 v1, v2, 0xcf800000, v1
	v_cvt_u32_f32_e32 v2, v2
	v_cvt_u32_f32_e32 v1, v1
	s_delay_alu instid0(VALU_DEP_2) | instskip(NEXT) | instid1(VALU_DEP_2)
	v_readfirstlane_b32 s8, v2
	v_readfirstlane_b32 s9, v1
	s_delay_alu instid0(VALU_DEP_2) | instskip(NEXT) | instid1(VALU_DEP_1)
	s_mul_i32 s16, s10, s8
	s_mul_hi_u32 s18, s10, s9
	s_mul_i32 s17, s11, s9
	s_add_i32 s16, s18, s16
	s_mul_i32 s19, s10, s9
	s_add_i32 s16, s16, s17
	s_mul_hi_u32 s18, s9, s19
	s_mul_hi_u32 s21, s8, s19
	s_mul_i32 s17, s8, s19
	s_mul_hi_u32 s19, s9, s16
	s_mul_i32 s9, s9, s16
	s_mul_hi_u32 s22, s8, s16
	s_add_u32 s9, s18, s9
	s_addc_u32 s18, 0, s19
	s_add_u32 s9, s9, s17
	s_mul_i32 s16, s8, s16
	s_addc_u32 s9, s18, s21
	s_addc_u32 s17, s22, 0
	s_add_u32 s9, s9, s16
	s_addc_u32 s16, 0, s17
	v_add_co_u32 v1, s9, v1, s9
	s_delay_alu instid0(VALU_DEP_1) | instskip(SKIP_1) | instid1(VALU_DEP_1)
	s_cmp_lg_u32 s9, 0
	s_addc_u32 s8, s8, s16
	v_readfirstlane_b32 s9, v1
	s_mul_i32 s16, s10, s8
	s_delay_alu instid0(VALU_DEP_1)
	s_mul_hi_u32 s17, s10, s9
	s_mul_i32 s11, s11, s9
	s_add_i32 s16, s17, s16
	s_mul_i32 s10, s10, s9
	s_add_i32 s16, s16, s11
	s_mul_hi_u32 s17, s8, s10
	s_mul_i32 s18, s8, s10
	s_mul_hi_u32 s10, s9, s10
	s_mul_hi_u32 s19, s9, s16
	s_mul_i32 s9, s9, s16
	s_mul_hi_u32 s11, s8, s16
	s_add_u32 s9, s10, s9
	s_addc_u32 s10, 0, s19
	s_add_u32 s9, s9, s18
	s_mul_i32 s16, s8, s16
	s_addc_u32 s9, s10, s17
	s_addc_u32 s10, s11, 0
	s_add_u32 s9, s9, s16
	s_addc_u32 s10, 0, s10
	v_add_co_u32 v1, s9, v1, s9
	s_delay_alu instid0(VALU_DEP_1) | instskip(SKIP_2) | instid1(SALU_CYCLE_1)
	s_cmp_lg_u32 s9, 0
	s_addc_u32 s16, s8, s10
	s_ashr_i32 s8, s3, 31
	s_add_u32 s10, s12, s8
	s_addc_u32 s11, s3, s8
	v_readfirstlane_b32 s3, v1
	s_mov_b32 s9, s8
	s_delay_alu instid0(SALU_CYCLE_1) | instskip(NEXT) | instid1(SALU_CYCLE_1)
	s_xor_b64 s[10:11], s[10:11], s[8:9]
	s_mul_i32 s18, s10, s16
	s_delay_alu instid0(VALU_DEP_1)
	s_mul_hi_u32 s19, s10, s3
	s_mul_hi_u32 s17, s10, s16
	;; [unrolled: 1-line block ×3, first 2 shown]
	s_mul_i32 s3, s11, s3
	s_add_u32 s18, s19, s18
	s_addc_u32 s17, 0, s17
	s_mul_hi_u32 s21, s11, s16
	s_add_u32 s3, s18, s3
	s_mul_i32 s16, s11, s16
	s_addc_u32 s3, s17, s22
	s_addc_u32 s17, s21, 0
	s_add_u32 s3, s3, s16
	s_addc_u32 s16, 0, s17
	s_mul_i32 s18, s20, s3
	s_add_u32 s17, s3, 1
	v_sub_co_u32 v1, s10, s10, s18
	s_mul_hi_u32 s18, s20, s3
	s_addc_u32 s19, s16, 0
	s_mul_i32 s21, s20, s16
	s_delay_alu instid0(VALU_DEP_1)
	v_sub_co_u32 v2, s22, v1, s20
	s_add_u32 s23, s3, 2
	s_addc_u32 s24, s16, 0
	s_add_i32 s18, s18, s21
	s_cmp_lg_u32 s10, 0
	v_readfirstlane_b32 s10, v2
	s_subb_u32 s11, s11, s18
	s_cmp_lg_u32 s22, 0
	s_subb_u32 s18, s11, 0
	s_delay_alu instid0(VALU_DEP_1) | instskip(SKIP_4) | instid1(SALU_CYCLE_1)
	s_cmp_ge_u32 s10, s20
	s_cselect_b32 s10, -1, 0
	s_cmp_eq_u32 s18, 0
	v_readfirstlane_b32 s18, v1
	s_cselect_b32 s10, s10, -1
	s_cmp_lg_u32 s10, 0
	s_cselect_b32 s10, s23, s17
	s_cselect_b32 s17, s24, s19
	s_cmp_ge_u32 s18, s20
	s_cselect_b32 s18, -1, 0
	s_cmp_eq_u32 s11, 0
	s_cselect_b32 s11, s18, -1
	s_delay_alu instid0(SALU_CYCLE_1) | instskip(SKIP_2) | instid1(SALU_CYCLE_1)
	s_cmp_lg_u32 s11, 0
	s_cselect_b32 s11, s17, s16
	s_cselect_b32 s10, s10, s3
	s_xor_b64 s[10:11], s[10:11], s[8:9]
	s_delay_alu instid0(SALU_CYCLE_1)
	s_sub_u32 s16, s10, s8
	s_load_b128 s[8:11], s[0:1], 0x44
	s_and_not1_b32 vcc_lo, exec_lo, s2
	s_cbranch_vccnz .LBB42_3
.LBB42_2:
	v_cvt_f32_u32_e32 v1, s20
	s_sub_i32 s3, 0, s20
	s_delay_alu instid0(VALU_DEP_1) | instskip(SKIP_2) | instid1(VALU_DEP_1)
	v_rcp_iflag_f32_e32 v1, v1
	s_waitcnt_depctr 0xfff
	v_mul_f32_e32 v1, 0x4f7ffffe, v1
	v_cvt_u32_f32_e32 v1, v1
	s_delay_alu instid0(VALU_DEP_1) | instskip(NEXT) | instid1(VALU_DEP_1)
	v_readfirstlane_b32 s2, v1
	s_mul_i32 s3, s3, s2
	s_delay_alu instid0(SALU_CYCLE_1) | instskip(NEXT) | instid1(SALU_CYCLE_1)
	s_mul_hi_u32 s3, s2, s3
	s_add_i32 s2, s2, s3
	s_delay_alu instid0(SALU_CYCLE_1) | instskip(NEXT) | instid1(SALU_CYCLE_1)
	s_mul_hi_u32 s2, s12, s2
	s_mul_i32 s3, s2, s20
	s_waitcnt lgkmcnt(0)
	s_add_i32 s11, s2, 1
	s_sub_i32 s3, s12, s3
	s_delay_alu instid0(SALU_CYCLE_1)
	s_sub_i32 s12, s3, s20
	s_cmp_ge_u32 s3, s20
	s_cselect_b32 s2, s11, s2
	s_cselect_b32 s3, s12, s3
	s_add_i32 s11, s2, 1
	s_cmp_ge_u32 s3, s20
	s_cselect_b32 s16, s11, s2
.LBB42_3:
	s_waitcnt lgkmcnt(0)
	s_add_i32 s11, s13, 1
	s_mov_b32 s2, 0
	s_mul_hi_i32 s3, s7, s11
	s_mul_i32 s11, s7, s11
	s_cmp_lg_u64 s[2:3], 0
	s_cbranch_scc0 .LBB42_22
; %bb.4:
	v_cvt_f32_ubyte0_e32 v1, 0
	v_cvt_f32_u32_e32 v2, s20
	s_sub_u32 s18, 0, s20
	s_subb_u32 s19, 0, 0
	s_delay_alu instid0(VALU_DEP_1) | instskip(NEXT) | instid1(VALU_DEP_1)
	v_fmamk_f32 v1, v1, 0x4f800000, v2
	v_rcp_f32_e32 v1, v1
	s_waitcnt_depctr 0xfff
	v_mul_f32_e32 v1, 0x5f7ffffc, v1
	s_delay_alu instid0(VALU_DEP_1) | instskip(NEXT) | instid1(VALU_DEP_1)
	v_mul_f32_e32 v2, 0x2f800000, v1
	v_trunc_f32_e32 v2, v2
	s_delay_alu instid0(VALU_DEP_1) | instskip(SKIP_1) | instid1(VALU_DEP_2)
	v_fmamk_f32 v1, v2, 0xcf800000, v1
	v_cvt_u32_f32_e32 v2, v2
	v_cvt_u32_f32_e32 v1, v1
	s_delay_alu instid0(VALU_DEP_2) | instskip(NEXT) | instid1(VALU_DEP_2)
	v_readfirstlane_b32 s12, v2
	v_readfirstlane_b32 s17, v1
	s_delay_alu instid0(VALU_DEP_2) | instskip(NEXT) | instid1(VALU_DEP_1)
	s_mul_i32 s21, s18, s12
	s_mul_hi_u32 s23, s18, s17
	s_mul_i32 s22, s19, s17
	s_add_i32 s21, s23, s21
	s_mul_i32 s24, s18, s17
	s_add_i32 s21, s21, s22
	s_mul_hi_u32 s23, s17, s24
	s_mul_hi_u32 s25, s12, s24
	s_mul_i32 s22, s12, s24
	s_mul_hi_u32 s24, s17, s21
	s_mul_i32 s17, s17, s21
	s_mul_hi_u32 s26, s12, s21
	s_add_u32 s17, s23, s17
	s_addc_u32 s23, 0, s24
	s_add_u32 s17, s17, s22
	s_mul_i32 s21, s12, s21
	s_addc_u32 s17, s23, s25
	s_addc_u32 s22, s26, 0
	s_add_u32 s17, s17, s21
	s_addc_u32 s21, 0, s22
	v_add_co_u32 v1, s17, v1, s17
	s_delay_alu instid0(VALU_DEP_1) | instskip(SKIP_1) | instid1(VALU_DEP_1)
	s_cmp_lg_u32 s17, 0
	s_addc_u32 s12, s12, s21
	v_readfirstlane_b32 s17, v1
	s_mul_i32 s21, s18, s12
	s_delay_alu instid0(VALU_DEP_1)
	s_mul_hi_u32 s22, s18, s17
	s_mul_i32 s19, s19, s17
	s_add_i32 s21, s22, s21
	s_mul_i32 s18, s18, s17
	s_add_i32 s21, s21, s19
	s_mul_hi_u32 s22, s12, s18
	s_mul_i32 s23, s12, s18
	s_mul_hi_u32 s18, s17, s18
	s_mul_hi_u32 s24, s17, s21
	s_mul_i32 s17, s17, s21
	s_mul_hi_u32 s19, s12, s21
	s_add_u32 s17, s18, s17
	s_addc_u32 s18, 0, s24
	s_add_u32 s17, s17, s23
	s_mul_i32 s21, s12, s21
	s_addc_u32 s17, s18, s22
	s_addc_u32 s18, s19, 0
	s_add_u32 s17, s17, s21
	s_addc_u32 s18, 0, s18
	v_add_co_u32 v1, s17, v1, s17
	s_delay_alu instid0(VALU_DEP_1) | instskip(SKIP_2) | instid1(SALU_CYCLE_1)
	s_cmp_lg_u32 s17, 0
	s_addc_u32 s12, s12, s18
	s_ashr_i32 s18, s3, 31
	s_add_u32 s22, s11, s18
	s_addc_u32 s23, s3, s18
	v_readfirstlane_b32 s3, v1
	s_mov_b32 s19, s18
	s_delay_alu instid0(SALU_CYCLE_1) | instskip(NEXT) | instid1(SALU_CYCLE_1)
	s_xor_b64 s[22:23], s[22:23], s[18:19]
	s_mul_i32 s21, s22, s12
	s_delay_alu instid0(VALU_DEP_1)
	s_mul_hi_u32 s24, s22, s3
	s_mul_hi_u32 s17, s22, s12
	;; [unrolled: 1-line block ×3, first 2 shown]
	s_mul_i32 s3, s23, s3
	s_add_u32 s21, s24, s21
	s_addc_u32 s17, 0, s17
	s_mul_hi_u32 s25, s23, s12
	s_add_u32 s3, s21, s3
	s_mul_i32 s12, s23, s12
	s_addc_u32 s3, s17, s26
	s_addc_u32 s17, s25, 0
	s_add_u32 s3, s3, s12
	s_addc_u32 s12, 0, s17
	s_mul_i32 s21, s20, s3
	s_add_u32 s17, s3, 1
	v_sub_co_u32 v1, s21, s22, s21
	s_mul_hi_u32 s22, s20, s3
	s_addc_u32 s24, s12, 0
	s_mul_i32 s25, s20, s12
	s_delay_alu instid0(VALU_DEP_1)
	v_sub_co_u32 v2, s26, v1, s20
	s_add_u32 s27, s3, 2
	s_addc_u32 s28, s12, 0
	s_add_i32 s22, s22, s25
	s_cmp_lg_u32 s21, 0
	v_readfirstlane_b32 s21, v2
	s_subb_u32 s22, s23, s22
	s_cmp_lg_u32 s26, 0
	s_subb_u32 s23, s22, 0
	s_delay_alu instid0(VALU_DEP_1) | instskip(SKIP_4) | instid1(SALU_CYCLE_1)
	s_cmp_ge_u32 s21, s20
	s_cselect_b32 s21, -1, 0
	s_cmp_eq_u32 s23, 0
	v_readfirstlane_b32 s23, v1
	s_cselect_b32 s21, s21, -1
	s_cmp_lg_u32 s21, 0
	s_cselect_b32 s17, s27, s17
	s_cselect_b32 s21, s28, s24
	s_cmp_ge_u32 s23, s20
	s_cselect_b32 s23, -1, 0
	s_cmp_eq_u32 s22, 0
	s_cselect_b32 s22, s23, -1
	s_delay_alu instid0(SALU_CYCLE_1) | instskip(SKIP_2) | instid1(SALU_CYCLE_1)
	s_cmp_lg_u32 s22, 0
	s_cselect_b32 s23, s21, s12
	s_cselect_b32 s22, s17, s3
	s_xor_b64 s[22:23], s[22:23], s[18:19]
	s_delay_alu instid0(SALU_CYCLE_1)
	s_sub_u32 s18, s22, s18
	s_and_not1_b32 vcc_lo, exec_lo, s2
	s_cbranch_vccnz .LBB42_6
.LBB42_5:
	v_cvt_f32_u32_e32 v1, s20
	s_sub_i32 s3, 0, s20
	s_delay_alu instid0(VALU_DEP_1) | instskip(SKIP_2) | instid1(VALU_DEP_1)
	v_rcp_iflag_f32_e32 v1, v1
	s_waitcnt_depctr 0xfff
	v_mul_f32_e32 v1, 0x4f7ffffe, v1
	v_cvt_u32_f32_e32 v1, v1
	s_delay_alu instid0(VALU_DEP_1) | instskip(NEXT) | instid1(VALU_DEP_1)
	v_readfirstlane_b32 s2, v1
	s_mul_i32 s3, s3, s2
	s_delay_alu instid0(SALU_CYCLE_1) | instskip(NEXT) | instid1(SALU_CYCLE_1)
	s_mul_hi_u32 s3, s2, s3
	s_add_i32 s2, s2, s3
	s_delay_alu instid0(SALU_CYCLE_1) | instskip(NEXT) | instid1(SALU_CYCLE_1)
	s_mul_hi_u32 s2, s11, s2
	s_mul_i32 s3, s2, s20
	s_delay_alu instid0(SALU_CYCLE_1)
	s_sub_i32 s3, s11, s3
	s_add_i32 s11, s2, 1
	s_sub_i32 s12, s3, s20
	s_cmp_ge_u32 s3, s20
	s_cselect_b32 s2, s11, s2
	s_cselect_b32 s3, s12, s3
	s_add_i32 s11, s2, 1
	s_cmp_ge_u32 s3, s20
	s_cselect_b32 s18, s11, s2
.LBB42_6:
	s_delay_alu instid0(SALU_CYCLE_1) | instskip(SKIP_3) | instid1(SALU_CYCLE_1)
	s_cmp_eq_u32 s16, s18
	s_mul_hi_u32 s2, s16, s8
	s_cselect_b32 s3, -1, 0
	s_add_i32 s2, s2, s16
	s_lshr_b32 s11, s2, s9
	s_delay_alu instid0(SALU_CYCLE_1) | instskip(NEXT) | instid1(SALU_CYCLE_1)
	s_mul_i32 s2, s11, s10
	s_cmp_eq_u32 s2, s16
	s_mul_hi_u32 s2, s18, s8
	s_cselect_b32 s12, -1, 0
	s_add_i32 s2, s2, s18
	s_delay_alu instid0(SALU_CYCLE_1) | instskip(NEXT) | instid1(SALU_CYCLE_1)
	s_lshr_b32 s2, s2, s9
	s_cmp_eq_u32 s11, s2
	s_mul_i32 s2, s2, s10
	s_cselect_b32 s17, -1, 0
	s_cmp_lg_u32 s2, s18
	s_cselect_b32 s2, -1, 0
	s_or_b32 s3, s3, s12
	s_and_b32 s2, s17, s2
	s_delay_alu instid0(SALU_CYCLE_1) | instskip(NEXT) | instid1(SALU_CYCLE_1)
	s_or_b32 s2, s3, s2
	s_and_b32 vcc_lo, exec_lo, s2
	s_cbranch_vccnz .LBB42_24
; %bb.7:
	s_load_b256 s[24:31], s[0:1], 0x20
	s_waitcnt lgkmcnt(0)
	s_mul_hi_u32 s2, s16, s24
	s_delay_alu instid0(SALU_CYCLE_1) | instskip(NEXT) | instid1(SALU_CYCLE_1)
	s_add_i32 s2, s2, s16
	s_lshr_b32 s17, s2, s25
	s_load_b32 s2, s[0:1], 0x40
	s_mul_i32 s3, s17, s26
	s_delay_alu instid0(SALU_CYCLE_1) | instskip(NEXT) | instid1(SALU_CYCLE_1)
	s_sub_i32 s3, s16, s3
	s_mul_hi_u32 s12, s3, s27
	s_delay_alu instid0(SALU_CYCLE_1) | instskip(NEXT) | instid1(SALU_CYCLE_1)
	s_add_i32 s12, s3, s12
	s_lshr_b32 s21, s12, s28
	s_delay_alu instid0(SALU_CYCLE_1) | instskip(NEXT) | instid1(SALU_CYCLE_1)
	s_mul_i32 s12, s21, s29
	s_sub_i32 s3, s3, s12
	s_delay_alu instid0(SALU_CYCLE_1) | instskip(NEXT) | instid1(SALU_CYCLE_1)
	s_mul_hi_u32 s12, s3, s30
	s_add_i32 s12, s3, s12
	s_delay_alu instid0(SALU_CYCLE_1)
	s_lshr_b32 s12, s12, s31
	s_waitcnt lgkmcnt(0)
	s_mul_i32 s2, s12, s2
	s_lshl_b32 s23, s12, 1
	s_sub_i32 s2, s3, s2
	s_mov_b32 s12, 0
	s_mul_hi_u32 s3, s2, s8
	s_delay_alu instid0(SALU_CYCLE_1) | instskip(NEXT) | instid1(SALU_CYCLE_1)
	s_add_i32 s2, s2, s3
	s_lshr_b32 s22, s2, s9
	s_delay_alu instid0(SALU_CYCLE_1) | instskip(NEXT) | instid1(SALU_CYCLE_1)
	s_lshl_b32 s2, s22, 3
	s_add_i32 s2, s2, s14
	s_delay_alu instid0(SALU_CYCLE_1) | instskip(SKIP_2) | instid1(SALU_CYCLE_1)
	s_cmp_lt_i32 s2, s4
	s_cselect_b32 s2, -1, 0
	s_add_i32 s3, s23, s15
	s_cmp_lt_i32 s3, s6
	s_cselect_b32 s3, -1, 0
	s_delay_alu instid0(SALU_CYCLE_1) | instskip(NEXT) | instid1(SALU_CYCLE_1)
	s_and_b32 s2, s2, s3
	s_and_not1_b32 vcc_lo, exec_lo, s2
	s_cbranch_vccnz .LBB42_24
; %bb.8:
	s_load_b128 s[0:3], s[0:1], 0x0
	s_lshl_b32 s18, s20, 6
	s_mov_b32 s19, s12
	s_lshl_b32 s24, s14, 1
	s_lshl_b64 s[18:19], s[18:19], 2
	s_mul_i32 s4, s17, s4
	s_add_i32 s17, s24, s15
	s_mul_i32 s21, s21, s6
	v_cvt_f32_ubyte0_e32 v4, 0
	v_cvt_f32_u32_e32 v5, s20
	s_waitcnt lgkmcnt(0)
	s_add_u32 s18, s2, s18
	s_addc_u32 s19, s3, s19
	s_add_i32 s4, s4, s14
	s_delay_alu instid0(SALU_CYCLE_1) | instskip(SKIP_4) | instid1(SALU_CYCLE_1)
	s_mul_i32 s4, s4, s5
	s_mul_i32 s5, s5, s22
	s_add_i32 s4, s4, s15
	s_lshl_b32 s5, s5, 10
	s_add_i32 s4, s4, s21
	s_add_i32 s4, s4, s23
	s_delay_alu instid0(SALU_CYCLE_1) | instskip(NEXT) | instid1(SALU_CYCLE_1)
	s_lshl_b32 s4, s4, 7
	s_add_i32 s5, s5, s4
	s_delay_alu instid0(SALU_CYCLE_1) | instskip(SKIP_1) | instid1(VALU_DEP_2)
	v_or_b32_e32 v1, s5, v0
	v_lshl_or_b32 v0, s17, 7, v0
	v_ashrrev_i32_e32 v2, 31, v1
	s_delay_alu instid0(VALU_DEP_1) | instskip(NEXT) | instid1(VALU_DEP_1)
	v_lshlrev_b64 v[1:2], 2, v[1:2]
	v_add_co_u32 v1, vcc_lo, s0, v1
	s_delay_alu instid0(VALU_DEP_2) | instskip(SKIP_1) | instid1(SALU_CYCLE_1)
	v_add_co_ci_u32_e32 v2, vcc_lo, s1, v2, vcc_lo
	s_lshl_b32 s0, s13, 4
	s_add_i32 s0, s17, s0
	global_load_b32 v3, v[1:2], off
	s_ashr_i32 s1, s0, 31
	s_delay_alu instid0(SALU_CYCLE_1) | instskip(NEXT) | instid1(SALU_CYCLE_1)
	s_lshl_b64 s[0:1], s[0:1], 3
	s_add_u32 s0, s2, s0
	s_addc_u32 s1, s3, s1
	s_add_i32 s14, s13, -1
	s_load_b64 s[0:1], s[0:1], 0x0
	v_fmac_f32_e32 v5, 0x4f800000, v4
	s_sub_i32 s6, 0, s20
	s_waitcnt lgkmcnt(0)
	v_mov_b32_e32 v8, s0
	s_delay_alu instid0(VALU_DEP_2) | instskip(SKIP_2) | instid1(VALU_DEP_2)
	v_rcp_f32_e32 v4, v5
	v_cvt_f32_u32_e32 v5, s20
	v_mov_b32_e32 v7, s1
	v_rcp_iflag_f32_e32 v5, v5
	s_waitcnt_depctr 0xfff
	v_mul_f32_e32 v4, 0x5f7ffffc, v4
	s_delay_alu instid0(VALU_DEP_1) | instskip(SKIP_1) | instid1(VALU_DEP_2)
	v_mul_f32_e32 v6, 0x2f800000, v4
	v_mul_f32_e32 v9, 0x4f7ffffe, v5
	v_trunc_f32_e32 v6, v6
	s_delay_alu instid0(VALU_DEP_1) | instskip(SKIP_1) | instid1(VALU_DEP_4)
	v_fmac_f32_e32 v4, 0xcf800000, v6
	v_cvt_u32_f32_e32 v5, v6
	v_cvt_u32_f32_e32 v6, v9
	s_delay_alu instid0(VALU_DEP_3)
	v_cvt_u32_f32_e32 v4, v4
.LBB42_9:                               ; =>This Inner Loop Header: Depth=1
	s_mul_hi_i32 s13, s14, s7
	s_mul_i32 s4, s14, s7
	s_cmp_lg_u64 s[12:13], 0
	s_mov_b32 s5, -1
                                        ; implicit-def: $sgpr0_sgpr1
	s_cbranch_scc0 .LBB42_11
; %bb.10:                               ;   in Loop: Header=BB42_9 Depth=1
	v_readfirstlane_b32 s0, v4
	v_readfirstlane_b32 s1, v5
	s_sub_u32 s5, 0, s20
	s_subb_u32 s15, 0, 0
	s_delay_alu instid0(VALU_DEP_2) | instskip(NEXT) | instid1(VALU_DEP_1)
	s_mul_hi_u32 s21, s5, s0
	s_mul_i32 s22, s5, s1
	s_mul_i32 s23, s15, s0
	s_add_i32 s21, s21, s22
	s_mul_i32 s22, s5, s0
	s_add_i32 s21, s21, s23
	s_mul_hi_u32 s23, s0, s22
	s_mul_i32 s24, s0, s21
	s_mul_hi_u32 s0, s0, s21
	s_add_u32 s23, s23, s24
	s_mul_i32 s25, s1, s22
	s_addc_u32 s0, 0, s0
	s_mul_hi_u32 s22, s1, s22
	s_mul_hi_u32 s24, s1, s21
	s_add_u32 s23, s23, s25
	s_addc_u32 s0, s0, s22
	s_mul_i32 s21, s1, s21
	s_addc_u32 s22, s24, 0
	s_add_u32 s0, s0, s21
	s_addc_u32 s21, 0, s22
	v_add_co_u32 v9, s0, v4, s0
	s_delay_alu instid0(VALU_DEP_1) | instskip(SKIP_1) | instid1(VALU_DEP_1)
	s_cmp_lg_u32 s0, 0
	s_addc_u32 s1, s1, s21
	v_readfirstlane_b32 s0, v9
	s_mul_i32 s21, s5, s1
	s_delay_alu instid0(VALU_DEP_1)
	s_mul_hi_u32 s22, s5, s0
	s_mul_i32 s15, s15, s0
	s_add_i32 s21, s22, s21
	s_mul_i32 s5, s5, s0
	s_add_i32 s21, s21, s15
	s_mul_hi_u32 s15, s1, s5
	s_mul_i32 s23, s1, s5
	s_mul_i32 s24, s0, s21
	s_mul_hi_u32 s5, s0, s5
	s_mul_hi_u32 s0, s0, s21
	s_add_u32 s5, s5, s24
	s_addc_u32 s0, 0, s0
	s_mul_hi_u32 s22, s1, s21
	s_add_u32 s5, s5, s23
	s_addc_u32 s0, s0, s15
	s_mul_i32 s5, s1, s21
	s_addc_u32 s15, s22, 0
	s_add_u32 s0, s0, s5
	s_addc_u32 s5, 0, s15
	v_add_co_u32 v9, s0, v9, s0
	s_delay_alu instid0(VALU_DEP_1) | instskip(SKIP_2) | instid1(SALU_CYCLE_1)
	s_cmp_lg_u32 s0, 0
	s_addc_u32 s5, s1, s5
	s_ashr_i32 s0, s13, 31
	s_add_u32 s22, s4, s0
	s_addc_u32 s23, s13, s0
	v_readfirstlane_b32 s13, v9
	s_mov_b32 s1, s0
	s_delay_alu instid0(SALU_CYCLE_1) | instskip(NEXT) | instid1(SALU_CYCLE_1)
	s_xor_b64 s[22:23], s[22:23], s[0:1]
	s_mul_i32 s15, s22, s5
	s_delay_alu instid0(VALU_DEP_1)
	s_mul_hi_u32 s21, s22, s13
	s_mul_hi_u32 s24, s22, s5
	s_add_u32 s15, s21, s15
	s_mul_i32 s25, s23, s13
	s_addc_u32 s21, 0, s24
	s_mul_hi_u32 s13, s23, s13
	s_mul_hi_u32 s24, s23, s5
	s_add_u32 s15, s15, s25
	s_addc_u32 s13, s21, s13
	s_mul_i32 s5, s23, s5
	s_addc_u32 s15, s24, 0
	s_add_u32 s5, s13, s5
	s_addc_u32 s13, 0, s15
	s_mul_i32 s21, s20, s5
	s_add_u32 s15, s5, 1
	v_sub_co_u32 v9, s21, s22, s21
	s_addc_u32 s22, s13, 0
	s_mul_i32 s25, s20, s13
	s_mul_hi_u32 s27, s20, s5
	s_delay_alu instid0(VALU_DEP_1)
	v_sub_co_u32 v10, s26, v9, s20
	s_add_u32 s24, s5, 2
	s_addc_u32 s28, s13, 0
	s_add_i32 s27, s27, s25
	s_cmp_lg_u32 s21, 0
	v_readfirstlane_b32 s21, v10
	s_subb_u32 s23, s23, s27
	s_cmp_lg_u32 s26, 0
	s_subb_u32 s25, s23, 0
	s_delay_alu instid0(VALU_DEP_1) | instskip(SKIP_4) | instid1(SALU_CYCLE_1)
	s_cmp_ge_u32 s21, s20
	s_cselect_b32 s21, -1, 0
	s_cmp_eq_u32 s25, 0
	v_readfirstlane_b32 s25, v9
	s_cselect_b32 s21, s21, -1
	s_cmp_lg_u32 s21, 0
	s_cselect_b32 s15, s24, s15
	s_cselect_b32 s21, s28, s22
	s_cmp_ge_u32 s25, s20
	s_cselect_b32 s22, -1, 0
	s_cmp_eq_u32 s23, 0
	s_cselect_b32 s22, s22, -1
	s_delay_alu instid0(SALU_CYCLE_1) | instskip(SKIP_4) | instid1(SALU_CYCLE_1)
	s_cmp_lg_u32 s22, 0
	s_cselect_b32 s23, s21, s13
	s_cselect_b32 s22, s15, s5
	s_mov_b32 s5, 0
	s_xor_b64 s[22:23], s[22:23], s[0:1]
	s_sub_u32 s0, s22, s0
.LBB42_11:                              ;   in Loop: Header=BB42_9 Depth=1
	s_and_not1_b32 vcc_lo, exec_lo, s5
	s_cbranch_vccnz .LBB42_13
; %bb.12:                               ;   in Loop: Header=BB42_9 Depth=1
	v_readfirstlane_b32 s0, v6
	s_delay_alu instid0(VALU_DEP_1) | instskip(NEXT) | instid1(SALU_CYCLE_1)
	s_mul_i32 s1, s6, s0
	s_mul_hi_u32 s1, s0, s1
	s_delay_alu instid0(SALU_CYCLE_1) | instskip(NEXT) | instid1(SALU_CYCLE_1)
	s_add_i32 s0, s0, s1
	s_mul_hi_u32 s0, s4, s0
	s_delay_alu instid0(SALU_CYCLE_1) | instskip(NEXT) | instid1(SALU_CYCLE_1)
	s_mul_i32 s1, s0, s20
	s_sub_i32 s1, s4, s1
	s_add_i32 s4, s0, 1
	s_sub_i32 s5, s1, s20
	s_cmp_ge_u32 s1, s20
	s_cselect_b32 s0, s4, s0
	s_cselect_b32 s1, s5, s1
	s_add_i32 s4, s0, 1
	s_cmp_ge_u32 s1, s20
	s_cselect_b32 s0, s4, s0
.LBB42_13:                              ;   in Loop: Header=BB42_9 Depth=1
	s_delay_alu instid0(SALU_CYCLE_1)
	s_cmp_lg_u32 s16, s0
	s_cbranch_scc0 .LBB42_17
; %bb.14:                               ;   in Loop: Header=BB42_9 Depth=1
	s_add_i32 s1, s14, s20
	s_mov_b32 s5, s12
	s_lshl_b32 s1, s1, 4
	s_mov_b32 s15, s16
	s_add_i32 s4, s1, s17
	s_mul_hi_u32 s1, s0, s8
	s_lshl_b64 s[4:5], s[4:5], 3
	s_delay_alu instid0(SALU_CYCLE_1) | instskip(SKIP_2) | instid1(SALU_CYCLE_1)
	s_add_u32 s4, s2, s4
	s_addc_u32 s5, s3, s5
	s_add_i32 s1, s1, s0
	s_lshr_b32 s1, s1, s9
	s_delay_alu instid0(SALU_CYCLE_1) | instskip(NEXT) | instid1(SALU_CYCLE_1)
	s_mul_i32 s13, s1, s10
	s_cmp_eq_u32 s13, s0
	s_cselect_b32 s13, -1, 0
	s_cmp_lt_u32 s1, s11
	s_cselect_b32 s1, -1, 0
	s_delay_alu instid0(SALU_CYCLE_1)
	s_or_b32 s1, s1, s13
	s_mov_b32 s13, -1
	s_and_b32 vcc_lo, exec_lo, s1
	s_mov_b32 s1, s14
	s_cbranch_vccnz .LBB42_16
; %bb.15:                               ;   in Loop: Header=BB42_9 Depth=1
	s_add_i32 s1, s14, -1
	s_mov_b32 s13, 0
	s_mov_b32 s15, s0
.LBB42_16:                              ;   in Loop: Header=BB42_9 Depth=1
	v_lshl_add_u32 v9, s14, 11, v0
	s_load_b64 s[4:5], s[4:5], 0x0
	s_delay_alu instid0(VALU_DEP_1) | instskip(NEXT) | instid1(VALU_DEP_1)
	v_ashrrev_i32_e32 v10, 31, v9
	v_lshlrev_b64 v[9:10], 2, v[9:10]
	s_delay_alu instid0(VALU_DEP_1) | instskip(NEXT) | instid1(VALU_DEP_2)
	v_add_co_u32 v9, vcc_lo, s18, v9
	v_add_co_ci_u32_e32 v10, vcc_lo, s19, v10, vcc_lo
	s_waitcnt lgkmcnt(0)
	v_max_f32_e64 v11, s4, s4
	global_load_b32 v10, v[9:10], off
	v_max_f32_e32 v9, v8, v8
	s_delay_alu instid0(VALU_DEP_1) | instskip(NEXT) | instid1(VALU_DEP_1)
	v_max_f32_e32 v9, v9, v11
	v_sub_f32_e32 v12, v8, v9
	s_delay_alu instid0(VALU_DEP_1) | instskip(NEXT) | instid1(VALU_DEP_1)
	v_dual_mul_f32 v14, 0x3fb8aa3b, v12 :: v_dual_sub_f32 v11, s4, v9
	v_rndne_f32_e32 v18, v14
	s_delay_alu instid0(VALU_DEP_2) | instskip(SKIP_2) | instid1(VALU_DEP_4)
	v_mul_f32_e32 v13, 0x3fb8aa3b, v11
	v_fma_f32 v17, 0x3fb8aa3b, v12, -v14
	v_cmp_ngt_f32_e32 vcc_lo, 0xc2ce8ed0, v11
	v_sub_f32_e32 v14, v14, v18
	s_delay_alu instid0(VALU_DEP_4) | instskip(SKIP_2) | instid1(VALU_DEP_3)
	v_fma_f32 v15, 0x3fb8aa3b, v11, -v13
	v_rndne_f32_e32 v16, v13
	v_fmac_f32_e32 v17, 0x32a5705f, v12
	v_fmac_f32_e32 v15, 0x32a5705f, v11
	s_delay_alu instid0(VALU_DEP_2) | instskip(NEXT) | instid1(VALU_DEP_1)
	v_dual_sub_f32 v13, v13, v16 :: v_dual_add_f32 v14, v14, v17
	v_add_f32_e32 v13, v13, v15
	s_delay_alu instid0(VALU_DEP_2) | instskip(SKIP_2) | instid1(VALU_DEP_3)
	v_exp_f32_e32 v14, v14
	v_cvt_i32_f32_e32 v15, v16
	v_cvt_i32_f32_e32 v16, v18
	v_exp_f32_e32 v13, v13
	s_waitcnt_depctr 0xfff
	v_ldexp_f32 v14, v14, v16
	v_ldexp_f32 v13, v13, v15
	s_delay_alu instid0(VALU_DEP_1) | instskip(SKIP_1) | instid1(VALU_DEP_4)
	v_cndmask_b32_e32 v13, 0, v13, vcc_lo
	v_cmp_ngt_f32_e32 vcc_lo, 0xc2ce8ed0, v12
	v_cndmask_b32_e32 v14, 0, v14, vcc_lo
	v_cmp_nlt_f32_e32 vcc_lo, 0x42b17218, v11
	s_delay_alu instid0(VALU_DEP_4) | instskip(SKIP_1) | instid1(VALU_DEP_4)
	v_cndmask_b32_e32 v13, 0x7f800000, v13, vcc_lo
	v_cmp_nlt_f32_e32 vcc_lo, 0x42b17218, v12
	v_cndmask_b32_e32 v14, 0x7f800000, v14, vcc_lo
	v_cmp_le_f32_e32 vcc_lo, 0xc1a00000, v11
	s_delay_alu instid0(VALU_DEP_4) | instskip(SKIP_1) | instid1(VALU_DEP_4)
	v_cndmask_b32_e32 v11, 0, v13, vcc_lo
	v_cmp_le_f32_e32 vcc_lo, 0xc1a00000, v12
	v_cndmask_b32_e32 v12, 0, v14, vcc_lo
	s_waitcnt vmcnt(0)
	s_delay_alu instid0(VALU_DEP_3) | instskip(NEXT) | instid1(VALU_DEP_1)
	v_mul_f32_e32 v10, v10, v11
	v_dual_mul_f32 v11, s5, v11 :: v_dual_fmac_f32 v10, v3, v12
	s_delay_alu instid0(VALU_DEP_1)
	v_fmac_f32_e32 v11, v7, v12
	s_cbranch_execz .LBB42_18
	s_branch .LBB42_19
.LBB42_17:                              ;   in Loop: Header=BB42_9 Depth=1
                                        ; implicit-def: $sgpr13
                                        ; implicit-def: $vgpr10
                                        ; implicit-def: $vgpr9
                                        ; implicit-def: $vgpr11
                                        ; implicit-def: $sgpr1
                                        ; implicit-def: $sgpr15
.LBB42_18:                              ;   in Loop: Header=BB42_9 Depth=1
	v_mov_b32_e32 v11, v7
	s_waitcnt vmcnt(0)
	v_dual_mov_b32 v9, v8 :: v_dual_mov_b32 v10, v3
	s_add_i32 s1, s14, -1
	s_mov_b32 s13, 0
	s_mov_b32 s15, s16
.LBB42_19:                              ;   in Loop: Header=BB42_9 Depth=1
	s_and_not1_b32 vcc_lo, exec_lo, s13
	s_cbranch_vccz .LBB42_23
; %bb.20:                               ;   in Loop: Header=BB42_9 Depth=1
	v_dual_mov_b32 v7, v11 :: v_dual_mov_b32 v8, v9
	s_waitcnt vmcnt(0)
	v_mov_b32_e32 v3, v10
	s_mov_b32 s16, s15
	s_mov_b32 s14, s1
	s_branch .LBB42_9
.LBB42_21:
                                        ; implicit-def: $sgpr16_sgpr17
	s_load_b128 s[8:11], s[0:1], 0x44
	s_branch .LBB42_2
.LBB42_22:
                                        ; implicit-def: $sgpr18_sgpr19
	s_branch .LBB42_5
.LBB42_23:
	v_div_scale_f32 v0, null, v11, v11, v10
	s_waitcnt vmcnt(0)
	s_delay_alu instid0(VALU_DEP_1) | instskip(SKIP_2) | instid1(VALU_DEP_1)
	v_rcp_f32_e32 v3, v0
	s_waitcnt_depctr 0xfff
	v_fma_f32 v4, -v0, v3, 1.0
	v_fmac_f32_e32 v3, v4, v3
	v_div_scale_f32 v4, vcc_lo, v10, v11, v10
	s_delay_alu instid0(VALU_DEP_1) | instskip(NEXT) | instid1(VALU_DEP_1)
	v_mul_f32_e32 v5, v4, v3
	v_fma_f32 v6, -v0, v5, v4
	s_delay_alu instid0(VALU_DEP_1) | instskip(NEXT) | instid1(VALU_DEP_1)
	v_fmac_f32_e32 v5, v6, v3
	v_fma_f32 v0, -v0, v5, v4
	s_delay_alu instid0(VALU_DEP_1) | instskip(NEXT) | instid1(VALU_DEP_1)
	v_div_fmas_f32 v0, v0, v3, v5
	v_div_fixup_f32 v0, v0, v11, v10
	global_store_b32 v[1:2], v0, off
.LBB42_24:
	s_nop 0
	s_sendmsg sendmsg(MSG_DEALLOC_VGPRS)
	s_endpgm
	.section	.rodata,"a",@progbits
	.p2align	6, 0x0
	.amdhsa_kernel _ZL33flash_attn_stream_k_fixup_generalILi128ELi8ELi2EEvPfPK15HIP_vector_typeIfLj2EEiiiiS1_IjLj3EES5_S5_S5_
		.amdhsa_group_segment_fixed_size 0
		.amdhsa_private_segment_fixed_size 0
		.amdhsa_kernarg_size 336
		.amdhsa_user_sgpr_count 13
		.amdhsa_user_sgpr_dispatch_ptr 0
		.amdhsa_user_sgpr_queue_ptr 0
		.amdhsa_user_sgpr_kernarg_segment_ptr 1
		.amdhsa_user_sgpr_dispatch_id 0
		.amdhsa_user_sgpr_private_segment_size 0
		.amdhsa_wavefront_size32 1
		.amdhsa_uses_dynamic_stack 0
		.amdhsa_enable_private_segment 0
		.amdhsa_system_sgpr_workgroup_id_x 1
		.amdhsa_system_sgpr_workgroup_id_y 1
		.amdhsa_system_sgpr_workgroup_id_z 1
		.amdhsa_system_sgpr_workgroup_info 0
		.amdhsa_system_vgpr_workitem_id 0
		.amdhsa_next_free_vgpr 19
		.amdhsa_next_free_sgpr 32
		.amdhsa_reserve_vcc 1
		.amdhsa_float_round_mode_32 0
		.amdhsa_float_round_mode_16_64 0
		.amdhsa_float_denorm_mode_32 3
		.amdhsa_float_denorm_mode_16_64 3
		.amdhsa_dx10_clamp 1
		.amdhsa_ieee_mode 1
		.amdhsa_fp16_overflow 0
		.amdhsa_workgroup_processor_mode 1
		.amdhsa_memory_ordered 1
		.amdhsa_forward_progress 0
		.amdhsa_shared_vgpr_count 0
		.amdhsa_exception_fp_ieee_invalid_op 0
		.amdhsa_exception_fp_denorm_src 0
		.amdhsa_exception_fp_ieee_div_zero 0
		.amdhsa_exception_fp_ieee_overflow 0
		.amdhsa_exception_fp_ieee_underflow 0
		.amdhsa_exception_fp_ieee_inexact 0
		.amdhsa_exception_int_div_zero 0
	.end_amdhsa_kernel
	.section	.text._ZL33flash_attn_stream_k_fixup_generalILi128ELi8ELi2EEvPfPK15HIP_vector_typeIfLj2EEiiiiS1_IjLj3EES5_S5_S5_,"axG",@progbits,_ZL33flash_attn_stream_k_fixup_generalILi128ELi8ELi2EEvPfPK15HIP_vector_typeIfLj2EEiiiiS1_IjLj3EES5_S5_S5_,comdat
.Lfunc_end42:
	.size	_ZL33flash_attn_stream_k_fixup_generalILi128ELi8ELi2EEvPfPK15HIP_vector_typeIfLj2EEiiiiS1_IjLj3EES5_S5_S5_, .Lfunc_end42-_ZL33flash_attn_stream_k_fixup_generalILi128ELi8ELi2EEvPfPK15HIP_vector_typeIfLj2EEiiiiS1_IjLj3EES5_S5_S5_
                                        ; -- End function
	.section	.AMDGPU.csdata,"",@progbits
; Kernel info:
; codeLenInByte = 3224
; NumSgprs: 34
; NumVgprs: 19
; ScratchSize: 0
; MemoryBound: 0
; FloatMode: 240
; IeeeMode: 1
; LDSByteSize: 0 bytes/workgroup (compile time only)
; SGPRBlocks: 4
; VGPRBlocks: 2
; NumSGPRsForWavesPerEU: 34
; NumVGPRsForWavesPerEU: 19
; Occupancy: 16
; WaveLimiterHint : 0
; COMPUTE_PGM_RSRC2:SCRATCH_EN: 0
; COMPUTE_PGM_RSRC2:USER_SGPR: 13
; COMPUTE_PGM_RSRC2:TRAP_HANDLER: 0
; COMPUTE_PGM_RSRC2:TGID_X_EN: 1
; COMPUTE_PGM_RSRC2:TGID_Y_EN: 1
; COMPUTE_PGM_RSRC2:TGID_Z_EN: 1
; COMPUTE_PGM_RSRC2:TIDIG_COMP_CNT: 0
	.section	.text._ZL15flash_attn_tileILi128ELi128ELi4ELi2ELb0EEvPKcS1_S1_S1_S1_PKiPfP15HIP_vector_typeIfLj2EEffffjfiS5_IjLj3EEiiiiiiiiiiiliiliiiiil,"axG",@progbits,_ZL15flash_attn_tileILi128ELi128ELi4ELi2ELb0EEvPKcS1_S1_S1_S1_PKiPfP15HIP_vector_typeIfLj2EEffffjfiS5_IjLj3EEiiiiiiiiiiiliiliiiiil,comdat
	.globl	_ZL15flash_attn_tileILi128ELi128ELi4ELi2ELb0EEvPKcS1_S1_S1_S1_PKiPfP15HIP_vector_typeIfLj2EEffffjfiS5_IjLj3EEiiiiiiiiiiiliiliiiiil ; -- Begin function _ZL15flash_attn_tileILi128ELi128ELi4ELi2ELb0EEvPKcS1_S1_S1_S1_PKiPfP15HIP_vector_typeIfLj2EEffffjfiS5_IjLj3EEiiiiiiiiiiiliiliiiiil
	.p2align	8
	.type	_ZL15flash_attn_tileILi128ELi128ELi4ELi2ELb0EEvPKcS1_S1_S1_S1_PKiPfP15HIP_vector_typeIfLj2EEffffjfiS5_IjLj3EEiiiiiiiiiiiliiliiiiil,@function
_ZL15flash_attn_tileILi128ELi128ELi4ELi2ELb0EEvPKcS1_S1_S1_S1_PKiPfP15HIP_vector_typeIfLj2EEffffjfiS5_IjLj3EEiiiiiiiiiiiliiliiiiil: ; @_ZL15flash_attn_tileILi128ELi128ELi4ELi2ELb0EEvPKcS1_S1_S1_S1_PKiPfP15HIP_vector_typeIfLj2EEffffjfiS5_IjLj3EEiiiiiiiiiiiliiliiiiil
; %bb.0:
	s_clause 0x1
	s_load_b128 s[36:39], s[0:1], 0x5c
	s_load_b64 s[40:41], s[0:1], 0x80
	s_mov_b64 s[42:43], 0
	s_waitcnt lgkmcnt(0)
	s_lshr_b32 s2, s39, 31
	s_delay_alu instid0(SALU_CYCLE_1) | instskip(NEXT) | instid1(SALU_CYCLE_1)
	s_add_i32 s2, s39, s2
	s_ashr_i32 s2, s2, 1
	s_delay_alu instid0(SALU_CYCLE_1) | instskip(SKIP_1) | instid1(VALU_DEP_1)
	v_cvt_f32_u32_e32 v1, s2
	s_sub_i32 s4, 0, s2
	v_rcp_iflag_f32_e32 v1, v1
	s_waitcnt_depctr 0xfff
	v_mul_f32_e32 v1, 0x4f7ffffe, v1
	s_delay_alu instid0(VALU_DEP_1) | instskip(NEXT) | instid1(VALU_DEP_1)
	v_cvt_u32_f32_e32 v1, v1
	v_readfirstlane_b32 s3, v1
	s_delay_alu instid0(VALU_DEP_1) | instskip(NEXT) | instid1(SALU_CYCLE_1)
	s_mul_i32 s4, s4, s3
	s_mul_hi_u32 s4, s3, s4
	s_delay_alu instid0(SALU_CYCLE_1) | instskip(NEXT) | instid1(SALU_CYCLE_1)
	s_add_i32 s3, s3, s4
	s_mul_hi_u32 s3, s15, s3
	s_delay_alu instid0(SALU_CYCLE_1) | instskip(SKIP_2) | instid1(SALU_CYCLE_1)
	s_mul_i32 s4, s3, s2
	s_add_i32 s5, s3, 1
	s_sub_i32 s4, s15, s4
	s_sub_i32 s6, s4, s2
	s_cmp_ge_u32 s4, s2
	s_cselect_b32 s3, s5, s3
	s_cselect_b32 s4, s6, s4
	s_add_i32 s5, s3, 1
	s_cmp_ge_u32 s4, s2
	s_cselect_b32 s33, s5, s3
	s_abs_i32 s2, s41
	s_abs_i32 s7, s39
	v_cvt_f32_u32_e32 v1, s2
	s_sub_i32 s4, 0, s2
	s_lshl_b32 s5, s15, 1
	s_mul_i32 s6, s33, s39
	s_delay_alu instid0(VALU_DEP_1) | instskip(SKIP_3) | instid1(VALU_DEP_1)
	v_rcp_iflag_f32_e32 v1, v1
	s_sub_i32 s34, s5, s6
	s_waitcnt_depctr 0xfff
	v_mul_f32_e32 v1, 0x4f7ffffe, v1
	v_cvt_u32_f32_e32 v1, v1
	s_delay_alu instid0(VALU_DEP_1) | instskip(NEXT) | instid1(VALU_DEP_1)
	v_readfirstlane_b32 s3, v1
	s_mul_i32 s4, s4, s3
	s_delay_alu instid0(SALU_CYCLE_1) | instskip(NEXT) | instid1(SALU_CYCLE_1)
	s_mul_hi_u32 s4, s3, s4
	s_add_i32 s3, s3, s4
	s_xor_b32 s4, s39, s41
	s_mul_hi_u32 s3, s7, s3
	s_ashr_i32 s4, s4, 31
	s_mul_i32 s5, s3, s2
	s_add_i32 s6, s3, 1
	s_sub_i32 s5, s7, s5
	s_delay_alu instid0(SALU_CYCLE_1)
	s_sub_i32 s7, s5, s2
	s_cmp_ge_u32 s5, s2
	s_cselect_b32 s3, s6, s3
	s_cselect_b32 s5, s7, s5
	s_add_i32 s6, s3, 1
	s_cmp_ge_u32 s5, s2
	s_cselect_b32 s2, s6, s3
	s_delay_alu instid0(SALU_CYCLE_1) | instskip(NEXT) | instid1(SALU_CYCLE_1)
	s_xor_b32 s2, s2, s4
	s_sub_i32 s9, s2, s4
	s_clause 0x1
	s_load_b512 s[16:31], s[0:1], 0x0
	s_load_b64 s[2:3], s[0:1], 0xb8
	s_abs_i32 s8, s9
	s_delay_alu instid0(SALU_CYCLE_1) | instskip(NEXT) | instid1(VALU_DEP_1)
	v_cvt_f32_u32_e32 v1, s8
	v_rcp_iflag_f32_e32 v1, v1
	s_waitcnt_depctr 0xfff
	v_mul_f32_e32 v1, 0x4f7ffffe, v1
	s_waitcnt lgkmcnt(0)
	s_cmp_eq_u64 s[22:23], 0
	s_delay_alu instid0(VALU_DEP_1) | instskip(NEXT) | instid1(VALU_DEP_1)
	v_cvt_u32_f32_e32 v1, v1
	v_readfirstlane_b32 s10, v1
	s_cbranch_scc1 .LBB43_2
; %bb.1:
	s_abs_i32 s2, s2
	s_abs_i32 s6, s33
	v_cvt_f32_u32_e32 v1, s2
	s_sub_i32 s5, 0, s2
	s_delay_alu instid0(VALU_DEP_1) | instskip(SKIP_2) | instid1(VALU_DEP_1)
	v_rcp_iflag_f32_e32 v1, v1
	s_waitcnt_depctr 0xfff
	v_mul_f32_e32 v1, 0x4f7ffffe, v1
	v_cvt_u32_f32_e32 v1, v1
	s_delay_alu instid0(VALU_DEP_1) | instskip(NEXT) | instid1(VALU_DEP_1)
	v_readfirstlane_b32 s4, v1
	s_mul_i32 s5, s5, s4
	s_delay_alu instid0(SALU_CYCLE_1) | instskip(NEXT) | instid1(SALU_CYCLE_1)
	s_mul_hi_u32 s5, s4, s5
	s_add_i32 s7, s4, s5
	s_load_b64 s[4:5], s[0:1], 0xc8
	s_mul_hi_u32 s7, s6, s7
	s_delay_alu instid0(SALU_CYCLE_1) | instskip(NEXT) | instid1(SALU_CYCLE_1)
	s_mul_i32 s7, s7, s2
	s_sub_i32 s6, s6, s7
	s_ashr_i32 s7, s33, 31
	s_sub_i32 s11, s6, s2
	s_cmp_ge_u32 s6, s2
	s_cselect_b32 s6, s11, s6
	s_delay_alu instid0(SALU_CYCLE_1) | instskip(SKIP_2) | instid1(SALU_CYCLE_1)
	s_sub_i32 s11, s6, s2
	s_cmp_ge_u32 s6, s2
	s_cselect_b32 s2, s11, s6
	s_xor_b32 s2, s2, s7
	s_delay_alu instid0(SALU_CYCLE_1)
	s_sub_i32 s2, s2, s7
	s_waitcnt lgkmcnt(0)
	s_mul_i32 s5, s2, s5
	s_mul_hi_u32 s6, s2, s4
	s_ashr_i32 s7, s2, 31
	s_add_i32 s5, s6, s5
	s_mul_i32 s7, s7, s4
	s_mul_i32 s2, s2, s4
	s_add_i32 s5, s5, s7
	s_add_u32 s42, s22, s2
	s_addc_u32 s43, s23, s5
.LBB43_2:
	v_bfe_u32 v1, v0, 10, 10
	s_load_b128 s[4:7], s[0:1], 0x70
	v_and_b32_e32 v17, 0x3ff, v0
	s_delay_alu instid0(VALU_DEP_2) | instskip(NEXT) | instid1(VALU_DEP_2)
	v_lshl_add_u32 v16, s13, 2, v1
	v_lshlrev_b32_e32 v0, 4, v17
	v_lshlrev_b32_e32 v11, 1, v17
	s_delay_alu instid0(VALU_DEP_3) | instskip(NEXT) | instid1(VALU_DEP_1)
	v_mul_hi_u32 v2, s36, v16
	v_add_nc_u32_e32 v2, v16, v2
	s_waitcnt lgkmcnt(0)
	s_mul_i32 s2, s33, s6
	s_mul_i32 s6, s34, s5
	s_delay_alu instid0(VALU_DEP_1)
	v_lshrrev_b32_e32 v2, s37, v2
	s_ashr_i32 s7, s2, 31
	s_add_u32 s2, s16, s2
	s_addc_u32 s7, s17, s7
	s_ashr_i32 s11, s6, 31
	v_mul_lo_u32 v2, v2, s38
	s_add_u32 s2, s2, s6
	s_addc_u32 s6, s7, s11
	s_ashr_i32 s7, s4, 31
	s_delay_alu instid0(SALU_CYCLE_1) | instskip(SKIP_1) | instid1(VALU_DEP_2)
	v_alignbit_b32 v5, s7, s4, 2
	s_lshr_b32 s4, s7, 2
	v_sub_nc_u32_e32 v2, v16, v2
	s_delay_alu instid0(VALU_DEP_1) | instskip(NEXT) | instid1(VALU_DEP_1)
	v_mad_u64_u32 v[3:4], null, v5, v2, 0
	v_mad_u64_u32 v[5:6], null, s4, v2, v[4:5]
	s_and_b32 s4, s5, -4
	s_delay_alu instid0(VALU_DEP_1) | instskip(NEXT) | instid1(VALU_DEP_1)
	v_mov_b32_e32 v4, v5
	v_lshlrev_b64 v[3:4], 2, v[3:4]
	s_delay_alu instid0(VALU_DEP_1) | instskip(NEXT) | instid1(VALU_DEP_2)
	v_add_co_u32 v3, vcc_lo, s2, v3
	v_add_co_ci_u32_e32 v4, vcc_lo, s6, v4, vcc_lo
	s_ashr_i32 s2, s5, 31
	s_delay_alu instid0(VALU_DEP_2) | instskip(NEXT) | instid1(VALU_DEP_2)
	v_add_co_u32 v3, vcc_lo, v3, v0
	v_add_co_ci_u32_e32 v4, vcc_lo, 0, v4, vcc_lo
	v_lshlrev_b32_e32 v0, 7, v1
	s_delay_alu instid0(VALU_DEP_3) | instskip(NEXT) | instid1(VALU_DEP_3)
	v_add_co_u32 v7, vcc_lo, v3, s4
	v_add_co_ci_u32_e32 v8, vcc_lo, s2, v4, vcc_lo
	s_load_b32 s2, s[0:1], 0x40
	s_delay_alu instid0(VALU_DEP_3)
	v_add_lshl_u32 v0, v11, v0, 2
	s_clause 0x1
	global_load_b128 v[3:6], v[3:4], off
	global_load_b128 v[7:10], v[7:8], off
	s_cmp_eq_u64 s[26:27], 0
	v_add_nc_u32_e32 v0, 0x2000, v0
	s_waitcnt vmcnt(1) lgkmcnt(0)
	v_fma_mixlo_f16 v12, v5, s2, 0
	v_fma_mixlo_f16 v11, v3, s2, 0
	s_waitcnt vmcnt(0)
	v_fma_mixlo_f16 v14, v9, s2, 0
	v_fma_mixlo_f16 v13, v7, s2, 0
	v_fma_mixhi_f16 v12, v6, s2, 0
	v_fma_mixhi_f16 v11, v4, s2, 0
	s_delay_alu instid0(VALU_DEP_4) | instskip(NEXT) | instid1(VALU_DEP_4)
	v_fma_mixhi_f16 v14, v10, s2, 0
	v_fma_mixhi_f16 v13, v8, s2, 0
	ds_store_2addr_b64 v0, v[11:12], v[13:14] offset0:128 offset1:160
	s_waitcnt lgkmcnt(0)
	s_barrier
	buffer_gl0_inv
	s_cbranch_scc1 .LBB43_4
; %bb.3:
	s_load_b32 s2, s[0:1], 0xd0
	s_mov_b32 s5, 0
	s_waitcnt lgkmcnt(0)
	s_mul_i32 s2, s2, s33
	s_delay_alu instid0(SALU_CYCLE_1) | instskip(NEXT) | instid1(SALU_CYCLE_1)
	s_add_i32 s4, s2, s13
	s_lshl_b64 s[4:5], s[4:5], 2
	s_delay_alu instid0(SALU_CYCLE_1)
	s_add_u32 s4, s26, s4
	s_addc_u32 s5, s27, s5
	s_load_b32 s40, s[4:5], 0x0
.LBB43_4:
	v_mbcnt_lo_u32_b32 v38, -1, 0
	s_lshl_b32 s13, s14, 6
	s_waitcnt lgkmcnt(0)
	s_cmp_lt_i32 s13, s40
	s_cbranch_scc1 .LBB43_6
; %bb.5:
	v_mbcnt_lo_u32_b32 v3, -1, 0
	v_mov_b32_e32 v0, 32
	s_mov_b32 s2, 0
	s_mov_b32 s4, 0xfeffffff
	s_delay_alu instid0(VALU_DEP_2)
	v_xor_b32_e32 v43, 16, v3
	v_xor_b32_e32 v42, 8, v3
	;; [unrolled: 1-line block ×5, first 2 shown]
	s_branch .LBB43_7
.LBB43_6:
	s_mov_b32 s2, -1
                                        ; implicit-def: $sgpr4
                                        ; implicit-def: $vgpr3
                                        ; implicit-def: $vgpr0
                                        ; implicit-def: $vgpr43
                                        ; implicit-def: $vgpr42
                                        ; implicit-def: $vgpr41
                                        ; implicit-def: $vgpr40
                                        ; implicit-def: $vgpr39
.LBB43_7:
	s_delay_alu instid0(SALU_CYCLE_1) | instskip(SKIP_2) | instid1(VALU_DEP_3)
	v_cndmask_b32_e64 v4, 0, 1, s2
	v_dual_mov_b32 v36, s4 :: v_dual_mov_b32 v67, s2
	v_dual_mov_b32 v65, s2 :: v_dual_mov_b32 v44, s2
	v_cmp_ne_u32_e32 vcc_lo, 1, v4
	v_dual_mov_b32 v66, s2 :: v_dual_lshlrev_b32 v37, 2, v17
	v_dual_mov_b32 v35, s4 :: v_dual_mov_b32 v64, s2
	v_mov_b32_e32 v63, s2
	s_cbranch_vccnz .LBB43_11
; %bb.8:
	s_clause 0x1
	s_load_b128 s[4:7], s[0:1], 0x98
	s_load_b64 s[16:17], s[0:1], 0x8c
	s_sub_i32 s2, 0, s8
	s_abs_i32 s11, s34
	s_mul_i32 s2, s2, s10
	s_ashr_i32 s12, s34, 31
	s_mul_hi_u32 s2, s10, s2
	s_ashr_i32 s9, s9, 31
	s_add_i32 s10, s10, s2
	s_ashr_i32 s2, s3, 1
	s_mul_hi_u32 s3, s11, s10
	s_ashr_i32 s10, s33, 31
	s_load_b64 s[26:27], s[0:1], 0xa8
	s_mul_i32 s23, s3, s8
	v_lshrrev_b32_e32 v0, 3, v17
	v_dual_mov_b32 v64, 0 :: v_dual_and_b32 v15, 28, v37
	v_lshrrev_b32_e32 v6, 4, v17
	v_mov_b32_e32 v63, 0
	s_delay_alu instid0(VALU_DEP_4)
	v_lshl_add_u32 v0, v1, 2, v0
	s_waitcnt lgkmcnt(0)
	s_ashr_i32 s15, s6, 2
	s_mul_i32 s5, s33, s5
	s_mul_hi_u32 s6, s33, s4
	s_ashr_i32 s22, s16, 2
	s_mul_i32 s16, s10, s4
	s_add_i32 s5, s6, s5
	s_mul_i32 s4, s33, s4
	s_add_i32 s5, s5, s16
	s_add_u32 s4, s18, s4
	s_addc_u32 s5, s19, s5
	s_xor_b32 s6, s12, s9
	s_sub_i32 s9, s11, s23
	s_add_i32 s11, s3, 1
	s_sub_i32 s12, s9, s8
	s_cmp_ge_u32 s9, s8
	s_mul_i32 s10, s10, s26
	s_cselect_b32 s3, s11, s3
	s_cselect_b32 s9, s12, s9
	s_add_i32 s11, s3, 1
	s_cmp_ge_u32 s9, s8
	s_mul_i32 s8, s33, s27
	s_cselect_b32 s3, s11, s3
	v_mul_lo_u32 v3, s22, v0
	s_xor_b32 s3, s3, s6
	v_lshlrev_b32_e32 v4, 2, v15
	s_sub_i32 s3, s3, s6
	s_mul_hi_u32 s6, s33, s26
	s_mul_i32 s9, s3, s17
	s_mul_i32 s3, s3, s7
	s_ashr_i32 s11, s9, 31
	s_add_u32 s18, s4, s9
	s_addc_u32 s19, s5, s11
	s_add_i32 s4, s6, s8
	s_mul_i32 s5, s33, s26
	s_add_i32 s4, s4, s10
	s_add_u32 s5, s20, s5
	s_addc_u32 s4, s21, s4
	s_ashr_i32 s6, s3, 31
	s_add_u32 s20, s5, s3
	s_addc_u32 s21, s4, s6
	s_lshl_b32 s3, s22, 4
	v_lshl_add_u32 v12, v1, 1, v6
	v_dual_mov_b32 v66, 0 :: v_dual_add_nc_u32 v5, s3, v3
	v_mad_u32_u24 v45, 0x90, v0, v4
	v_and_b32_e32 v29, 60, v37
	s_delay_alu instid0(VALU_DEP_4) | instskip(NEXT) | instid1(VALU_DEP_4)
	v_mul_lo_u32 v0, s15, v12
	v_dual_mov_b32 v36, 0xfeffffff :: v_dual_add_nc_u32 v7, s3, v5
	v_ashrrev_i32_e32 v4, 31, v3
	s_delay_alu instid0(VALU_DEP_4) | instskip(SKIP_1) | instid1(VALU_DEP_4)
	v_lshlrev_b32_e32 v13, 2, v29
	v_ashrrev_i32_e32 v6, 31, v5
	v_add_nc_u32_e32 v9, s3, v7
	s_lshl_b32 s3, s15, 3
	v_ashrrev_i32_e32 v8, 31, v7
	v_add_nc_u32_e32 v11, s3, v0
	v_lshl_or_b32 v51, v12, 8, v13
	v_ashrrev_i32_e32 v10, 31, v9
	v_lshl_add_u32 v50, v1, 9, 0x2400
	v_lshl_add_u32 v52, v1, 8, 0x2c00
	v_add_nc_u32_e32 v13, s3, v11
	v_ashrrev_i32_e32 v1, 31, v0
	v_ashrrev_i32_e32 v12, 31, v11
	v_dual_mov_b32 v35, 0xfeffffff :: v_dual_lshlrev_b32 v56, 3, v17
	s_delay_alu instid0(VALU_DEP_4) | instskip(SKIP_3) | instid1(VALU_DEP_4)
	v_add_nc_u32_e32 v33, s3, v13
	v_ashrrev_i32_e32 v14, 31, v13
	v_mad_u64_u32 v[18:19], null, v2, s2, v[17:18]
	v_lshlrev_b64 v[19:20], 2, v[3:4]
	v_ashrrev_i32_e32 v34, 31, v33
	v_lshlrev_b64 v[21:22], 2, v[5:6]
	v_lshlrev_b64 v[23:24], 2, v[7:8]
	;; [unrolled: 1-line block ×4, first 2 shown]
	v_lshlrev_b32_e32 v59, 2, v29
	v_lshlrev_b64 v[29:30], 2, v[11:12]
	v_lshlrev_b64 v[31:32], 2, v[13:14]
	;; [unrolled: 1-line block ×3, first 2 shown]
	v_dual_mov_b32 v65, 0 :: v_dual_add_nc_u32 v46, 0x900, v45
	v_dual_mov_b32 v44, 0 :: v_dual_add_nc_u32 v47, 0x1200, v45
	;; [unrolled: 1-line block ×3, first 2 shown]
	v_mul_u32_u24_e32 v49, 0x90, v17
	v_add_nc_u32_e32 v53, 0x800, v51
	v_add_nc_u32_e32 v54, 0x1000, v51
	;; [unrolled: 1-line block ×3, first 2 shown]
	v_lshlrev_b32_e32 v57, 2, v15
	v_xor_b32_e32 v43, 16, v38
	v_xor_b32_e32 v42, 8, v38
	;; [unrolled: 1-line block ×5, first 2 shown]
	v_add_nc_u32_e32 v58, v52, v37
	v_add_nc_u32_e32 v60, 0x800, v56
	v_add_nc_u32_e32 v61, 0x1000, v56
	v_add_nc_u32_e32 v62, 0x1800, v56
	s_add_u32 s16, s0, 0xd0
	s_addc_u32 s17, s1, 0
.LBB43_9:                               ; =>This Inner Loop Header: Depth=1
	s_mul_hi_i32 s3, s13, s22
	s_mul_i32 s2, s13, s22
	v_dual_mov_b32 v68, 0 :: v_dual_mov_b32 v69, 0
	s_lshl_b64 s[2:3], s[2:3], 2
	v_dual_mov_b32 v70, 0 :: v_dual_mov_b32 v71, 0
	s_add_u32 s4, s18, s2
	s_addc_u32 s5, s19, s3
	v_add_co_u32 v0, vcc_lo, s4, v21
	v_add_co_u32 v1, s2, s4, v23
	v_add_co_u32 v2, s3, s4, v25
	v_add_co_u32 v3, s4, s4, v19
	s_delay_alu instid0(VALU_DEP_1)
	v_add_co_ci_u32_e64 v5, s4, s5, v20, s4
	v_add_co_ci_u32_e32 v6, vcc_lo, s5, v22, vcc_lo
	v_add_co_ci_u32_e64 v7, vcc_lo, s5, v24, s2
	v_add_co_ci_u32_e64 v10, vcc_lo, s5, v26, s3
	v_add_co_u32 v4, vcc_lo, v0, v57
	v_add_co_u32 v0, s4, v3, v57
	v_add_co_u32 v8, s2, v1, v57
	v_add_co_ci_u32_e64 v1, s4, 0, v5, s4
	v_add_co_u32 v12, s3, v2, v57
	v_add_co_ci_u32_e32 v5, vcc_lo, 0, v6, vcc_lo
	v_add_co_ci_u32_e64 v9, vcc_lo, 0, v7, s2
	v_add_co_ci_u32_e64 v13, vcc_lo, 0, v10, s3
	s_clause 0x3
	global_load_b128 v[72:75], v[0:1], off
	global_load_b128 v[76:79], v[4:5], off
	;; [unrolled: 1-line block ×4, first 2 shown]
	v_cmp_gt_i32_e64 s4, 32, v40
	v_cmp_gt_i32_e64 s2, 32, v42
	;; [unrolled: 1-line block ×4, first 2 shown]
	s_mul_hi_i32 s7, s13, s15
	s_mul_i32 s6, s13, s15
	s_waitcnt vmcnt(3)
	ds_store_b128 v45, v[72:75]
	s_waitcnt vmcnt(2)
	ds_store_b128 v46, v[76:79]
	;; [unrolled: 2-line block ×4, first 2 shown]
	s_waitcnt lgkmcnt(0)
	s_barrier
	buffer_gl0_inv
	ds_load_b128 v[72:75], v49
	ds_load_b128 v[76:79], v50
	ds_load_b128 v[80:83], v50 offset:256
	ds_load_b128 v[84:87], v49 offset:4608
	s_waitcnt lgkmcnt(2)
	;;#ASMSTART
	v_dot2_f32_f16 v68, v72, v76, v68
	;;#ASMEND
	;;#ASMSTART
	v_dot2_f32_f16 v68, v73, v77, v68
	;;#ASMEND
	;;#ASMSTART
	v_dot2_f32_f16 v68, v74, v78, v68
	;;#ASMEND
	;;#ASMSTART
	v_dot2_f32_f16 v68, v75, v79, v68
	;;#ASMEND
	s_waitcnt lgkmcnt(1)
	;;#ASMSTART
	v_dot2_f32_f16 v69, v72, v80, v69
	;;#ASMEND
	;;#ASMSTART
	v_dot2_f32_f16 v69, v73, v81, v69
	;;#ASMEND
	;;#ASMSTART
	v_dot2_f32_f16 v69, v74, v82, v69
	;;#ASMEND
	;;#ASMSTART
	v_dot2_f32_f16 v69, v75, v83, v69
	;;#ASMEND
	s_waitcnt lgkmcnt(0)
	;;#ASMSTART
	v_dot2_f32_f16 v70, v84, v76, v70
	;;#ASMEND
	;;#ASMSTART
	v_dot2_f32_f16 v70, v85, v77, v70
	;;#ASMEND
	;;#ASMSTART
	v_dot2_f32_f16 v70, v86, v78, v70
	;;#ASMEND
	;;#ASMSTART
	v_dot2_f32_f16 v70, v87, v79, v70
	;;#ASMEND
	;;#ASMSTART
	v_dot2_f32_f16 v71, v84, v80, v71
	;;#ASMEND
	;;#ASMSTART
	v_dot2_f32_f16 v71, v85, v81, v71
	;;#ASMEND
	;;#ASMSTART
	v_dot2_f32_f16 v71, v86, v82, v71
	;;#ASMEND
	;;#ASMSTART
	v_dot2_f32_f16 v71, v87, v83, v71
	;;#ASMEND
	ds_load_b128 v[72:75], v49 offset:16
	ds_load_b128 v[76:79], v50 offset:16
	ds_load_b128 v[80:83], v50 offset:272
	ds_load_b128 v[84:87], v49 offset:4624
	s_waitcnt lgkmcnt(2)
	;;#ASMSTART
	v_dot2_f32_f16 v68, v72, v76, v68
	;;#ASMEND
	;;#ASMSTART
	v_dot2_f32_f16 v68, v73, v77, v68
	;;#ASMEND
	;;#ASMSTART
	v_dot2_f32_f16 v68, v74, v78, v68
	;;#ASMEND
	;;#ASMSTART
	v_dot2_f32_f16 v68, v75, v79, v68
	;;#ASMEND
	s_waitcnt lgkmcnt(1)
	;;#ASMSTART
	v_dot2_f32_f16 v69, v72, v80, v69
	;;#ASMEND
	;;#ASMSTART
	v_dot2_f32_f16 v69, v73, v81, v69
	;;#ASMEND
	;;#ASMSTART
	v_dot2_f32_f16 v69, v74, v82, v69
	;;#ASMEND
	;;#ASMSTART
	v_dot2_f32_f16 v69, v75, v83, v69
	;;#ASMEND
	s_waitcnt lgkmcnt(0)
	;;#ASMSTART
	v_dot2_f32_f16 v70, v84, v76, v70
	;;#ASMEND
	;;#ASMSTART
	v_dot2_f32_f16 v70, v85, v77, v70
	;;#ASMEND
	;;#ASMSTART
	v_dot2_f32_f16 v70, v86, v78, v70
	;;#ASMEND
	;;#ASMSTART
	v_dot2_f32_f16 v70, v87, v79, v70
	;;#ASMEND
	;;#ASMSTART
	v_dot2_f32_f16 v71, v84, v80, v71
	;;#ASMEND
	;;#ASMSTART
	v_dot2_f32_f16 v71, v85, v81, v71
	;;#ASMEND
	;;#ASMSTART
	v_dot2_f32_f16 v71, v86, v82, v71
	;;#ASMEND
	;;#ASMSTART
	v_dot2_f32_f16 v71, v87, v83, v71
	;;#ASMEND
	ds_load_b128 v[72:75], v49 offset:32
	ds_load_b128 v[76:79], v50 offset:32
	;; [unrolled: 55-line block ×7, first 2 shown]
	ds_load_b128 v[80:83], v50 offset:368
	ds_load_b128 v[84:87], v49 offset:4720
	s_waitcnt lgkmcnt(2)
	;;#ASMSTART
	v_dot2_f32_f16 v68, v72, v76, v68
	;;#ASMEND
	;;#ASMSTART
	v_dot2_f32_f16 v68, v73, v77, v68
	;;#ASMEND
	;;#ASMSTART
	v_dot2_f32_f16 v68, v74, v78, v68
	;;#ASMEND
	;;#ASMSTART
	v_dot2_f32_f16 v68, v75, v79, v68
	;;#ASMEND
	s_waitcnt lgkmcnt(1)
	;;#ASMSTART
	v_dot2_f32_f16 v69, v72, v80, v69
	;;#ASMEND
	;;#ASMSTART
	v_dot2_f32_f16 v69, v73, v81, v69
	;;#ASMEND
	;;#ASMSTART
	v_dot2_f32_f16 v69, v74, v82, v69
	;;#ASMEND
	;;#ASMSTART
	v_dot2_f32_f16 v69, v75, v83, v69
	;;#ASMEND
	;; [unrolled: 13-line block ×3, first 2 shown]
	;;#ASMSTART
	v_dot2_f32_f16 v71, v84, v80, v71
	;;#ASMEND
	;;#ASMSTART
	v_dot2_f32_f16 v71, v85, v81, v71
	;;#ASMEND
	;; [unrolled: 3-line block ×4, first 2 shown]
	s_barrier
	buffer_gl0_inv
	s_clause 0x3
	global_load_b128 v[0:3], v[0:1], off offset:128
	global_load_b128 v[4:7], v[4:5], off offset:128
	;; [unrolled: 1-line block ×4, first 2 shown]
	v_add_nc_u32_e32 v72, s13, v18
	s_waitcnt vmcnt(3)
	ds_store_b128 v45, v[0:3]
	s_waitcnt vmcnt(2)
	ds_store_b128 v46, v[4:7]
	;; [unrolled: 2-line block ×4, first 2 shown]
	s_waitcnt lgkmcnt(0)
	s_barrier
	buffer_gl0_inv
	ds_load_b128 v[0:3], v49
	ds_load_b128 v[4:7], v50 offset:128
	ds_load_b128 v[8:11], v50 offset:384
	ds_load_b128 v[12:15], v49 offset:4608
	s_waitcnt lgkmcnt(2)
	;;#ASMSTART
	v_dot2_f32_f16 v68, v0, v4, v68
	;;#ASMEND
	;;#ASMSTART
	v_dot2_f32_f16 v68, v1, v5, v68
	;;#ASMEND
	;;#ASMSTART
	v_dot2_f32_f16 v68, v2, v6, v68
	;;#ASMEND
	;;#ASMSTART
	v_dot2_f32_f16 v68, v3, v7, v68
	;;#ASMEND
	s_waitcnt lgkmcnt(1)
	;;#ASMSTART
	v_dot2_f32_f16 v69, v0, v8, v69
	;;#ASMEND
	;;#ASMSTART
	v_dot2_f32_f16 v69, v1, v9, v69
	;;#ASMEND
	;;#ASMSTART
	v_dot2_f32_f16 v69, v2, v10, v69
	;;#ASMEND
	;;#ASMSTART
	v_dot2_f32_f16 v69, v3, v11, v69
	;;#ASMEND
	s_waitcnt lgkmcnt(0)
	;;#ASMSTART
	v_dot2_f32_f16 v70, v12, v4, v70
	;;#ASMEND
	;;#ASMSTART
	v_dot2_f32_f16 v70, v13, v5, v70
	;;#ASMEND
	;;#ASMSTART
	v_dot2_f32_f16 v70, v14, v6, v70
	;;#ASMEND
	;;#ASMSTART
	v_dot2_f32_f16 v70, v15, v7, v70
	;;#ASMEND
	;;#ASMSTART
	v_dot2_f32_f16 v71, v12, v8, v71
	;;#ASMEND
	;;#ASMSTART
	v_dot2_f32_f16 v71, v13, v9, v71
	;;#ASMEND
	;;#ASMSTART
	v_dot2_f32_f16 v71, v14, v10, v71
	;;#ASMEND
	;;#ASMSTART
	v_dot2_f32_f16 v71, v15, v11, v71
	;;#ASMEND
	ds_load_b128 v[0:3], v49 offset:16
	ds_load_b128 v[4:7], v50 offset:144
	ds_load_b128 v[8:11], v50 offset:400
	ds_load_b128 v[12:15], v49 offset:4624
	s_waitcnt lgkmcnt(2)
	;;#ASMSTART
	v_dot2_f32_f16 v68, v0, v4, v68
	;;#ASMEND
	;;#ASMSTART
	v_dot2_f32_f16 v68, v1, v5, v68
	;;#ASMEND
	;;#ASMSTART
	v_dot2_f32_f16 v68, v2, v6, v68
	;;#ASMEND
	;;#ASMSTART
	v_dot2_f32_f16 v68, v3, v7, v68
	;;#ASMEND
	s_waitcnt lgkmcnt(1)
	;;#ASMSTART
	v_dot2_f32_f16 v69, v0, v8, v69
	;;#ASMEND
	;;#ASMSTART
	v_dot2_f32_f16 v69, v1, v9, v69
	;;#ASMEND
	;;#ASMSTART
	v_dot2_f32_f16 v69, v2, v10, v69
	;;#ASMEND
	;;#ASMSTART
	v_dot2_f32_f16 v69, v3, v11, v69
	;;#ASMEND
	s_waitcnt lgkmcnt(0)
	;;#ASMSTART
	v_dot2_f32_f16 v70, v12, v4, v70
	;;#ASMEND
	;;#ASMSTART
	v_dot2_f32_f16 v70, v13, v5, v70
	;;#ASMEND
	;;#ASMSTART
	v_dot2_f32_f16 v70, v14, v6, v70
	;;#ASMEND
	;;#ASMSTART
	v_dot2_f32_f16 v70, v15, v7, v70
	;;#ASMEND
	;;#ASMSTART
	v_dot2_f32_f16 v71, v12, v8, v71
	;;#ASMEND
	;;#ASMSTART
	v_dot2_f32_f16 v71, v13, v9, v71
	;;#ASMEND
	;;#ASMSTART
	v_dot2_f32_f16 v71, v14, v10, v71
	;;#ASMEND
	;;#ASMSTART
	v_dot2_f32_f16 v71, v15, v11, v71
	;;#ASMEND
	ds_load_b128 v[0:3], v49 offset:32
	;; [unrolled: 55-line block ×7, first 2 shown]
	ds_load_b128 v[4:7], v50 offset:240
	ds_load_b128 v[8:11], v50 offset:496
	;; [unrolled: 1-line block ×3, first 2 shown]
	s_waitcnt lgkmcnt(2)
	;;#ASMSTART
	v_dot2_f32_f16 v68, v0, v4, v68
	;;#ASMEND
	;;#ASMSTART
	v_dot2_f32_f16 v68, v1, v5, v68
	;;#ASMEND
	;; [unrolled: 3-line block ×4, first 2 shown]
	s_waitcnt lgkmcnt(1)
	;;#ASMSTART
	v_dot2_f32_f16 v69, v0, v8, v69
	;;#ASMEND
	;;#ASMSTART
	v_dot2_f32_f16 v69, v1, v9, v69
	;;#ASMEND
	v_mov_b32_e32 v1, v35
	v_ashrrev_i32_e32 v73, 31, v72
	;;#ASMSTART
	v_dot2_f32_f16 v69, v2, v10, v69
	;;#ASMEND
	;;#ASMSTART
	v_dot2_f32_f16 v69, v3, v11, v69
	;;#ASMEND
	s_waitcnt lgkmcnt(0)
	;;#ASMSTART
	v_dot2_f32_f16 v70, v12, v4, v70
	;;#ASMEND
	;;#ASMSTART
	v_dot2_f32_f16 v70, v13, v5, v70
	;;#ASMEND
	v_lshlrev_b64 v[72:73], 1, v[72:73]
	;;#ASMSTART
	v_dot2_f32_f16 v70, v14, v6, v70
	;;#ASMEND
	;;#ASMSTART
	v_dot2_f32_f16 v70, v15, v7, v70
	;;#ASMEND
	;; [unrolled: 3-line block ×5, first 2 shown]
	v_add_co_u32 v72, vcc_lo, s42, v72
	v_add_co_ci_u32_e32 v73, vcc_lo, s43, v73, vcc_lo
	;;#ASMSTART
	v_dot2_f32_f16 v71, v15, v11, v71
	;;#ASMEND
	s_clause 0x1
	flat_load_u16 v2, v[72:73]
	flat_load_u16 v3, v[72:73] offset:64
	v_cmp_gt_i32_e32 vcc_lo, 32, v43
	v_cndmask_b32_e64 v7, v38, v40, s4
	v_cndmask_b32_e64 v5, v38, v42, s2
	;; [unrolled: 1-line block ×3, first 2 shown]
	s_lshl_b64 s[2:3], s[6:7], 2
	v_cndmask_b32_e64 v8, v38, v39, s5
	s_add_u32 s4, s20, s2
	s_addc_u32 s5, s21, s3
	s_or_b32 s6, s13, 32
	v_add_co_u32 v10, s2, s4, v31
	v_add_co_u32 v11, s3, s4, v33
	s_mul_hi_i32 s7, s6, s15
	s_mul_i32 s6, s6, s15
	v_dual_mov_b32 v0, v36 :: v_dual_lshlrev_b32 v77, 2, v5
	s_waitcnt vmcnt(0) lgkmcnt(0)
	s_barrier
	buffer_gl0_inv
	v_cvt_f32_f16_e32 v2, v2
	v_lshlrev_b32_e32 v79, 2, v7
	v_cvt_f32_f16_e32 v3, v3
	s_delay_alu instid0(VALU_DEP_3) | instskip(SKIP_3) | instid1(VALU_DEP_3)
	v_add_f32_e32 v68, v68, v2
	v_cndmask_b32_e32 v4, v38, v43, vcc_lo
	v_add_co_u32 v9, vcc_lo, s4, v29
	v_add_co_u32 v13, s4, s4, v27
	v_lshlrev_b32_e32 v76, 2, v4
	v_add_co_ci_u32_e64 v5, s4, s5, v28, s4
	v_add_f32_e32 v70, v70, v3
	v_dual_add_f32 v3, v71, v3 :: v_dual_lshlrev_b32 v78, 2, v6
	v_add_co_ci_u32_e32 v6, vcc_lo, s5, v30, vcc_lo
	v_add_co_ci_u32_e64 v7, vcc_lo, s5, v32, s2
	s_delay_alu instid0(VALU_DEP_3)
	v_add_f32_e32 v71, 0x40051340, v3
	v_add_co_ci_u32_e64 v14, vcc_lo, s5, v34, s3
	s_lshl_b64 s[4:5], s[6:7], 2
	v_add_co_u32 v12, s2, v10, v59
	v_add_co_u32 v35, s3, v11, v59
	s_add_u32 s6, s20, s4
	v_add_co_u32 v4, s4, v13, v59
	v_add_f32_e32 v2, v69, v2
	v_lshlrev_b32_e32 v80, 2, v8
	v_add_co_u32 v8, vcc_lo, v9, v59
	v_add_co_ci_u32_e64 v5, s4, 0, v5, s4
	s_delay_alu instid0(VALU_DEP_4)
	v_add_f32_e32 v69, 0x40051340, v2
	v_add_co_ci_u32_e32 v9, vcc_lo, 0, v6, vcc_lo
	v_add_co_ci_u32_e64 v13, vcc_lo, 0, v7, s2
	v_add_co_ci_u32_e64 v36, vcc_lo, 0, v14, s3
	s_addc_u32 s5, s21, s5
	v_add_co_u32 v6, vcc_lo, s6, v29
	v_add_co_u32 v7, s2, s6, v31
	v_add_co_u32 v10, s3, s6, v33
	;; [unrolled: 1-line block ×3, first 2 shown]
	s_delay_alu instid0(VALU_DEP_1)
	v_add_co_ci_u32_e64 v14, s4, s5, v28, s4
	v_add_co_ci_u32_e32 v15, vcc_lo, s5, v30, vcc_lo
	v_add_co_ci_u32_e64 v72, vcc_lo, s5, v32, s2
	v_add_co_ci_u32_e64 v73, vcc_lo, s5, v34, s3
	v_add_co_u32 v124, vcc_lo, v6, v59
	v_add_co_u32 v126, s2, v7, v59
	v_add_co_u32 v128, s3, v10, v59
	;; [unrolled: 1-line block ×3, first 2 shown]
	s_delay_alu instid0(VALU_DEP_1)
	v_add_co_ci_u32_e64 v131, s4, 0, v14, s4
	v_add_co_ci_u32_e32 v125, vcc_lo, 0, v15, vcc_lo
	v_add_co_ci_u32_e64 v127, vcc_lo, 0, v72, s2
	v_add_co_ci_u32_e64 v129, vcc_lo, 0, v73, s3
	s_clause 0x3
	global_load_b128 v[4:7], v[4:5], off
	global_load_b128 v[8:11], v[8:9], off
	;; [unrolled: 1-line block ×4, first 2 shown]
	v_dual_add_f32 v35, 0x40051340, v68 :: v_dual_add_f32 v36, 0x40051340, v70
	s_delay_alu instid0(VALU_DEP_1)
	v_max3_f32 v35, v1, v35, v36
	v_max3_f32 v36, v0, v69, v71
	ds_bpermute_b32 v69, v76, v35
	ds_bpermute_b32 v71, v76, v36
	s_waitcnt lgkmcnt(1)
	v_max_f32_e32 v69, v69, v69
	s_waitcnt lgkmcnt(0)
	v_max_f32_e32 v71, v71, v71
	s_delay_alu instid0(VALU_DEP_2)
	v_max_f32_e32 v35, v35, v69
	ds_bpermute_b32 v69, v77, v35
	s_waitcnt lgkmcnt(0)
	v_dual_max_f32 v36, v36, v71 :: v_dual_max_f32 v69, v69, v69
	ds_bpermute_b32 v71, v77, v36
	s_waitcnt lgkmcnt(0)
	v_max_f32_e32 v71, v71, v71
	s_delay_alu instid0(VALU_DEP_1) | instskip(SKIP_4) | instid1(VALU_DEP_1)
	v_dual_max_f32 v35, v35, v69 :: v_dual_max_f32 v36, v36, v71
	ds_bpermute_b32 v69, v78, v35
	ds_bpermute_b32 v71, v78, v36
	s_waitcnt lgkmcnt(0)
	v_max_f32_e32 v71, v71, v71
	v_dual_max_f32 v69, v69, v69 :: v_dual_max_f32 v36, v36, v71
	ds_bpermute_b32 v71, v79, v36
	s_waitcnt lgkmcnt(0)
	v_max_f32_e32 v71, v71, v71
	s_delay_alu instid0(VALU_DEP_1) | instskip(SKIP_4) | instid1(VALU_DEP_1)
	v_dual_max_f32 v35, v35, v69 :: v_dual_max_f32 v36, v36, v71
	ds_bpermute_b32 v69, v79, v35
	ds_bpermute_b32 v71, v80, v36
	s_waitcnt lgkmcnt(0)
	v_max_f32_e32 v71, v71, v71
	v_dual_max_f32 v69, v69, v69 :: v_dual_max_f32 v36, v36, v71
	s_delay_alu instid0(VALU_DEP_1) | instskip(NEXT) | instid1(VALU_DEP_2)
	v_max_f32_e32 v35, v35, v69
	v_sub_f32_e32 v3, v3, v36
	ds_bpermute_b32 v69, v80, v35
	v_sub_f32_e32 v0, v0, v36
	v_sub_f32_e32 v2, v2, v36
	s_delay_alu instid0(VALU_DEP_2) | instskip(SKIP_2) | instid1(VALU_DEP_3)
	v_dual_mul_f32 v78, 0x3fb8aa3b, v3 :: v_dual_mul_f32 v79, 0x3fb8aa3b, v0
	v_cmp_ngt_f32_e64 s5, 0xc2ce8ed0, v0
	v_cmp_nlt_f32_e64 s11, 0x42b17218, v0
	v_rndne_f32_e32 v89, v78
	v_cmp_ngt_f32_e32 vcc_lo, 0xc2ce8ed0, v2
	v_fma_f32 v90, 0x3fb8aa3b, v0, -v79
	v_rndne_f32_e32 v91, v79
	v_mul_f32_e32 v71, 0x3fb8aa3b, v2
	v_cmp_nlt_f32_e64 s7, 0x42b17218, v2
	s_delay_alu instid0(VALU_DEP_4) | instskip(NEXT) | instid1(VALU_DEP_4)
	v_fmac_f32_e32 v90, 0x32a5705f, v0
	v_sub_f32_e32 v0, v79, v91
	s_delay_alu instid0(VALU_DEP_4)
	v_fma_f32 v82, 0x3fb8aa3b, v2, -v71
	v_rndne_f32_e32 v83, v71
	s_waitcnt lgkmcnt(0)
	v_max_f32_e32 v69, v69, v69
	v_cvt_i32_f32_e32 v79, v91
	v_add_f32_e32 v0, v0, v90
	v_fmac_f32_e32 v82, 0x32a5705f, v2
	v_sub_f32_e32 v2, v71, v83
	v_max_f32_e32 v35, v35, v69
	v_cvt_i32_f32_e32 v71, v83
	v_exp_f32_e32 v0, v0
	s_delay_alu instid0(VALU_DEP_3) | instskip(NEXT) | instid1(VALU_DEP_3)
	v_add_f32_e32 v2, v2, v82
	v_sub_f32_e32 v68, v68, v35
	v_sub_f32_e32 v1, v1, v35
	s_delay_alu instid0(VALU_DEP_3) | instskip(NEXT) | instid1(VALU_DEP_2)
	v_exp_f32_e32 v2, v2
	v_mul_f32_e32 v76, 0x3fb8aa3b, v68
	v_cmp_ngt_f32_e64 s2, 0xc2ce8ed0, v68
	v_cmp_nlt_f32_e64 s8, 0x42b17218, v68
	v_mul_f32_e32 v77, 0x3fb8aa3b, v1
	v_cmp_ngt_f32_e64 s3, 0xc2ce8ed0, v1
	v_fma_f32 v84, 0x3fb8aa3b, v68, -v76
	v_sub_f32_e32 v69, v70, v35
	v_rndne_f32_e32 v85, v76
	v_fma_f32 v86, 0x3fb8aa3b, v1, -v77
	v_rndne_f32_e32 v87, v77
	v_fmac_f32_e32 v84, 0x32a5705f, v68
	v_mul_f32_e32 v70, 0x3fb8aa3b, v69
	v_sub_f32_e32 v68, v76, v85
	v_fma_f32 v88, 0x3fb8aa3b, v3, -v78
	v_cmp_ngt_f32_e64 s4, 0xc2ce8ed0, v3
	v_cmp_ngt_f32_e64 s6, 0xc2ce8ed0, v69
	v_fma_f32 v80, 0x3fb8aa3b, v69, -v70
	v_rndne_f32_e32 v81, v70
	v_cmp_nlt_f32_e64 s10, 0x42b17218, v3
	v_cmp_nlt_f32_e64 s12, 0x42b17218, v69
	v_fmac_f32_e32 v88, 0x32a5705f, v3
	v_fmac_f32_e32 v80, 0x32a5705f, v69
	v_sub_f32_e32 v69, v70, v81
	v_sub_f32_e32 v3, v78, v89
	v_cmp_nlt_f32_e64 s9, 0x42b17218, v1
	v_dual_fmac_f32 v86, 0x32a5705f, v1 :: v_dual_sub_f32 v1, v77, v87
	s_delay_alu instid0(VALU_DEP_4)
	v_add_f32_e32 v69, v69, v80
	v_add_f32_e32 v68, v68, v84
	v_ldexp_f32 v2, v2, v71
	v_add_f32_e32 v3, v3, v88
	v_add_f32_e32 v1, v1, v86
	v_exp_f32_e32 v69, v69
	v_exp_f32_e32 v68, v68
	v_cndmask_b32_e32 v2, 0, v2, vcc_lo
	v_exp_f32_e32 v3, v3
	v_cvt_i32_f32_e32 v70, v81
	v_cvt_i32_f32_e32 v76, v85
	;; [unrolled: 1-line block ×3, first 2 shown]
	v_exp_f32_e32 v1, v1
	v_cvt_i32_f32_e32 v77, v87
	v_cndmask_b32_e64 v134, 0x7f800000, v2, s7
	v_ldexp_f32 v69, v69, v70
	v_ldexp_f32 v68, v68, v76
	;; [unrolled: 1-line block ×4, first 2 shown]
	v_cvt_f16_f32_e64 v2, v134
	v_cndmask_b32_e64 v69, 0, v69, s6
	v_cndmask_b32_e64 v68, 0, v68, s2
	v_ldexp_f32 v1, v1, v77
	v_cndmask_b32_e64 v3, 0, v3, s4
	v_cndmask_b32_e64 v0, 0, v0, s5
	;; [unrolled: 1-line block ×7, first 2 shown]
	s_delay_alu instid0(VALU_DEP_4) | instskip(NEXT) | instid1(VALU_DEP_4)
	v_cvt_f16_f32_e64 v3, v133
	v_cndmask_b32_e64 v135, 0x7f800000, v1, s9
	v_cvt_f16_f32_e64 v1, v132
	v_cvt_f16_f32_e64 v68, v136
	v_cvt_f16_f32_e32 v121, v0
	v_pack_b32_f16 v2, v3, v2
	v_cvt_f16_f32_e64 v120, v135
	s_delay_alu instid0(VALU_DEP_4)
	v_pack_b32_f16 v1, v1, v68
	ds_store_2addr_b32 v58, v2, v1 offset1:32
	s_waitcnt vmcnt(3)
	ds_store_b128 v51, v[4:7]
	s_waitcnt vmcnt(2)
	ds_store_b128 v53, v[8:11]
	;; [unrolled: 2-line block ×4, first 2 shown]
	s_waitcnt lgkmcnt(0)
	s_barrier
	buffer_gl0_inv
	ds_load_2addr_b64 v[1:4], v56 offset1:32
	ds_load_b128 v[5:8], v52
	ds_load_b128 v[9:12], v52 offset:16
	ds_load_b128 v[68:71], v52 offset:32
	;; [unrolled: 1-line block ×3, first 2 shown]
	ds_load_2addr_b64 v[76:79], v56 offset0:64 offset1:96
	ds_load_2addr_b64 v[80:83], v56 offset0:128 offset1:160
	;; [unrolled: 1-line block ×3, first 2 shown]
	ds_load_2addr_b64 v[88:91], v60 offset1:32
	ds_load_2addr_b64 v[92:95], v60 offset0:64 offset1:96
	ds_load_2addr_b64 v[96:99], v60 offset0:128 offset1:160
	;; [unrolled: 1-line block ×3, first 2 shown]
	ds_load_2addr_b64 v[104:107], v61 offset1:32
	ds_load_2addr_b64 v[108:111], v61 offset0:64 offset1:96
	ds_load_2addr_b64 v[112:115], v61 offset0:128 offset1:160
	ds_load_b128 v[116:119], v52 offset:64
	v_pk_mul_f16 v122, v121, v63 op_sel_hi:[0,1]
	s_waitcnt lgkmcnt(14)
	v_pk_mul_f16 v13, v1, v5 op_sel_hi:[1,0]
	v_pk_mul_f16 v1, v1, v5 op_sel:[0,1]
	v_pk_mul_f16 v14, v2, v5 op_sel_hi:[1,0]
	v_pk_fma_f16 v2, v2, v5, v122 op_sel:[0,1,0]
	s_delay_alu instid0(VALU_DEP_4) | instskip(NEXT) | instid1(VALU_DEP_4)
	v_pk_fma_f16 v13, v120, v65, v13 op_sel_hi:[0,1,1]
	v_pk_fma_f16 v1, v121, v64, v1 op_sel_hi:[0,1,1]
	s_delay_alu instid0(VALU_DEP_4) | instskip(NEXT) | instid1(VALU_DEP_4)
	v_pk_fma_f16 v14, v120, v66, v14 op_sel_hi:[0,1,1]
	v_pk_fma_f16 v15, v4, v6, v2 op_sel:[0,1,0]
	ds_load_b128 v[63:66], v52 offset:80
	v_pk_fma_f16 v13, v3, v6, v13 op_sel_hi:[1,0,1]
	v_pk_fma_f16 v1, v3, v6, v1 op_sel:[0,1,0]
	v_pk_fma_f16 v6, v4, v6, v14 op_sel_hi:[1,0,1]
	s_waitcnt lgkmcnt(11)
	v_pk_fma_f16 v14, v77, v7, v15 op_sel:[0,1,0]
	ds_load_2addr_b64 v[2:5], v61 offset0:192 offset1:224
	v_pk_fma_f16 v13, v76, v7, v13 op_sel_hi:[1,0,1]
	v_pk_fma_f16 v1, v76, v7, v1 op_sel:[0,1,0]
	v_pk_fma_f16 v6, v77, v7, v6 op_sel_hi:[1,0,1]
	v_pk_fma_f16 v7, v79, v8, v14 op_sel:[0,1,0]
	s_delay_alu instid0(VALU_DEP_4) | instskip(NEXT) | instid1(VALU_DEP_4)
	v_pk_fma_f16 v13, v78, v8, v13 op_sel_hi:[1,0,1]
	v_pk_fma_f16 v1, v78, v8, v1 op_sel:[0,1,0]
	s_delay_alu instid0(VALU_DEP_4)
	v_pk_fma_f16 v6, v79, v8, v6 op_sel_hi:[1,0,1]
	s_waitcnt lgkmcnt(11)
	v_pk_fma_f16 v7, v81, v9, v7 op_sel:[0,1,0]
	ds_load_2addr_b64 v[76:79], v62 offset1:32
	ds_load_2addr_b64 v[120:123], v62 offset0:64 offset1:96
	v_pk_fma_f16 v8, v80, v9, v13 op_sel_hi:[1,0,1]
	v_pk_fma_f16 v1, v80, v9, v1 op_sel:[0,1,0]
	v_pk_fma_f16 v6, v81, v9, v6 op_sel_hi:[1,0,1]
	v_pk_fma_f16 v13, v83, v10, v7 op_sel:[0,1,0]
	s_delay_alu instid0(VALU_DEP_4) | instskip(NEXT) | instid1(VALU_DEP_4)
	v_pk_fma_f16 v14, v82, v10, v8 op_sel_hi:[1,0,1]
	v_pk_fma_f16 v1, v82, v10, v1 op_sel:[0,1,0]
	s_delay_alu instid0(VALU_DEP_4)
	v_pk_fma_f16 v10, v83, v10, v6 op_sel_hi:[1,0,1]
	s_waitcnt lgkmcnt(12)
	v_pk_fma_f16 v13, v85, v11, v13 op_sel:[0,1,0]
	ds_load_2addr_b64 v[6:9], v62 offset0:128 offset1:160
	v_pk_fma_f16 v14, v84, v11, v14 op_sel_hi:[1,0,1]
	v_pk_fma_f16 v1, v84, v11, v1 op_sel:[0,1,0]
	v_pk_fma_f16 v10, v85, v11, v10 op_sel_hi:[1,0,1]
	v_pk_fma_f16 v15, v87, v12, v13 op_sel:[0,1,0]
	s_delay_alu instid0(VALU_DEP_4) | instskip(NEXT) | instid1(VALU_DEP_4)
	v_pk_fma_f16 v14, v86, v12, v14 op_sel_hi:[1,0,1]
	v_pk_fma_f16 v1, v86, v12, v1 op_sel:[0,1,0]
	s_delay_alu instid0(VALU_DEP_4)
	v_pk_fma_f16 v84, v87, v12, v10 op_sel_hi:[1,0,1]
	s_waitcnt lgkmcnt(12)
	v_pk_fma_f16 v15, v89, v68, v15 op_sel:[0,1,0]
	ds_load_b128 v[10:13], v52 offset:96
	ds_load_b128 v[80:83], v52 offset:112
	v_pk_fma_f16 v14, v88, v68, v14 op_sel_hi:[1,0,1]
	v_pk_fma_f16 v1, v88, v68, v1 op_sel:[0,1,0]
	v_pk_fma_f16 v68, v89, v68, v84 op_sel_hi:[1,0,1]
	v_pk_fma_f16 v15, v91, v69, v15 op_sel:[0,1,0]
	ds_load_2addr_b64 v[84:87], v62 offset0:192 offset1:224
	v_pk_fma_f16 v14, v90, v69, v14 op_sel_hi:[1,0,1]
	v_pk_fma_f16 v1, v90, v69, v1 op_sel:[0,1,0]
	v_pk_fma_f16 v68, v91, v69, v68 op_sel_hi:[1,0,1]
	s_waitcnt lgkmcnt(14)
	v_pk_fma_f16 v15, v93, v70, v15 op_sel:[0,1,0]
	s_waitcnt lgkmcnt(0)
	v_pk_fma_f16 v14, v92, v70, v14 op_sel_hi:[1,0,1]
	v_pk_fma_f16 v1, v92, v70, v1 op_sel:[0,1,0]
	v_pk_fma_f16 v68, v93, v70, v68 op_sel_hi:[1,0,1]
	s_barrier
	buffer_gl0_inv
	v_pk_fma_f16 v15, v95, v71, v15 op_sel:[0,1,0]
	v_pk_fma_f16 v14, v94, v71, v14 op_sel_hi:[1,0,1]
	v_pk_fma_f16 v137, v94, v71, v1 op_sel:[0,1,0]
	v_pk_fma_f16 v138, v95, v71, v68 op_sel_hi:[1,0,1]
	s_clause 0x3
	global_load_b128 v[68:71], v[130:131], off
	global_load_b128 v[88:91], v[124:125], off
	;; [unrolled: 1-line block ×4, first 2 shown]
	v_pk_fma_f16 v15, v97, v72, v15 op_sel:[0,1,0]
	v_pk_fma_f16 v14, v96, v72, v14 op_sel_hi:[1,0,1]
	v_pk_fma_f16 v96, v96, v72, v137 op_sel:[0,1,0]
	v_pk_fma_f16 v72, v97, v72, v138 op_sel_hi:[1,0,1]
	v_dual_mov_b32 v128, v44 :: v_dual_mov_b32 v1, v67
	v_pk_fma_f16 v15, v99, v73, v15 op_sel:[0,1,0]
	v_pk_fma_f16 v14, v98, v73, v14 op_sel_hi:[1,0,1]
	v_pk_fma_f16 v96, v98, v73, v96 op_sel:[0,1,0]
	v_pk_fma_f16 v72, v99, v73, v72 op_sel_hi:[1,0,1]
	v_add_f32_e32 v44, v133, v132
	v_pk_fma_f16 v15, v101, v74, v15 op_sel:[0,1,0]
	v_pk_fma_f16 v14, v100, v74, v14 op_sel_hi:[1,0,1]
	v_pk_fma_f16 v73, v100, v74, v96 op_sel:[0,1,0]
	v_pk_fma_f16 v72, v101, v74, v72 op_sel_hi:[1,0,1]
	v_dual_add_f32 v67, v134, v136 :: v_dual_fmac_f32 v44, v128, v135
	v_pk_fma_f16 v15, v103, v75, v15 op_sel:[0,1,0]
	v_pk_fma_f16 v14, v102, v75, v14 op_sel_hi:[1,0,1]
	v_pk_fma_f16 v73, v102, v75, v73 op_sel:[0,1,0]
	v_pk_fma_f16 v72, v103, v75, v72 op_sel_hi:[1,0,1]
	v_fmac_f32_e32 v67, v1, v0
	v_pk_fma_f16 v15, v105, v116, v15 op_sel:[0,1,0]
	v_pk_fma_f16 v14, v104, v116, v14 op_sel_hi:[1,0,1]
	v_pk_fma_f16 v73, v104, v116, v73 op_sel:[0,1,0]
	v_pk_fma_f16 v72, v105, v116, v72 op_sel_hi:[1,0,1]
	s_waitcnt vmcnt(3)
	ds_store_b128 v51, v[68:71]
	s_waitcnt vmcnt(2)
	ds_store_b128 v53, v[88:91]
	;; [unrolled: 2-line block ×4, first 2 shown]
	v_pk_fma_f16 v15, v107, v117, v15 op_sel:[0,1,0]
	v_pk_fma_f16 v14, v106, v117, v14 op_sel_hi:[1,0,1]
	v_pk_fma_f16 v73, v106, v117, v73 op_sel:[0,1,0]
	v_pk_fma_f16 v72, v107, v117, v72 op_sel_hi:[1,0,1]
	s_waitcnt lgkmcnt(0)
	v_pk_fma_f16 v15, v109, v118, v15 op_sel:[0,1,0]
	v_pk_fma_f16 v14, v108, v118, v14 op_sel_hi:[1,0,1]
	v_pk_fma_f16 v73, v108, v118, v73 op_sel:[0,1,0]
	v_pk_fma_f16 v72, v109, v118, v72 op_sel_hi:[1,0,1]
	s_barrier
	v_pk_fma_f16 v15, v111, v119, v15 op_sel:[0,1,0]
	v_pk_fma_f16 v14, v110, v119, v14 op_sel_hi:[1,0,1]
	v_pk_fma_f16 v73, v110, v119, v73 op_sel:[0,1,0]
	v_pk_fma_f16 v72, v111, v119, v72 op_sel_hi:[1,0,1]
	buffer_gl0_inv
	v_pk_fma_f16 v15, v113, v63, v15 op_sel:[0,1,0]
	v_pk_fma_f16 v14, v112, v63, v14 op_sel_hi:[1,0,1]
	v_pk_fma_f16 v73, v112, v63, v73 op_sel:[0,1,0]
	v_pk_fma_f16 v63, v113, v63, v72 op_sel_hi:[1,0,1]
	s_delay_alu instid0(VALU_DEP_4) | instskip(NEXT) | instid1(VALU_DEP_4)
	v_pk_fma_f16 v15, v115, v64, v15 op_sel:[0,1,0]
	v_pk_fma_f16 v14, v114, v64, v14 op_sel_hi:[1,0,1]
	s_delay_alu instid0(VALU_DEP_4) | instskip(NEXT) | instid1(VALU_DEP_4)
	;; [unrolled: 3-line block ×22, first 2 shown]
	v_pk_fma_f16 v132, v86, v83, v2 op_sel:[0,1,0]
	v_pk_fma_f16 v133, v87, v83, v3 op_sel_hi:[1,0,1]
	ds_load_2addr_b64 v[2:5], v56 offset1:32
	ds_load_b128 v[6:9], v52 offset:128
	ds_load_b128 v[10:13], v52 offset:144
	ds_load_b128 v[63:66], v52 offset:160
	ds_load_b128 v[68:71], v52 offset:176
	ds_load_2addr_b64 v[72:75], v56 offset0:64 offset1:96
	ds_load_2addr_b64 v[76:79], v56 offset0:128 offset1:160
	;; [unrolled: 1-line block ×3, first 2 shown]
	ds_load_2addr_b64 v[84:87], v60 offset1:32
	ds_load_2addr_b64 v[88:91], v60 offset0:64 offset1:96
	ds_load_2addr_b64 v[92:95], v60 offset0:128 offset1:160
	;; [unrolled: 1-line block ×3, first 2 shown]
	ds_load_2addr_b64 v[100:103], v61 offset1:32
	ds_load_2addr_b64 v[104:107], v61 offset0:64 offset1:96
	ds_load_2addr_b64 v[108:111], v61 offset0:128 offset1:160
	ds_load_b128 v[112:115], v52 offset:192
	ds_load_b128 v[116:119], v52 offset:208
	ds_load_2addr_b64 v[120:123], v61 offset0:192 offset1:224
	ds_load_2addr_b64 v[124:127], v62 offset1:32
	ds_load_2addr_b64 v[128:131], v62 offset0:64 offset1:96
	s_waitcnt lgkmcnt(18)
	v_pk_fma_f16 v15, v2, v6, v15 op_sel_hi:[1,0,1]
	v_pk_fma_f16 v2, v2, v6, v132 op_sel:[0,1,0]
	v_pk_fma_f16 v132, v3, v6, v133 op_sel_hi:[1,0,1]
	v_pk_fma_f16 v3, v3, v6, v14 op_sel:[0,1,0]
	s_delay_alu instid0(VALU_DEP_4) | instskip(NEXT) | instid1(VALU_DEP_4)
	v_pk_fma_f16 v6, v4, v7, v15 op_sel_hi:[1,0,1]
	v_pk_fma_f16 v14, v4, v7, v2 op_sel:[0,1,0]
	s_delay_alu instid0(VALU_DEP_4) | instskip(NEXT) | instid1(VALU_DEP_4)
	v_pk_fma_f16 v15, v5, v7, v132 op_sel_hi:[1,0,1]
	v_pk_fma_f16 v7, v5, v7, v3 op_sel:[0,1,0]
	ds_load_2addr_b64 v[2:5], v62 offset0:128 offset1:160
	s_waitcnt lgkmcnt(15)
	v_pk_fma_f16 v6, v72, v8, v6 op_sel_hi:[1,0,1]
	v_pk_fma_f16 v14, v72, v8, v14 op_sel:[0,1,0]
	v_pk_fma_f16 v15, v73, v8, v15 op_sel_hi:[1,0,1]
	v_pk_fma_f16 v7, v73, v8, v7 op_sel:[0,1,0]
	s_delay_alu instid0(VALU_DEP_4) | instskip(NEXT) | instid1(VALU_DEP_4)
	v_pk_fma_f16 v132, v74, v9, v6 op_sel_hi:[1,0,1]
	v_pk_fma_f16 v14, v74, v9, v14 op_sel:[0,1,0]
	s_delay_alu instid0(VALU_DEP_4) | instskip(NEXT) | instid1(VALU_DEP_4)
	v_pk_fma_f16 v15, v75, v9, v15 op_sel_hi:[1,0,1]
	v_pk_fma_f16 v133, v75, v9, v7 op_sel:[0,1,0]
	ds_load_b128 v[6:9], v52 offset:224
	ds_load_b128 v[72:75], v52 offset:240
	s_waitcnt lgkmcnt(16)
	v_pk_fma_f16 v132, v76, v10, v132 op_sel_hi:[1,0,1]
	v_pk_fma_f16 v14, v76, v10, v14 op_sel:[0,1,0]
	v_pk_fma_f16 v15, v77, v10, v15 op_sel_hi:[1,0,1]
	v_pk_fma_f16 v10, v77, v10, v133 op_sel:[0,1,0]
	s_delay_alu instid0(VALU_DEP_4) | instskip(NEXT) | instid1(VALU_DEP_4)
	v_pk_fma_f16 v132, v78, v11, v132 op_sel_hi:[1,0,1]
	v_pk_fma_f16 v14, v78, v11, v14 op_sel:[0,1,0]
	s_delay_alu instid0(VALU_DEP_4) | instskip(NEXT) | instid1(VALU_DEP_4)
	v_pk_fma_f16 v15, v79, v11, v15 op_sel_hi:[1,0,1]
	v_pk_fma_f16 v10, v79, v11, v10 op_sel:[0,1,0]
	ds_load_2addr_b64 v[76:79], v62 offset0:192 offset1:224
	s_waitcnt lgkmcnt(16)
	v_pk_fma_f16 v11, v80, v12, v132 op_sel_hi:[1,0,1]
	v_pk_fma_f16 v14, v80, v12, v14 op_sel:[0,1,0]
	v_pk_fma_f16 v15, v81, v12, v15 op_sel_hi:[1,0,1]
	v_pk_fma_f16 v10, v81, v12, v10 op_sel:[0,1,0]
	s_waitcnt lgkmcnt(0)
	v_pk_fma_f16 v11, v82, v13, v11 op_sel_hi:[1,0,1]
	v_pk_fma_f16 v12, v82, v13, v14 op_sel:[0,1,0]
	v_pk_fma_f16 v14, v83, v13, v15 op_sel_hi:[1,0,1]
	v_pk_fma_f16 v10, v83, v13, v10 op_sel:[0,1,0]
	s_barrier
	v_pk_fma_f16 v11, v84, v63, v11 op_sel_hi:[1,0,1]
	v_pk_fma_f16 v12, v84, v63, v12 op_sel:[0,1,0]
	v_pk_fma_f16 v13, v85, v63, v14 op_sel_hi:[1,0,1]
	v_pk_fma_f16 v10, v85, v63, v10 op_sel:[0,1,0]
	buffer_gl0_inv
	v_pk_fma_f16 v11, v86, v64, v11 op_sel_hi:[1,0,1]
	v_pk_fma_f16 v12, v86, v64, v12 op_sel:[0,1,0]
	v_pk_fma_f16 v13, v87, v64, v13 op_sel_hi:[1,0,1]
	v_pk_fma_f16 v10, v87, v64, v10 op_sel:[0,1,0]
	s_load_b32 s2, s[16:17], 0x4
	v_pk_fma_f16 v11, v88, v65, v11 op_sel_hi:[1,0,1]
	v_pk_fma_f16 v12, v88, v65, v12 op_sel:[0,1,0]
	v_pk_fma_f16 v13, v89, v65, v13 op_sel_hi:[1,0,1]
	v_pk_fma_f16 v10, v89, v65, v10 op_sel:[0,1,0]
	s_delay_alu instid0(VALU_DEP_4) | instskip(NEXT) | instid1(VALU_DEP_4)
	v_pk_fma_f16 v11, v90, v66, v11 op_sel_hi:[1,0,1]
	v_pk_fma_f16 v12, v90, v66, v12 op_sel:[0,1,0]
	s_delay_alu instid0(VALU_DEP_4) | instskip(NEXT) | instid1(VALU_DEP_4)
	;; [unrolled: 3-line block ×6, first 2 shown]
	v_pk_fma_f16 v13, v95, v69, v13 op_sel_hi:[1,0,1]
	v_pk_fma_f16 v10, v95, v69, v10 op_sel:[0,1,0]
	s_waitcnt lgkmcnt(0)
	s_lshl_b32 s2, s2, 6
	v_pk_fma_f16 v11, v96, v70, v11 op_sel_hi:[1,0,1]
	v_pk_fma_f16 v12, v96, v70, v12 op_sel:[0,1,0]
	v_pk_fma_f16 v13, v97, v70, v13 op_sel_hi:[1,0,1]
	v_pk_fma_f16 v10, v97, v70, v10 op_sel:[0,1,0]
	s_add_i32 s13, s2, s13
	v_pk_fma_f16 v11, v98, v71, v11 op_sel_hi:[1,0,1]
	v_pk_fma_f16 v12, v98, v71, v12 op_sel:[0,1,0]
	v_pk_fma_f16 v13, v99, v71, v13 op_sel_hi:[1,0,1]
	v_pk_fma_f16 v10, v99, v71, v10 op_sel:[0,1,0]
	s_cmp_ge_i32 s13, s40
	v_pk_fma_f16 v11, v100, v112, v11 op_sel_hi:[1,0,1]
	v_pk_fma_f16 v12, v100, v112, v12 op_sel:[0,1,0]
	v_pk_fma_f16 v13, v101, v112, v13 op_sel_hi:[1,0,1]
	v_pk_fma_f16 v10, v101, v112, v10 op_sel:[0,1,0]
	s_delay_alu instid0(VALU_DEP_4) | instskip(NEXT) | instid1(VALU_DEP_4)
	v_pk_fma_f16 v11, v102, v113, v11 op_sel_hi:[1,0,1]
	v_pk_fma_f16 v12, v102, v113, v12 op_sel:[0,1,0]
	s_delay_alu instid0(VALU_DEP_4) | instskip(NEXT) | instid1(VALU_DEP_4)
	;; [unrolled: 3-line block ×30, first 2 shown]
	v_pk_fma_f16 v66, v79, v75, v2 op_sel_hi:[1,0,1]
	v_pk_fma_f16 v63, v79, v75, v3 op_sel:[0,1,0]
	s_cbranch_scc0 .LBB43_9
; %bb.10:
	v_dual_mov_b32 v0, 32 :: v_dual_mov_b32 v3, v38
.LBB43_11:
	s_delay_alu instid0(VALU_DEP_1)
	v_cmp_lt_i32_e32 vcc_lo, v43, v0
	s_cmp_lg_u64 s[24:25], 0
	s_cselect_b32 s2, -1, 0
	s_cmp_eq_u32 s14, 0
	v_cndmask_b32_e32 v1, v3, v43, vcc_lo
	v_cmp_lt_i32_e32 vcc_lo, v42, v0
	s_cselect_b32 s3, -1, 0
	s_delay_alu instid0(SALU_CYCLE_1) | instskip(SKIP_2) | instid1(VALU_DEP_2)
	s_and_b32 s2, s3, s2
	v_cndmask_b32_e32 v4, v3, v42, vcc_lo
	v_cmp_lt_i32_e32 vcc_lo, v41, v0
	v_lshlrev_b32_e32 v4, 2, v4
	v_lshlrev_b32_e32 v1, 2, v1
	v_cndmask_b32_e32 v6, v3, v41, vcc_lo
	v_cmp_lt_i32_e32 vcc_lo, v40, v0
	ds_bpermute_b32 v2, v1, v44
	v_lshlrev_b32_e32 v6, 2, v6
	s_waitcnt lgkmcnt(0)
	v_add_f32_e32 v2, v44, v2
	ds_bpermute_b32 v1, v1, v67
	ds_bpermute_b32 v5, v4, v2
	s_waitcnt lgkmcnt(1)
	v_add_f32_e32 v1, v67, v1
	s_waitcnt lgkmcnt(0)
	v_add_f32_e32 v2, v2, v5
	ds_bpermute_b32 v4, v4, v1
	s_waitcnt lgkmcnt(0)
	v_add_f32_e32 v1, v1, v4
	ds_bpermute_b32 v4, v6, v2
	ds_bpermute_b32 v5, v6, v1
	s_waitcnt lgkmcnt(0)
	v_dual_add_f32 v2, v2, v4 :: v_dual_add_f32 v1, v1, v5
	v_cndmask_b32_e32 v6, v3, v40, vcc_lo
	v_cmp_lt_i32_e32 vcc_lo, v39, v0
	s_delay_alu instid0(VALU_DEP_2)
	v_lshlrev_b32_e32 v6, 2, v6
	v_cndmask_b32_e32 v0, v3, v39, vcc_lo
	s_and_b32 vcc_lo, exec_lo, s2
	ds_bpermute_b32 v4, v6, v2
	ds_bpermute_b32 v5, v6, v1
	v_lshlrev_b32_e32 v0, 2, v0
	s_waitcnt lgkmcnt(0)
	v_dual_add_f32 v2, v2, v4 :: v_dual_add_f32 v1, v1, v5
	ds_bpermute_b32 v3, v0, v2
	ds_bpermute_b32 v4, v0, v1
	s_waitcnt lgkmcnt(0)
	v_dual_add_f32 v0, v2, v3 :: v_dual_add_f32 v1, v1, v4
	s_cbranch_vccz .LBB43_14
; %bb.12:
	s_ashr_i32 s35, s34, 31
	v_mov_b32_e32 v2, 0
	s_lshl_b64 s[2:3], s[34:35], 2
	s_delay_alu instid0(SALU_CYCLE_1)
	s_add_u32 s2, s24, s2
	s_addc_u32 s3, s25, s3
	global_load_b64 v[2:3], v2, s[2:3]
	v_max_f32_e32 v4, v35, v35
	s_waitcnt vmcnt(0)
	v_dual_max_f32 v6, v36, v36 :: v_dual_max_f32 v5, v2, v2
	s_delay_alu instid0(VALU_DEP_1) | instskip(NEXT) | instid1(VALU_DEP_1)
	v_dual_max_f32 v7, v3, v3 :: v_dual_max_f32 v4, v4, v5
	v_dual_max_f32 v5, v6, v7 :: v_dual_sub_f32 v6, v35, v4
	s_delay_alu instid0(VALU_DEP_1) | instskip(SKIP_2) | instid1(VALU_DEP_4)
	v_sub_f32_e32 v7, v36, v5
	v_dual_sub_f32 v3, v3, v5 :: v_dual_sub_f32 v2, v2, v4
	v_mov_b32_e32 v36, v5
	v_cmp_ngt_f32_e32 vcc_lo, 0xc2ce8ed0, v6
	s_delay_alu instid0(VALU_DEP_4) | instskip(NEXT) | instid1(VALU_DEP_4)
	v_mul_f32_e32 v10, 0x3fb8aa3b, v7
	v_mul_f32_e32 v11, 0x3fb8aa3b, v3
	;; [unrolled: 1-line block ×3, first 2 shown]
	v_mov_b32_e32 v35, v4
	s_delay_alu instid0(VALU_DEP_4) | instskip(NEXT) | instid1(VALU_DEP_4)
	v_fma_f32 v18, 0x3fb8aa3b, v7, -v10
	v_fma_f32 v20, 0x3fb8aa3b, v3, -v11
	s_delay_alu instid0(VALU_DEP_4)
	v_rndne_f32_e32 v15, v9
	v_mul_f32_e32 v8, 0x3fb8aa3b, v6
	v_fma_f32 v14, 0x3fb8aa3b, v2, -v9
	v_rndne_f32_e32 v21, v11
	v_fmac_f32_e32 v20, 0x32a5705f, v3
	v_sub_f32_e32 v9, v9, v15
	v_fma_f32 v12, 0x3fb8aa3b, v6, -v8
	v_rndne_f32_e32 v13, v8
	v_dual_sub_f32 v11, v11, v21 :: v_dual_fmac_f32 v14, 0x32a5705f, v2
	v_rndne_f32_e32 v19, v10
	s_delay_alu instid0(VALU_DEP_2) | instskip(NEXT) | instid1(VALU_DEP_3)
	v_dual_fmac_f32 v12, 0x32a5705f, v6 :: v_dual_add_f32 v11, v11, v20
	v_dual_sub_f32 v8, v8, v13 :: v_dual_add_f32 v9, v9, v14
	s_delay_alu instid0(VALU_DEP_3) | instskip(SKIP_1) | instid1(VALU_DEP_4)
	v_sub_f32_e32 v10, v10, v19
	v_cvt_i32_f32_e32 v14, v19
	v_exp_f32_e32 v11, v11
	s_delay_alu instid0(VALU_DEP_3)
	v_add_f32_e32 v8, v8, v12
	v_exp_f32_e32 v9, v9
	v_cvt_i32_f32_e32 v12, v13
	v_cvt_i32_f32_e32 v13, v15
	;; [unrolled: 1-line block ×3, first 2 shown]
	v_exp_f32_e32 v8, v8
	s_delay_alu instid0(TRANS32_DEP_3) | instid1(VALU_DEP_1)
	v_ldexp_f32 v11, v11, v15
	s_waitcnt_depctr 0xfff
	v_ldexp_f32 v9, v9, v13
	v_ldexp_f32 v8, v8, v12
	s_delay_alu instid0(VALU_DEP_1) | instskip(SKIP_1) | instid1(VALU_DEP_4)
	v_cndmask_b32_e32 v8, 0, v8, vcc_lo
	v_cmp_ngt_f32_e32 vcc_lo, 0xc2ce8ed0, v2
	v_dual_fmac_f32 v18, 0x32a5705f, v7 :: v_dual_cndmask_b32 v9, 0, v9
	s_delay_alu instid0(VALU_DEP_1) | instskip(SKIP_1) | instid1(VALU_DEP_2)
	v_add_f32_e32 v10, v10, v18
	v_cmp_ngt_f32_e32 vcc_lo, 0xc2ce8ed0, v7
	v_exp_f32_e32 v10, v10
	s_waitcnt_depctr 0xfff
	v_ldexp_f32 v10, v10, v14
	s_delay_alu instid0(VALU_DEP_1)
	v_cndmask_b32_e32 v10, 0, v10, vcc_lo
	v_cmp_ngt_f32_e32 vcc_lo, 0xc2ce8ed0, v3
	v_cndmask_b32_e32 v11, 0, v11, vcc_lo
	v_cmp_nlt_f32_e32 vcc_lo, 0x42b17218, v6
	v_cndmask_b32_e32 v6, 0x7f800000, v8, vcc_lo
	v_cmp_nlt_f32_e32 vcc_lo, 0x42b17218, v2
	s_delay_alu instid0(VALU_DEP_2) | instskip(SKIP_2) | instid1(VALU_DEP_3)
	v_cvt_f16_f32_e32 v8, v6
	v_cndmask_b32_e32 v2, 0x7f800000, v9, vcc_lo
	v_cmp_nlt_f32_e32 vcc_lo, 0x42b17218, v7
	v_pk_mul_f16 v65, v8, v65 op_sel_hi:[0,1]
	s_delay_alu instid0(VALU_DEP_3) | instskip(SKIP_3) | instid1(VALU_DEP_4)
	v_fmac_f32_e32 v2, v0, v6
	v_cndmask_b32_e32 v7, 0x7f800000, v10, vcc_lo
	v_cmp_nlt_f32_e32 vcc_lo, 0x42b17218, v3
	v_pk_mul_f16 v66, v8, v66 op_sel_hi:[0,1]
	v_mov_b32_e32 v0, v2
	s_delay_alu instid0(VALU_DEP_4) | instskip(SKIP_1) | instid1(VALU_DEP_2)
	v_cvt_f16_f32_e32 v4, v7
	v_cndmask_b32_e32 v3, 0x7f800000, v11, vcc_lo
	v_pk_mul_f16 v64, v4, v64 op_sel_hi:[0,1]
	s_delay_alu instid0(VALU_DEP_2) | instskip(SKIP_1) | instid1(VALU_DEP_2)
	v_fmac_f32_e32 v3, v1, v7
	v_pk_mul_f16 v63, v4, v63 op_sel_hi:[0,1]
	v_mov_b32_e32 v1, v3
	s_mov_b32 s2, exec_lo
	v_cmpx_gt_i32_e64 s38, v16
	s_cbranch_execnz .LBB43_15
.LBB43_13:
	s_nop 0
	s_sendmsg sendmsg(MSG_DEALLOC_VGPRS)
	s_endpgm
.LBB43_14:
	s_delay_alu instid0(VALU_DEP_1)
	v_dual_mov_b32 v3, v1 :: v_dual_mov_b32 v2, v0
	s_mov_b32 s2, exec_lo
	v_cmpx_gt_i32_e64 s38, v16
	s_cbranch_execz .LBB43_13
.LBB43_15:
	s_load_b32 s1, s[0:1], 0xd4
	v_mov_b32_e32 v6, 1.0
	s_waitcnt lgkmcnt(0)
	s_cmp_lg_u32 s1, 1
	s_cselect_b32 s3, -1, 0
	s_cmp_eq_u32 s1, 1
	s_cselect_b32 s2, -1, 0
	s_and_b32 vcc_lo, exec_lo, s3
	s_cbranch_vccnz .LBB43_17
; %bb.16:
	v_div_scale_f32 v4, null, v0, v0, 1.0
	s_delay_alu instid0(VALU_DEP_1) | instskip(SKIP_2) | instid1(VALU_DEP_1)
	v_rcp_f32_e32 v5, v4
	s_waitcnt_depctr 0xfff
	v_fma_f32 v6, -v4, v5, 1.0
	v_fmac_f32_e32 v5, v6, v5
	v_div_scale_f32 v6, vcc_lo, 1.0, v0, 1.0
	s_delay_alu instid0(VALU_DEP_1) | instskip(NEXT) | instid1(VALU_DEP_1)
	v_mul_f32_e32 v7, v6, v5
	v_fma_f32 v8, -v4, v7, v6
	s_delay_alu instid0(VALU_DEP_1) | instskip(NEXT) | instid1(VALU_DEP_1)
	v_fmac_f32_e32 v7, v8, v5
	v_fma_f32 v4, -v4, v7, v6
	s_delay_alu instid0(VALU_DEP_1) | instskip(NEXT) | instid1(VALU_DEP_1)
	v_div_fmas_f32 v4, v4, v5, v7
	v_div_fixup_f32 v6, v4, v0, 1.0
.LBB43_17:
	v_mad_u64_u32 v[4:5], null, s33, s38, v[16:17]
	v_cvt_f32_f16_e32 v9, v65
	v_lshrrev_b32_e32 v0, 16, v65
	v_cvt_f32_f16_e32 v10, v66
	v_cmp_eq_u32_e32 vcc_lo, 0, v17
	s_delay_alu instid0(VALU_DEP_3) | instskip(SKIP_2) | instid1(VALU_DEP_2)
	v_cvt_f32_f16_e32 v0, v0
	v_mad_u64_u32 v[7:8], null, v4, s39, s[34:35]
	v_mov_b32_e32 v8, 0
	v_mad_u64_u32 v[4:5], null, s1, v7, s[14:15]
	v_lshrrev_b32_e32 v5, 16, v66
	s_delay_alu instid0(VALU_DEP_1) | instskip(NEXT) | instid1(VALU_DEP_3)
	v_cvt_f32_f16_e32 v5, v5
	v_lshl_add_u32 v7, v4, 7, v37
	s_delay_alu instid0(VALU_DEP_1)
	v_lshlrev_b64 v[11:12], 2, v[7:8]
	v_mul_f32_e32 v7, v6, v9
	v_mul_f32_e32 v9, v6, v10
	;; [unrolled: 1-line block ×4, first 2 shown]
	v_add_co_u32 v5, s0, s28, v11
	s_delay_alu instid0(VALU_DEP_1)
	v_add_co_ci_u32_e64 v6, s0, s29, v12, s0
	s_and_b32 s0, vcc_lo, s3
	global_store_b128 v[5:6], v[7:10], off
	s_and_saveexec_b32 s3, s0
	s_cbranch_execz .LBB43_19
; %bb.18:
	v_ashrrev_i32_e32 v5, 31, v4
	v_dual_mov_b32 v7, v35 :: v_dual_mov_b32 v8, v2
	s_delay_alu instid0(VALU_DEP_2) | instskip(NEXT) | instid1(VALU_DEP_1)
	v_lshlrev_b64 v[5:6], 3, v[4:5]
	v_add_co_u32 v5, vcc_lo, s30, v5
	s_delay_alu instid0(VALU_DEP_2)
	v_add_co_ci_u32_e32 v6, vcc_lo, s31, v6, vcc_lo
	global_store_b64 v[5:6], v[7:8], off
.LBB43_19:
	s_or_b32 exec_lo, exec_lo, s3
	v_mov_b32_e32 v2, 1.0
	s_and_not1_b32 vcc_lo, exec_lo, s2
	s_cbranch_vccnz .LBB43_21
; %bb.20:
	v_div_scale_f32 v0, null, v1, v1, 1.0
	s_delay_alu instid0(VALU_DEP_1) | instskip(SKIP_2) | instid1(VALU_DEP_1)
	v_rcp_f32_e32 v2, v0
	s_waitcnt_depctr 0xfff
	v_fma_f32 v5, -v0, v2, 1.0
	v_fmac_f32_e32 v2, v5, v2
	v_div_scale_f32 v5, vcc_lo, 1.0, v1, 1.0
	s_delay_alu instid0(VALU_DEP_1) | instskip(NEXT) | instid1(VALU_DEP_1)
	v_mul_f32_e32 v6, v5, v2
	v_fma_f32 v7, -v0, v6, v5
	s_delay_alu instid0(VALU_DEP_1) | instskip(NEXT) | instid1(VALU_DEP_1)
	v_fmac_f32_e32 v6, v7, v2
	v_fma_f32 v0, -v0, v6, v5
	s_delay_alu instid0(VALU_DEP_1) | instskip(NEXT) | instid1(VALU_DEP_1)
	v_div_fmas_f32 v0, v0, v2, v6
	v_div_fixup_f32 v2, v0, v1, 1.0
.LBB43_21:
	v_dual_mov_b32 v5, 0 :: v_dual_add_nc_u32 v0, s1, v4
	v_lshrrev_b32_e32 v1, 16, v64
	v_lshrrev_b32_e32 v6, 16, v63
	v_cvt_f32_f16_e32 v7, v64
	s_delay_alu instid0(VALU_DEP_4) | instskip(SKIP_3) | instid1(VALU_DEP_4)
	v_lshl_add_u32 v4, v0, 7, v37
	v_cvt_f32_f16_e32 v10, v63
	v_cvt_f32_f16_e32 v1, v1
	;; [unrolled: 1-line block ×3, first 2 shown]
	v_lshlrev_b64 v[8:9], 2, v[4:5]
	v_mul_f32_e32 v4, v2, v7
	s_delay_alu instid0(VALU_DEP_4)
	v_mul_f32_e32 v5, v2, v1
	v_mul_f32_e32 v6, v2, v10
	v_mul_f32_e32 v7, v2, v11
	v_add_co_u32 v1, vcc_lo, s28, v8
	v_add_co_ci_u32_e32 v2, vcc_lo, s29, v9, vcc_lo
	global_store_b128 v[1:2], v[4:7], off
	s_and_b32 exec_lo, exec_lo, s0
	s_cbranch_execz .LBB43_13
; %bb.22:
	v_ashrrev_i32_e32 v1, 31, v0
	v_mov_b32_e32 v2, v36
	s_delay_alu instid0(VALU_DEP_2) | instskip(NEXT) | instid1(VALU_DEP_1)
	v_lshlrev_b64 v[0:1], 3, v[0:1]
	v_add_co_u32 v0, vcc_lo, s30, v0
	s_delay_alu instid0(VALU_DEP_2)
	v_add_co_ci_u32_e32 v1, vcc_lo, s31, v1, vcc_lo
	global_store_b64 v[0:1], v[2:3], off
	s_nop 0
	s_sendmsg sendmsg(MSG_DEALLOC_VGPRS)
	s_endpgm
	.section	.rodata,"a",@progbits
	.p2align	6, 0x0
	.amdhsa_kernel _ZL15flash_attn_tileILi128ELi128ELi4ELi2ELb0EEvPKcS1_S1_S1_S1_PKiPfP15HIP_vector_typeIfLj2EEffffjfiS5_IjLj3EEiiiiiiiiiiiliiliiiiil
		.amdhsa_group_segment_fixed_size 12288
		.amdhsa_private_segment_fixed_size 0
		.amdhsa_kernarg_size 464
		.amdhsa_user_sgpr_count 13
		.amdhsa_user_sgpr_dispatch_ptr 0
		.amdhsa_user_sgpr_queue_ptr 0
		.amdhsa_user_sgpr_kernarg_segment_ptr 1
		.amdhsa_user_sgpr_dispatch_id 0
		.amdhsa_user_sgpr_private_segment_size 0
		.amdhsa_wavefront_size32 1
		.amdhsa_uses_dynamic_stack 0
		.amdhsa_enable_private_segment 0
		.amdhsa_system_sgpr_workgroup_id_x 1
		.amdhsa_system_sgpr_workgroup_id_y 1
		.amdhsa_system_sgpr_workgroup_id_z 1
		.amdhsa_system_sgpr_workgroup_info 0
		.amdhsa_system_vgpr_workitem_id 1
		.amdhsa_next_free_vgpr 139
		.amdhsa_next_free_sgpr 44
		.amdhsa_reserve_vcc 1
		.amdhsa_float_round_mode_32 0
		.amdhsa_float_round_mode_16_64 0
		.amdhsa_float_denorm_mode_32 3
		.amdhsa_float_denorm_mode_16_64 3
		.amdhsa_dx10_clamp 1
		.amdhsa_ieee_mode 1
		.amdhsa_fp16_overflow 0
		.amdhsa_workgroup_processor_mode 1
		.amdhsa_memory_ordered 1
		.amdhsa_forward_progress 0
		.amdhsa_shared_vgpr_count 0
		.amdhsa_exception_fp_ieee_invalid_op 0
		.amdhsa_exception_fp_denorm_src 0
		.amdhsa_exception_fp_ieee_div_zero 0
		.amdhsa_exception_fp_ieee_overflow 0
		.amdhsa_exception_fp_ieee_underflow 0
		.amdhsa_exception_fp_ieee_inexact 0
		.amdhsa_exception_int_div_zero 0
	.end_amdhsa_kernel
	.section	.text._ZL15flash_attn_tileILi128ELi128ELi4ELi2ELb0EEvPKcS1_S1_S1_S1_PKiPfP15HIP_vector_typeIfLj2EEffffjfiS5_IjLj3EEiiiiiiiiiiiliiliiiiil,"axG",@progbits,_ZL15flash_attn_tileILi128ELi128ELi4ELi2ELb0EEvPKcS1_S1_S1_S1_PKiPfP15HIP_vector_typeIfLj2EEffffjfiS5_IjLj3EEiiiiiiiiiiiliiliiiiil,comdat
.Lfunc_end43:
	.size	_ZL15flash_attn_tileILi128ELi128ELi4ELi2ELb0EEvPKcS1_S1_S1_S1_PKiPfP15HIP_vector_typeIfLj2EEffffjfiS5_IjLj3EEiiiiiiiiiiiliiliiiiil, .Lfunc_end43-_ZL15flash_attn_tileILi128ELi128ELi4ELi2ELb0EEvPKcS1_S1_S1_S1_PKiPfP15HIP_vector_typeIfLj2EEffffjfiS5_IjLj3EEiiiiiiiiiiiliiliiiiil
                                        ; -- End function
	.section	.AMDGPU.csdata,"",@progbits
; Kernel info:
; codeLenInByte = 13940
; NumSgprs: 46
; NumVgprs: 139
; ScratchSize: 0
; MemoryBound: 0
; FloatMode: 240
; IeeeMode: 1
; LDSByteSize: 12288 bytes/workgroup (compile time only)
; SGPRBlocks: 5
; VGPRBlocks: 17
; NumSGPRsForWavesPerEU: 46
; NumVGPRsForWavesPerEU: 139
; Occupancy: 10
; WaveLimiterHint : 1
; COMPUTE_PGM_RSRC2:SCRATCH_EN: 0
; COMPUTE_PGM_RSRC2:USER_SGPR: 13
; COMPUTE_PGM_RSRC2:TRAP_HANDLER: 0
; COMPUTE_PGM_RSRC2:TGID_X_EN: 1
; COMPUTE_PGM_RSRC2:TGID_Y_EN: 1
; COMPUTE_PGM_RSRC2:TGID_Z_EN: 1
; COMPUTE_PGM_RSRC2:TIDIG_COMP_CNT: 1
	.section	.text._ZL33flash_attn_stream_k_fixup_uniformILi128ELi4ELi2EEvPfPK15HIP_vector_typeIfLj2EEiiiiiiS1_IjLj3EES5_S5_,"axG",@progbits,_ZL33flash_attn_stream_k_fixup_uniformILi128ELi4ELi2EEvPfPK15HIP_vector_typeIfLj2EEiiiiiiS1_IjLj3EES5_S5_,comdat
	.globl	_ZL33flash_attn_stream_k_fixup_uniformILi128ELi4ELi2EEvPfPK15HIP_vector_typeIfLj2EEiiiiiiS1_IjLj3EES5_S5_ ; -- Begin function _ZL33flash_attn_stream_k_fixup_uniformILi128ELi4ELi2EEvPfPK15HIP_vector_typeIfLj2EEiiiiiiS1_IjLj3EES5_S5_
	.p2align	8
	.type	_ZL33flash_attn_stream_k_fixup_uniformILi128ELi4ELi2EEvPfPK15HIP_vector_typeIfLj2EEiiiiiiS1_IjLj3EES5_S5_,@function
_ZL33flash_attn_stream_k_fixup_uniformILi128ELi4ELi2EEvPfPK15HIP_vector_typeIfLj2EEiiiiiiS1_IjLj3EES5_S5_: ; @_ZL33flash_attn_stream_k_fixup_uniformILi128ELi4ELi2EEvPfPK15HIP_vector_typeIfLj2EEiiiiiiS1_IjLj3EES5_S5_
; %bb.0:
	s_clause 0x1
	s_load_b256 s[4:11], s[0:1], 0x1c
	s_load_b128 s[16:19], s[0:1], 0x3c
	s_waitcnt lgkmcnt(0)
	s_mul_hi_u32 s2, s7, s13
	s_delay_alu instid0(SALU_CYCLE_1) | instskip(NEXT) | instid1(SALU_CYCLE_1)
	s_add_i32 s2, s13, s2
	s_lshr_b32 s2, s2, s8
	s_delay_alu instid0(SALU_CYCLE_1) | instskip(SKIP_2) | instid1(SALU_CYCLE_1)
	s_mul_i32 s3, s2, s9
	s_load_b64 s[8:9], s[0:1], 0x10
	s_sub_i32 s7, s13, s3
	s_mul_hi_u32 s3, s7, s10
	s_delay_alu instid0(SALU_CYCLE_1) | instskip(NEXT) | instid1(SALU_CYCLE_1)
	s_add_i32 s3, s7, s3
	s_lshr_b32 s3, s3, s11
	s_delay_alu instid0(SALU_CYCLE_1) | instskip(NEXT) | instid1(SALU_CYCLE_1)
	s_mul_i32 s10, s3, s16
	s_sub_i32 s7, s7, s10
	s_delay_alu instid0(SALU_CYCLE_1) | instskip(NEXT) | instid1(SALU_CYCLE_1)
	s_mul_hi_u32 s10, s7, s17
	s_add_i32 s10, s7, s10
	s_delay_alu instid0(SALU_CYCLE_1) | instskip(NEXT) | instid1(SALU_CYCLE_1)
	s_lshr_b32 s10, s10, s18
	s_mul_i32 s11, s10, s19
	s_lshl_b32 s10, s10, 1
	s_sub_i32 s7, s7, s11
	s_delay_alu instid0(SALU_CYCLE_1) | instskip(NEXT) | instid1(SALU_CYCLE_1)
	s_lshl_b32 s11, s7, 2
	s_add_i32 s11, s11, s14
	s_waitcnt lgkmcnt(0)
	s_cmp_lt_i32 s11, s8
	s_cselect_b32 s11, -1, 0
	s_add_i32 s12, s10, s15
	s_delay_alu instid0(SALU_CYCLE_1) | instskip(SKIP_1) | instid1(SALU_CYCLE_1)
	s_cmp_lt_i32 s12, s5
	s_cselect_b32 s12, -1, 0
	s_and_b32 s11, s11, s12
	s_delay_alu instid0(SALU_CYCLE_1)
	s_and_not1_b32 vcc_lo, exec_lo, s11
	s_cbranch_vccnz .LBB44_6
; %bb.1:
	s_mul_i32 s2, s2, s8
	s_mul_i32 s5, s3, s5
	s_add_i32 s2, s2, s14
	s_mul_i32 s7, s9, s7
	s_mul_i32 s2, s2, s9
	s_lshl_b32 s7, s7, 9
	s_add_i32 s8, s2, s15
	s_load_b128 s[0:3], s[0:1], 0x0
	s_add_i32 s5, s8, s5
	s_lshl_b32 s9, s14, 1
	s_add_i32 s5, s5, s10
	s_delay_alu instid0(SALU_CYCLE_1) | instskip(NEXT) | instid1(SALU_CYCLE_1)
	s_lshl_b32 s5, s5, 7
	s_add_i32 s7, s7, s5
	s_mul_i32 s5, s13, s6
	v_or_b32_e32 v1, s7, v0
	s_add_i32 s10, s5, s6
	s_delay_alu instid0(VALU_DEP_1) | instskip(NEXT) | instid1(VALU_DEP_1)
	v_ashrrev_i32_e32 v2, 31, v1
	v_lshlrev_b64 v[1:2], 2, v[1:2]
	s_waitcnt lgkmcnt(0)
	s_delay_alu instid0(VALU_DEP_1) | instskip(NEXT) | instid1(VALU_DEP_2)
	v_add_co_u32 v1, vcc_lo, s0, v1
	v_add_co_ci_u32_e32 v2, vcc_lo, s1, v2, vcc_lo
	s_add_i32 s0, s9, s15
	s_lshl_b32 s1, s10, 3
	s_delay_alu instid0(SALU_CYCLE_1) | instskip(SKIP_2) | instid1(SALU_CYCLE_1)
	s_add_i32 s0, s0, s1
	global_load_b32 v5, v[1:2], off
	s_add_i32 s0, s0, -8
	s_ashr_i32 s1, s0, 31
	s_delay_alu instid0(SALU_CYCLE_1) | instskip(NEXT) | instid1(SALU_CYCLE_1)
	s_lshl_b64 s[0:1], s[0:1], 3
	s_add_u32 s0, s2, s0
	s_addc_u32 s1, s3, s1
	s_add_i32 s7, s10, -2
	s_load_b32 s11, s[0:1], 0x4
	s_cmp_lt_i32 s7, s5
	s_cbranch_scc1 .LBB44_4
; %bb.2:
	s_lshl_b32 s16, s4, 5
	s_load_b32 s12, s[0:1], 0x0
	s_ashr_i32 s17, s16, 31
	s_delay_alu instid0(SALU_CYCLE_1) | instskip(NEXT) | instid1(SALU_CYCLE_1)
	s_lshl_b64 s[0:1], s[16:17], 2
	s_add_u32 s7, s2, s0
	s_addc_u32 s8, s3, s1
	s_add_i32 s13, s13, 1
	s_lshl_b32 s0, s14, 8
	s_lshl_b32 s1, s15, 7
	s_mul_i32 s6, s6, s13
	s_add_i32 s0, s1, s0
	s_lshl_b32 s1, s6, 10
	s_delay_alu instid0(SALU_CYCLE_1)
	s_add_i32 s0, s0, s1
	s_lshl_b32 s1, s6, 3
	v_or_b32_e32 v0, s0, v0
	s_lshl_b32 s0, s4, 3
	s_add_i32 s1, s15, s1
	s_waitcnt lgkmcnt(0)
	v_mov_b32_e32 v6, s11
	s_add_i32 s0, s1, s0
	v_dual_mov_b32 v0, s12 :: v_dual_add_nc_u32 v3, 0xfffff800, v0
	s_add_i32 s0, s0, s9
	s_add_i32 s4, s10, -1
	s_add_i32 s0, s0, -16
.LBB44_3:                               ; =>This Inner Loop Header: Depth=1
	s_delay_alu instid0(VALU_DEP_1) | instskip(SKIP_1) | instid1(SALU_CYCLE_1)
	v_ashrrev_i32_e32 v4, 31, v3
	s_ashr_i32 s1, s0, 31
	s_lshl_b64 s[10:11], s[0:1], 3
	s_delay_alu instid0(SALU_CYCLE_1) | instskip(NEXT) | instid1(VALU_DEP_1)
	s_add_u32 s10, s2, s10
	v_lshlrev_b64 v[7:8], 2, v[3:4]
	s_addc_u32 s11, s3, s11
	s_add_i32 s4, s4, -1
	s_add_i32 s0, s0, -8
	s_cmp_le_i32 s4, s5
	s_load_b64 s[10:11], s[10:11], 0x0
	v_add_co_u32 v7, vcc_lo, s7, v7
	v_add_co_ci_u32_e32 v8, vcc_lo, s8, v8, vcc_lo
	global_load_b32 v4, v[7:8], off
	v_max_f32_e32 v7, v0, v0
	s_waitcnt lgkmcnt(0)
	v_max_f32_e64 v8, s10, s10
	s_delay_alu instid0(VALU_DEP_1) | instskip(NEXT) | instid1(VALU_DEP_1)
	v_max_f32_e32 v7, v7, v8
	v_sub_f32_e32 v8, s10, v7
	s_delay_alu instid0(VALU_DEP_1) | instskip(NEXT) | instid1(VALU_DEP_1)
	v_dual_sub_f32 v0, v0, v7 :: v_dual_mul_f32 v9, 0x3fb8aa3b, v8
	v_fma_f32 v10, 0x3fb8aa3b, v8, -v9
	v_rndne_f32_e32 v11, v9
	s_delay_alu instid0(VALU_DEP_3) | instskip(NEXT) | instid1(VALU_DEP_2)
	v_mul_f32_e32 v12, 0x3fb8aa3b, v0
	v_dual_fmac_f32 v10, 0x32a5705f, v8 :: v_dual_sub_f32 v9, v9, v11
	v_cvt_i32_f32_e32 v11, v11
	s_delay_alu instid0(VALU_DEP_3) | instskip(SKIP_1) | instid1(VALU_DEP_4)
	v_fma_f32 v13, 0x3fb8aa3b, v0, -v12
	v_rndne_f32_e32 v14, v12
	v_add_f32_e32 v9, v9, v10
	v_cmp_ngt_f32_e32 vcc_lo, 0xc2ce8ed0, v8
	s_delay_alu instid0(VALU_DEP_3) | instskip(NEXT) | instid1(VALU_DEP_3)
	v_sub_f32_e32 v10, v12, v14
	v_exp_f32_e32 v9, v9
	s_waitcnt_depctr 0xfff
	v_ldexp_f32 v9, v9, v11
	v_cvt_i32_f32_e32 v11, v14
	s_delay_alu instid0(VALU_DEP_2) | instskip(SKIP_1) | instid1(VALU_DEP_2)
	v_cndmask_b32_e32 v9, 0, v9, vcc_lo
	v_cmp_nlt_f32_e32 vcc_lo, 0x42b17218, v8
	v_cndmask_b32_e32 v9, 0x7f800000, v9, vcc_lo
	v_cmp_ngt_f32_e32 vcc_lo, 0xc2ce8ed0, v0
	v_fmac_f32_e32 v13, 0x32a5705f, v0
	s_delay_alu instid0(VALU_DEP_1) | instskip(NEXT) | instid1(VALU_DEP_1)
	v_add_f32_e32 v10, v10, v13
	v_exp_f32_e32 v10, v10
	s_waitcnt_depctr 0xfff
	v_ldexp_f32 v10, v10, v11
	s_delay_alu instid0(VALU_DEP_1)
	v_dual_mov_b32 v11, v6 :: v_dual_cndmask_b32 v10, 0, v10
	v_cmp_le_f32_e32 vcc_lo, 0xc1a00000, v8
	s_waitcnt vmcnt(1)
	v_dual_cndmask_b32 v8, 0, v9 :: v_dual_mov_b32 v9, v5
	v_cmp_nlt_f32_e32 vcc_lo, 0x42b17218, v0
	v_cndmask_b32_e32 v5, 0x7f800000, v10, vcc_lo
	s_delay_alu instid0(VALU_DEP_3) | instskip(SKIP_2) | instid1(VALU_DEP_3)
	v_mul_f32_e32 v10, s11, v8
	v_cmp_le_f32_e32 vcc_lo, 0xc1a00000, v0
	v_mov_b32_e32 v0, v7
	v_mov_b32_e32 v6, v10
	s_waitcnt vmcnt(0)
	v_dual_cndmask_b32 v12, 0, v5 :: v_dual_mul_f32 v5, v4, v8
	s_delay_alu instid0(VALU_DEP_1) | instskip(NEXT) | instid1(VALU_DEP_2)
	v_dual_fmac_f32 v6, v11, v12 :: v_dual_add_nc_u32 v3, 0xfffffc00, v3
	v_fmac_f32_e32 v5, v9, v12
	s_cbranch_scc0 .LBB44_3
	s_branch .LBB44_5
.LBB44_4:
	s_waitcnt lgkmcnt(0)
	v_mov_b32_e32 v6, s11
.LBB44_5:
	s_waitcnt vmcnt(0)
	s_delay_alu instid0(VALU_DEP_1) | instskip(NEXT) | instid1(VALU_DEP_1)
	v_div_scale_f32 v0, null, v6, v6, v5
	v_rcp_f32_e32 v3, v0
	s_waitcnt_depctr 0xfff
	v_fma_f32 v4, -v0, v3, 1.0
	s_delay_alu instid0(VALU_DEP_1) | instskip(SKIP_1) | instid1(VALU_DEP_1)
	v_fmac_f32_e32 v3, v4, v3
	v_div_scale_f32 v4, vcc_lo, v5, v6, v5
	v_mul_f32_e32 v7, v4, v3
	s_delay_alu instid0(VALU_DEP_1) | instskip(NEXT) | instid1(VALU_DEP_1)
	v_fma_f32 v8, -v0, v7, v4
	v_fmac_f32_e32 v7, v8, v3
	s_delay_alu instid0(VALU_DEP_1) | instskip(NEXT) | instid1(VALU_DEP_1)
	v_fma_f32 v0, -v0, v7, v4
	v_div_fmas_f32 v0, v0, v3, v7
	s_delay_alu instid0(VALU_DEP_1)
	v_div_fixup_f32 v0, v0, v6, v5
	global_store_b32 v[1:2], v0, off
.LBB44_6:
	s_nop 0
	s_sendmsg sendmsg(MSG_DEALLOC_VGPRS)
	s_endpgm
	.section	.rodata,"a",@progbits
	.p2align	6, 0x0
	.amdhsa_kernel _ZL33flash_attn_stream_k_fixup_uniformILi128ELi4ELi2EEvPfPK15HIP_vector_typeIfLj2EEiiiiiiS1_IjLj3EES5_S5_
		.amdhsa_group_segment_fixed_size 0
		.amdhsa_private_segment_fixed_size 0
		.amdhsa_kernarg_size 76
		.amdhsa_user_sgpr_count 13
		.amdhsa_user_sgpr_dispatch_ptr 0
		.amdhsa_user_sgpr_queue_ptr 0
		.amdhsa_user_sgpr_kernarg_segment_ptr 1
		.amdhsa_user_sgpr_dispatch_id 0
		.amdhsa_user_sgpr_private_segment_size 0
		.amdhsa_wavefront_size32 1
		.amdhsa_uses_dynamic_stack 0
		.amdhsa_enable_private_segment 0
		.amdhsa_system_sgpr_workgroup_id_x 1
		.amdhsa_system_sgpr_workgroup_id_y 1
		.amdhsa_system_sgpr_workgroup_id_z 1
		.amdhsa_system_sgpr_workgroup_info 0
		.amdhsa_system_vgpr_workitem_id 0
		.amdhsa_next_free_vgpr 15
		.amdhsa_next_free_sgpr 20
		.amdhsa_reserve_vcc 1
		.amdhsa_float_round_mode_32 0
		.amdhsa_float_round_mode_16_64 0
		.amdhsa_float_denorm_mode_32 3
		.amdhsa_float_denorm_mode_16_64 3
		.amdhsa_dx10_clamp 1
		.amdhsa_ieee_mode 1
		.amdhsa_fp16_overflow 0
		.amdhsa_workgroup_processor_mode 1
		.amdhsa_memory_ordered 1
		.amdhsa_forward_progress 0
		.amdhsa_shared_vgpr_count 0
		.amdhsa_exception_fp_ieee_invalid_op 0
		.amdhsa_exception_fp_denorm_src 0
		.amdhsa_exception_fp_ieee_div_zero 0
		.amdhsa_exception_fp_ieee_overflow 0
		.amdhsa_exception_fp_ieee_underflow 0
		.amdhsa_exception_fp_ieee_inexact 0
		.amdhsa_exception_int_div_zero 0
	.end_amdhsa_kernel
	.section	.text._ZL33flash_attn_stream_k_fixup_uniformILi128ELi4ELi2EEvPfPK15HIP_vector_typeIfLj2EEiiiiiiS1_IjLj3EES5_S5_,"axG",@progbits,_ZL33flash_attn_stream_k_fixup_uniformILi128ELi4ELi2EEvPfPK15HIP_vector_typeIfLj2EEiiiiiiS1_IjLj3EES5_S5_,comdat
.Lfunc_end44:
	.size	_ZL33flash_attn_stream_k_fixup_uniformILi128ELi4ELi2EEvPfPK15HIP_vector_typeIfLj2EEiiiiiiS1_IjLj3EES5_S5_, .Lfunc_end44-_ZL33flash_attn_stream_k_fixup_uniformILi128ELi4ELi2EEvPfPK15HIP_vector_typeIfLj2EEiiiiiiS1_IjLj3EES5_S5_
                                        ; -- End function
	.section	.AMDGPU.csdata,"",@progbits
; Kernel info:
; codeLenInByte = 996
; NumSgprs: 22
; NumVgprs: 15
; ScratchSize: 0
; MemoryBound: 0
; FloatMode: 240
; IeeeMode: 1
; LDSByteSize: 0 bytes/workgroup (compile time only)
; SGPRBlocks: 2
; VGPRBlocks: 1
; NumSGPRsForWavesPerEU: 22
; NumVGPRsForWavesPerEU: 15
; Occupancy: 16
; WaveLimiterHint : 0
; COMPUTE_PGM_RSRC2:SCRATCH_EN: 0
; COMPUTE_PGM_RSRC2:USER_SGPR: 13
; COMPUTE_PGM_RSRC2:TRAP_HANDLER: 0
; COMPUTE_PGM_RSRC2:TGID_X_EN: 1
; COMPUTE_PGM_RSRC2:TGID_Y_EN: 1
; COMPUTE_PGM_RSRC2:TGID_Z_EN: 1
; COMPUTE_PGM_RSRC2:TIDIG_COMP_CNT: 0
	.section	.text._ZL33flash_attn_stream_k_fixup_generalILi128ELi4ELi2EEvPfPK15HIP_vector_typeIfLj2EEiiiiS1_IjLj3EES5_S5_S5_,"axG",@progbits,_ZL33flash_attn_stream_k_fixup_generalILi128ELi4ELi2EEvPfPK15HIP_vector_typeIfLj2EEiiiiS1_IjLj3EES5_S5_S5_,comdat
	.globl	_ZL33flash_attn_stream_k_fixup_generalILi128ELi4ELi2EEvPfPK15HIP_vector_typeIfLj2EEiiiiS1_IjLj3EES5_S5_S5_ ; -- Begin function _ZL33flash_attn_stream_k_fixup_generalILi128ELi4ELi2EEvPfPK15HIP_vector_typeIfLj2EEiiiiS1_IjLj3EES5_S5_S5_
	.p2align	8
	.type	_ZL33flash_attn_stream_k_fixup_generalILi128ELi4ELi2EEvPfPK15HIP_vector_typeIfLj2EEiiiiS1_IjLj3EES5_S5_S5_,@function
_ZL33flash_attn_stream_k_fixup_generalILi128ELi4ELi2EEvPfPK15HIP_vector_typeIfLj2EEiiiiS1_IjLj3EES5_S5_S5_: ; @_ZL33flash_attn_stream_k_fixup_generalILi128ELi4ELi2EEvPfPK15HIP_vector_typeIfLj2EEiiiiS1_IjLj3EES5_S5_S5_
; %bb.0:
	s_clause 0x1
	s_load_b128 s[4:7], s[0:1], 0x10
	s_load_b32 s20, s[0:1], 0x50
	s_mov_b32 s2, 0
	s_waitcnt lgkmcnt(0)
	s_mul_hi_i32 s3, s7, s13
	s_mul_i32 s12, s7, s13
	s_cmp_lg_u64 s[2:3], 0
	s_cbranch_scc0 .LBB45_21
; %bb.1:
	v_cvt_f32_ubyte0_e32 v1, 0
	v_cvt_f32_u32_e32 v2, s20
	s_sub_u32 s10, 0, s20
	s_subb_u32 s11, 0, 0
	s_delay_alu instid0(VALU_DEP_1) | instskip(NEXT) | instid1(VALU_DEP_1)
	v_fmamk_f32 v1, v1, 0x4f800000, v2
	v_rcp_f32_e32 v1, v1
	s_waitcnt_depctr 0xfff
	v_mul_f32_e32 v1, 0x5f7ffffc, v1
	s_delay_alu instid0(VALU_DEP_1) | instskip(NEXT) | instid1(VALU_DEP_1)
	v_mul_f32_e32 v2, 0x2f800000, v1
	v_trunc_f32_e32 v2, v2
	s_delay_alu instid0(VALU_DEP_1) | instskip(SKIP_1) | instid1(VALU_DEP_2)
	v_fmamk_f32 v1, v2, 0xcf800000, v1
	v_cvt_u32_f32_e32 v2, v2
	v_cvt_u32_f32_e32 v1, v1
	s_delay_alu instid0(VALU_DEP_2) | instskip(NEXT) | instid1(VALU_DEP_2)
	v_readfirstlane_b32 s8, v2
	v_readfirstlane_b32 s9, v1
	s_delay_alu instid0(VALU_DEP_2) | instskip(NEXT) | instid1(VALU_DEP_1)
	s_mul_i32 s16, s10, s8
	s_mul_hi_u32 s18, s10, s9
	s_mul_i32 s17, s11, s9
	s_add_i32 s16, s18, s16
	s_mul_i32 s19, s10, s9
	s_add_i32 s16, s16, s17
	s_mul_hi_u32 s18, s9, s19
	s_mul_hi_u32 s21, s8, s19
	s_mul_i32 s17, s8, s19
	s_mul_hi_u32 s19, s9, s16
	s_mul_i32 s9, s9, s16
	s_mul_hi_u32 s22, s8, s16
	s_add_u32 s9, s18, s9
	s_addc_u32 s18, 0, s19
	s_add_u32 s9, s9, s17
	s_mul_i32 s16, s8, s16
	s_addc_u32 s9, s18, s21
	s_addc_u32 s17, s22, 0
	s_add_u32 s9, s9, s16
	s_addc_u32 s16, 0, s17
	v_add_co_u32 v1, s9, v1, s9
	s_delay_alu instid0(VALU_DEP_1) | instskip(SKIP_1) | instid1(VALU_DEP_1)
	s_cmp_lg_u32 s9, 0
	s_addc_u32 s8, s8, s16
	v_readfirstlane_b32 s9, v1
	s_mul_i32 s16, s10, s8
	s_delay_alu instid0(VALU_DEP_1)
	s_mul_hi_u32 s17, s10, s9
	s_mul_i32 s11, s11, s9
	s_add_i32 s16, s17, s16
	s_mul_i32 s10, s10, s9
	s_add_i32 s16, s16, s11
	s_mul_hi_u32 s17, s8, s10
	s_mul_i32 s18, s8, s10
	s_mul_hi_u32 s10, s9, s10
	s_mul_hi_u32 s19, s9, s16
	s_mul_i32 s9, s9, s16
	s_mul_hi_u32 s11, s8, s16
	s_add_u32 s9, s10, s9
	s_addc_u32 s10, 0, s19
	s_add_u32 s9, s9, s18
	s_mul_i32 s16, s8, s16
	s_addc_u32 s9, s10, s17
	s_addc_u32 s10, s11, 0
	s_add_u32 s9, s9, s16
	s_addc_u32 s10, 0, s10
	v_add_co_u32 v1, s9, v1, s9
	s_delay_alu instid0(VALU_DEP_1) | instskip(SKIP_2) | instid1(SALU_CYCLE_1)
	s_cmp_lg_u32 s9, 0
	s_addc_u32 s16, s8, s10
	s_ashr_i32 s8, s3, 31
	s_add_u32 s10, s12, s8
	s_addc_u32 s11, s3, s8
	v_readfirstlane_b32 s3, v1
	s_mov_b32 s9, s8
	s_delay_alu instid0(SALU_CYCLE_1) | instskip(NEXT) | instid1(SALU_CYCLE_1)
	s_xor_b64 s[10:11], s[10:11], s[8:9]
	s_mul_i32 s18, s10, s16
	s_delay_alu instid0(VALU_DEP_1)
	s_mul_hi_u32 s19, s10, s3
	s_mul_hi_u32 s17, s10, s16
	;; [unrolled: 1-line block ×3, first 2 shown]
	s_mul_i32 s3, s11, s3
	s_add_u32 s18, s19, s18
	s_addc_u32 s17, 0, s17
	s_mul_hi_u32 s21, s11, s16
	s_add_u32 s3, s18, s3
	s_mul_i32 s16, s11, s16
	s_addc_u32 s3, s17, s22
	s_addc_u32 s17, s21, 0
	s_add_u32 s3, s3, s16
	s_addc_u32 s16, 0, s17
	s_mul_i32 s18, s20, s3
	s_add_u32 s17, s3, 1
	v_sub_co_u32 v1, s10, s10, s18
	s_mul_hi_u32 s18, s20, s3
	s_addc_u32 s19, s16, 0
	s_mul_i32 s21, s20, s16
	s_delay_alu instid0(VALU_DEP_1)
	v_sub_co_u32 v2, s22, v1, s20
	s_add_u32 s23, s3, 2
	s_addc_u32 s24, s16, 0
	s_add_i32 s18, s18, s21
	s_cmp_lg_u32 s10, 0
	v_readfirstlane_b32 s10, v2
	s_subb_u32 s11, s11, s18
	s_cmp_lg_u32 s22, 0
	s_subb_u32 s18, s11, 0
	s_delay_alu instid0(VALU_DEP_1) | instskip(SKIP_4) | instid1(SALU_CYCLE_1)
	s_cmp_ge_u32 s10, s20
	s_cselect_b32 s10, -1, 0
	s_cmp_eq_u32 s18, 0
	v_readfirstlane_b32 s18, v1
	s_cselect_b32 s10, s10, -1
	s_cmp_lg_u32 s10, 0
	s_cselect_b32 s10, s23, s17
	s_cselect_b32 s17, s24, s19
	s_cmp_ge_u32 s18, s20
	s_cselect_b32 s18, -1, 0
	s_cmp_eq_u32 s11, 0
	s_cselect_b32 s11, s18, -1
	s_delay_alu instid0(SALU_CYCLE_1) | instskip(SKIP_2) | instid1(SALU_CYCLE_1)
	s_cmp_lg_u32 s11, 0
	s_cselect_b32 s11, s17, s16
	s_cselect_b32 s10, s10, s3
	s_xor_b64 s[10:11], s[10:11], s[8:9]
	s_delay_alu instid0(SALU_CYCLE_1)
	s_sub_u32 s16, s10, s8
	s_load_b128 s[8:11], s[0:1], 0x44
	s_and_not1_b32 vcc_lo, exec_lo, s2
	s_cbranch_vccnz .LBB45_3
.LBB45_2:
	v_cvt_f32_u32_e32 v1, s20
	s_sub_i32 s3, 0, s20
	s_delay_alu instid0(VALU_DEP_1) | instskip(SKIP_2) | instid1(VALU_DEP_1)
	v_rcp_iflag_f32_e32 v1, v1
	s_waitcnt_depctr 0xfff
	v_mul_f32_e32 v1, 0x4f7ffffe, v1
	v_cvt_u32_f32_e32 v1, v1
	s_delay_alu instid0(VALU_DEP_1) | instskip(NEXT) | instid1(VALU_DEP_1)
	v_readfirstlane_b32 s2, v1
	s_mul_i32 s3, s3, s2
	s_delay_alu instid0(SALU_CYCLE_1) | instskip(NEXT) | instid1(SALU_CYCLE_1)
	s_mul_hi_u32 s3, s2, s3
	s_add_i32 s2, s2, s3
	s_delay_alu instid0(SALU_CYCLE_1) | instskip(NEXT) | instid1(SALU_CYCLE_1)
	s_mul_hi_u32 s2, s12, s2
	s_mul_i32 s3, s2, s20
	s_waitcnt lgkmcnt(0)
	s_add_i32 s11, s2, 1
	s_sub_i32 s3, s12, s3
	s_delay_alu instid0(SALU_CYCLE_1)
	s_sub_i32 s12, s3, s20
	s_cmp_ge_u32 s3, s20
	s_cselect_b32 s2, s11, s2
	s_cselect_b32 s3, s12, s3
	s_add_i32 s11, s2, 1
	s_cmp_ge_u32 s3, s20
	s_cselect_b32 s16, s11, s2
.LBB45_3:
	s_waitcnt lgkmcnt(0)
	s_add_i32 s11, s13, 1
	s_mov_b32 s2, 0
	s_mul_hi_i32 s3, s7, s11
	s_mul_i32 s11, s7, s11
	s_cmp_lg_u64 s[2:3], 0
	s_cbranch_scc0 .LBB45_22
; %bb.4:
	v_cvt_f32_ubyte0_e32 v1, 0
	v_cvt_f32_u32_e32 v2, s20
	s_sub_u32 s18, 0, s20
	s_subb_u32 s19, 0, 0
	s_delay_alu instid0(VALU_DEP_1) | instskip(NEXT) | instid1(VALU_DEP_1)
	v_fmamk_f32 v1, v1, 0x4f800000, v2
	v_rcp_f32_e32 v1, v1
	s_waitcnt_depctr 0xfff
	v_mul_f32_e32 v1, 0x5f7ffffc, v1
	s_delay_alu instid0(VALU_DEP_1) | instskip(NEXT) | instid1(VALU_DEP_1)
	v_mul_f32_e32 v2, 0x2f800000, v1
	v_trunc_f32_e32 v2, v2
	s_delay_alu instid0(VALU_DEP_1) | instskip(SKIP_1) | instid1(VALU_DEP_2)
	v_fmamk_f32 v1, v2, 0xcf800000, v1
	v_cvt_u32_f32_e32 v2, v2
	v_cvt_u32_f32_e32 v1, v1
	s_delay_alu instid0(VALU_DEP_2) | instskip(NEXT) | instid1(VALU_DEP_2)
	v_readfirstlane_b32 s12, v2
	v_readfirstlane_b32 s17, v1
	s_delay_alu instid0(VALU_DEP_2) | instskip(NEXT) | instid1(VALU_DEP_1)
	s_mul_i32 s21, s18, s12
	s_mul_hi_u32 s23, s18, s17
	s_mul_i32 s22, s19, s17
	s_add_i32 s21, s23, s21
	s_mul_i32 s24, s18, s17
	s_add_i32 s21, s21, s22
	s_mul_hi_u32 s23, s17, s24
	s_mul_hi_u32 s25, s12, s24
	s_mul_i32 s22, s12, s24
	s_mul_hi_u32 s24, s17, s21
	s_mul_i32 s17, s17, s21
	s_mul_hi_u32 s26, s12, s21
	s_add_u32 s17, s23, s17
	s_addc_u32 s23, 0, s24
	s_add_u32 s17, s17, s22
	s_mul_i32 s21, s12, s21
	s_addc_u32 s17, s23, s25
	s_addc_u32 s22, s26, 0
	s_add_u32 s17, s17, s21
	s_addc_u32 s21, 0, s22
	v_add_co_u32 v1, s17, v1, s17
	s_delay_alu instid0(VALU_DEP_1) | instskip(SKIP_1) | instid1(VALU_DEP_1)
	s_cmp_lg_u32 s17, 0
	s_addc_u32 s12, s12, s21
	v_readfirstlane_b32 s17, v1
	s_mul_i32 s21, s18, s12
	s_delay_alu instid0(VALU_DEP_1)
	s_mul_hi_u32 s22, s18, s17
	s_mul_i32 s19, s19, s17
	s_add_i32 s21, s22, s21
	s_mul_i32 s18, s18, s17
	s_add_i32 s21, s21, s19
	s_mul_hi_u32 s22, s12, s18
	s_mul_i32 s23, s12, s18
	s_mul_hi_u32 s18, s17, s18
	s_mul_hi_u32 s24, s17, s21
	s_mul_i32 s17, s17, s21
	s_mul_hi_u32 s19, s12, s21
	s_add_u32 s17, s18, s17
	s_addc_u32 s18, 0, s24
	s_add_u32 s17, s17, s23
	s_mul_i32 s21, s12, s21
	s_addc_u32 s17, s18, s22
	s_addc_u32 s18, s19, 0
	s_add_u32 s17, s17, s21
	s_addc_u32 s18, 0, s18
	v_add_co_u32 v1, s17, v1, s17
	s_delay_alu instid0(VALU_DEP_1) | instskip(SKIP_2) | instid1(SALU_CYCLE_1)
	s_cmp_lg_u32 s17, 0
	s_addc_u32 s12, s12, s18
	s_ashr_i32 s18, s3, 31
	s_add_u32 s22, s11, s18
	s_addc_u32 s23, s3, s18
	v_readfirstlane_b32 s3, v1
	s_mov_b32 s19, s18
	s_delay_alu instid0(SALU_CYCLE_1) | instskip(NEXT) | instid1(SALU_CYCLE_1)
	s_xor_b64 s[22:23], s[22:23], s[18:19]
	s_mul_i32 s21, s22, s12
	s_delay_alu instid0(VALU_DEP_1)
	s_mul_hi_u32 s24, s22, s3
	s_mul_hi_u32 s17, s22, s12
	;; [unrolled: 1-line block ×3, first 2 shown]
	s_mul_i32 s3, s23, s3
	s_add_u32 s21, s24, s21
	s_addc_u32 s17, 0, s17
	s_mul_hi_u32 s25, s23, s12
	s_add_u32 s3, s21, s3
	s_mul_i32 s12, s23, s12
	s_addc_u32 s3, s17, s26
	s_addc_u32 s17, s25, 0
	s_add_u32 s3, s3, s12
	s_addc_u32 s12, 0, s17
	s_mul_i32 s21, s20, s3
	s_add_u32 s17, s3, 1
	v_sub_co_u32 v1, s21, s22, s21
	s_mul_hi_u32 s22, s20, s3
	s_addc_u32 s24, s12, 0
	s_mul_i32 s25, s20, s12
	s_delay_alu instid0(VALU_DEP_1)
	v_sub_co_u32 v2, s26, v1, s20
	s_add_u32 s27, s3, 2
	s_addc_u32 s28, s12, 0
	s_add_i32 s22, s22, s25
	s_cmp_lg_u32 s21, 0
	v_readfirstlane_b32 s21, v2
	s_subb_u32 s22, s23, s22
	s_cmp_lg_u32 s26, 0
	s_subb_u32 s23, s22, 0
	s_delay_alu instid0(VALU_DEP_1) | instskip(SKIP_4) | instid1(SALU_CYCLE_1)
	s_cmp_ge_u32 s21, s20
	s_cselect_b32 s21, -1, 0
	s_cmp_eq_u32 s23, 0
	v_readfirstlane_b32 s23, v1
	s_cselect_b32 s21, s21, -1
	s_cmp_lg_u32 s21, 0
	s_cselect_b32 s17, s27, s17
	s_cselect_b32 s21, s28, s24
	s_cmp_ge_u32 s23, s20
	s_cselect_b32 s23, -1, 0
	s_cmp_eq_u32 s22, 0
	s_cselect_b32 s22, s23, -1
	s_delay_alu instid0(SALU_CYCLE_1) | instskip(SKIP_2) | instid1(SALU_CYCLE_1)
	s_cmp_lg_u32 s22, 0
	s_cselect_b32 s23, s21, s12
	s_cselect_b32 s22, s17, s3
	s_xor_b64 s[22:23], s[22:23], s[18:19]
	s_delay_alu instid0(SALU_CYCLE_1)
	s_sub_u32 s18, s22, s18
	s_and_not1_b32 vcc_lo, exec_lo, s2
	s_cbranch_vccnz .LBB45_6
.LBB45_5:
	v_cvt_f32_u32_e32 v1, s20
	s_sub_i32 s3, 0, s20
	s_delay_alu instid0(VALU_DEP_1) | instskip(SKIP_2) | instid1(VALU_DEP_1)
	v_rcp_iflag_f32_e32 v1, v1
	s_waitcnt_depctr 0xfff
	v_mul_f32_e32 v1, 0x4f7ffffe, v1
	v_cvt_u32_f32_e32 v1, v1
	s_delay_alu instid0(VALU_DEP_1) | instskip(NEXT) | instid1(VALU_DEP_1)
	v_readfirstlane_b32 s2, v1
	s_mul_i32 s3, s3, s2
	s_delay_alu instid0(SALU_CYCLE_1) | instskip(NEXT) | instid1(SALU_CYCLE_1)
	s_mul_hi_u32 s3, s2, s3
	s_add_i32 s2, s2, s3
	s_delay_alu instid0(SALU_CYCLE_1) | instskip(NEXT) | instid1(SALU_CYCLE_1)
	s_mul_hi_u32 s2, s11, s2
	s_mul_i32 s3, s2, s20
	s_delay_alu instid0(SALU_CYCLE_1)
	s_sub_i32 s3, s11, s3
	s_add_i32 s11, s2, 1
	s_sub_i32 s12, s3, s20
	s_cmp_ge_u32 s3, s20
	s_cselect_b32 s2, s11, s2
	s_cselect_b32 s3, s12, s3
	s_add_i32 s11, s2, 1
	s_cmp_ge_u32 s3, s20
	s_cselect_b32 s18, s11, s2
.LBB45_6:
	s_delay_alu instid0(SALU_CYCLE_1) | instskip(SKIP_3) | instid1(SALU_CYCLE_1)
	s_cmp_eq_u32 s16, s18
	s_mul_hi_u32 s2, s16, s8
	s_cselect_b32 s3, -1, 0
	s_add_i32 s2, s2, s16
	s_lshr_b32 s11, s2, s9
	s_delay_alu instid0(SALU_CYCLE_1) | instskip(NEXT) | instid1(SALU_CYCLE_1)
	s_mul_i32 s2, s11, s10
	s_cmp_eq_u32 s2, s16
	s_mul_hi_u32 s2, s18, s8
	s_cselect_b32 s12, -1, 0
	s_add_i32 s2, s2, s18
	s_delay_alu instid0(SALU_CYCLE_1) | instskip(NEXT) | instid1(SALU_CYCLE_1)
	s_lshr_b32 s2, s2, s9
	s_cmp_eq_u32 s11, s2
	s_mul_i32 s2, s2, s10
	s_cselect_b32 s17, -1, 0
	s_cmp_lg_u32 s2, s18
	s_cselect_b32 s2, -1, 0
	s_or_b32 s3, s3, s12
	s_and_b32 s2, s17, s2
	s_delay_alu instid0(SALU_CYCLE_1) | instskip(NEXT) | instid1(SALU_CYCLE_1)
	s_or_b32 s2, s3, s2
	s_and_b32 vcc_lo, exec_lo, s2
	s_cbranch_vccnz .LBB45_24
; %bb.7:
	s_load_b256 s[24:31], s[0:1], 0x20
	s_waitcnt lgkmcnt(0)
	s_mul_hi_u32 s2, s16, s24
	s_delay_alu instid0(SALU_CYCLE_1) | instskip(NEXT) | instid1(SALU_CYCLE_1)
	s_add_i32 s2, s2, s16
	s_lshr_b32 s17, s2, s25
	s_load_b32 s2, s[0:1], 0x40
	s_mul_i32 s3, s17, s26
	s_delay_alu instid0(SALU_CYCLE_1) | instskip(NEXT) | instid1(SALU_CYCLE_1)
	s_sub_i32 s3, s16, s3
	s_mul_hi_u32 s12, s3, s27
	s_delay_alu instid0(SALU_CYCLE_1) | instskip(NEXT) | instid1(SALU_CYCLE_1)
	s_add_i32 s12, s3, s12
	s_lshr_b32 s21, s12, s28
	s_delay_alu instid0(SALU_CYCLE_1) | instskip(NEXT) | instid1(SALU_CYCLE_1)
	s_mul_i32 s12, s21, s29
	s_sub_i32 s3, s3, s12
	s_delay_alu instid0(SALU_CYCLE_1) | instskip(NEXT) | instid1(SALU_CYCLE_1)
	s_mul_hi_u32 s12, s3, s30
	s_add_i32 s12, s3, s12
	s_delay_alu instid0(SALU_CYCLE_1)
	s_lshr_b32 s12, s12, s31
	s_waitcnt lgkmcnt(0)
	s_mul_i32 s2, s12, s2
	s_lshl_b32 s23, s12, 1
	s_sub_i32 s2, s3, s2
	s_mov_b32 s12, 0
	s_mul_hi_u32 s3, s2, s8
	s_delay_alu instid0(SALU_CYCLE_1) | instskip(NEXT) | instid1(SALU_CYCLE_1)
	s_add_i32 s2, s2, s3
	s_lshr_b32 s22, s2, s9
	s_delay_alu instid0(SALU_CYCLE_1) | instskip(NEXT) | instid1(SALU_CYCLE_1)
	s_lshl_b32 s2, s22, 2
	s_add_i32 s2, s2, s14
	s_delay_alu instid0(SALU_CYCLE_1) | instskip(SKIP_2) | instid1(SALU_CYCLE_1)
	s_cmp_lt_i32 s2, s4
	s_cselect_b32 s2, -1, 0
	s_add_i32 s3, s23, s15
	s_cmp_lt_i32 s3, s6
	s_cselect_b32 s3, -1, 0
	s_delay_alu instid0(SALU_CYCLE_1) | instskip(NEXT) | instid1(SALU_CYCLE_1)
	s_and_b32 s2, s2, s3
	s_and_not1_b32 vcc_lo, exec_lo, s2
	s_cbranch_vccnz .LBB45_24
; %bb.8:
	s_load_b128 s[0:3], s[0:1], 0x0
	s_lshl_b32 s18, s20, 5
	s_mov_b32 s19, s12
	s_lshl_b32 s24, s14, 1
	s_lshl_b64 s[18:19], s[18:19], 2
	s_mul_i32 s4, s17, s4
	s_add_i32 s17, s24, s15
	s_mul_i32 s21, s21, s6
	v_cvt_f32_ubyte0_e32 v4, 0
	v_cvt_f32_u32_e32 v5, s20
	s_waitcnt lgkmcnt(0)
	s_add_u32 s18, s2, s18
	s_addc_u32 s19, s3, s19
	s_add_i32 s4, s4, s14
	s_delay_alu instid0(SALU_CYCLE_1) | instskip(SKIP_4) | instid1(SALU_CYCLE_1)
	s_mul_i32 s4, s4, s5
	s_mul_i32 s5, s5, s22
	s_add_i32 s4, s4, s15
	s_lshl_b32 s5, s5, 9
	s_add_i32 s4, s4, s21
	s_add_i32 s4, s4, s23
	s_delay_alu instid0(SALU_CYCLE_1) | instskip(NEXT) | instid1(SALU_CYCLE_1)
	s_lshl_b32 s4, s4, 7
	s_add_i32 s5, s5, s4
	s_delay_alu instid0(SALU_CYCLE_1) | instskip(SKIP_1) | instid1(VALU_DEP_2)
	v_or_b32_e32 v1, s5, v0
	v_lshl_or_b32 v0, s17, 7, v0
	v_ashrrev_i32_e32 v2, 31, v1
	s_delay_alu instid0(VALU_DEP_1) | instskip(NEXT) | instid1(VALU_DEP_1)
	v_lshlrev_b64 v[1:2], 2, v[1:2]
	v_add_co_u32 v1, vcc_lo, s0, v1
	s_delay_alu instid0(VALU_DEP_2) | instskip(SKIP_1) | instid1(SALU_CYCLE_1)
	v_add_co_ci_u32_e32 v2, vcc_lo, s1, v2, vcc_lo
	s_lshl_b32 s0, s13, 3
	s_add_i32 s0, s17, s0
	global_load_b32 v3, v[1:2], off
	s_ashr_i32 s1, s0, 31
	s_delay_alu instid0(SALU_CYCLE_1) | instskip(NEXT) | instid1(SALU_CYCLE_1)
	s_lshl_b64 s[0:1], s[0:1], 3
	s_add_u32 s0, s2, s0
	s_addc_u32 s1, s3, s1
	s_add_i32 s14, s13, -1
	s_load_b64 s[0:1], s[0:1], 0x0
	v_fmac_f32_e32 v5, 0x4f800000, v4
	s_sub_i32 s6, 0, s20
	s_waitcnt lgkmcnt(0)
	v_mov_b32_e32 v8, s0
	s_delay_alu instid0(VALU_DEP_2) | instskip(SKIP_2) | instid1(VALU_DEP_2)
	v_rcp_f32_e32 v4, v5
	v_cvt_f32_u32_e32 v5, s20
	v_mov_b32_e32 v7, s1
	v_rcp_iflag_f32_e32 v5, v5
	s_waitcnt_depctr 0xfff
	v_mul_f32_e32 v4, 0x5f7ffffc, v4
	s_delay_alu instid0(VALU_DEP_1) | instskip(SKIP_1) | instid1(VALU_DEP_2)
	v_mul_f32_e32 v6, 0x2f800000, v4
	v_mul_f32_e32 v9, 0x4f7ffffe, v5
	v_trunc_f32_e32 v6, v6
	s_delay_alu instid0(VALU_DEP_1) | instskip(SKIP_1) | instid1(VALU_DEP_4)
	v_fmac_f32_e32 v4, 0xcf800000, v6
	v_cvt_u32_f32_e32 v5, v6
	v_cvt_u32_f32_e32 v6, v9
	s_delay_alu instid0(VALU_DEP_3)
	v_cvt_u32_f32_e32 v4, v4
.LBB45_9:                               ; =>This Inner Loop Header: Depth=1
	s_mul_hi_i32 s13, s14, s7
	s_mul_i32 s4, s14, s7
	s_cmp_lg_u64 s[12:13], 0
	s_mov_b32 s5, -1
                                        ; implicit-def: $sgpr0_sgpr1
	s_cbranch_scc0 .LBB45_11
; %bb.10:                               ;   in Loop: Header=BB45_9 Depth=1
	v_readfirstlane_b32 s0, v4
	v_readfirstlane_b32 s1, v5
	s_sub_u32 s5, 0, s20
	s_subb_u32 s15, 0, 0
	s_delay_alu instid0(VALU_DEP_2) | instskip(NEXT) | instid1(VALU_DEP_1)
	s_mul_hi_u32 s21, s5, s0
	s_mul_i32 s22, s5, s1
	s_mul_i32 s23, s15, s0
	s_add_i32 s21, s21, s22
	s_mul_i32 s22, s5, s0
	s_add_i32 s21, s21, s23
	s_mul_hi_u32 s23, s0, s22
	s_mul_i32 s24, s0, s21
	s_mul_hi_u32 s0, s0, s21
	s_add_u32 s23, s23, s24
	s_mul_i32 s25, s1, s22
	s_addc_u32 s0, 0, s0
	s_mul_hi_u32 s22, s1, s22
	s_mul_hi_u32 s24, s1, s21
	s_add_u32 s23, s23, s25
	s_addc_u32 s0, s0, s22
	s_mul_i32 s21, s1, s21
	s_addc_u32 s22, s24, 0
	s_add_u32 s0, s0, s21
	s_addc_u32 s21, 0, s22
	v_add_co_u32 v9, s0, v4, s0
	s_delay_alu instid0(VALU_DEP_1) | instskip(SKIP_1) | instid1(VALU_DEP_1)
	s_cmp_lg_u32 s0, 0
	s_addc_u32 s1, s1, s21
	v_readfirstlane_b32 s0, v9
	s_mul_i32 s21, s5, s1
	s_delay_alu instid0(VALU_DEP_1)
	s_mul_hi_u32 s22, s5, s0
	s_mul_i32 s15, s15, s0
	s_add_i32 s21, s22, s21
	s_mul_i32 s5, s5, s0
	s_add_i32 s21, s21, s15
	s_mul_hi_u32 s15, s1, s5
	s_mul_i32 s23, s1, s5
	s_mul_i32 s24, s0, s21
	s_mul_hi_u32 s5, s0, s5
	s_mul_hi_u32 s0, s0, s21
	s_add_u32 s5, s5, s24
	s_addc_u32 s0, 0, s0
	s_mul_hi_u32 s22, s1, s21
	s_add_u32 s5, s5, s23
	s_addc_u32 s0, s0, s15
	s_mul_i32 s5, s1, s21
	s_addc_u32 s15, s22, 0
	s_add_u32 s0, s0, s5
	s_addc_u32 s5, 0, s15
	v_add_co_u32 v9, s0, v9, s0
	s_delay_alu instid0(VALU_DEP_1) | instskip(SKIP_2) | instid1(SALU_CYCLE_1)
	s_cmp_lg_u32 s0, 0
	s_addc_u32 s5, s1, s5
	s_ashr_i32 s0, s13, 31
	s_add_u32 s22, s4, s0
	s_addc_u32 s23, s13, s0
	v_readfirstlane_b32 s13, v9
	s_mov_b32 s1, s0
	s_delay_alu instid0(SALU_CYCLE_1) | instskip(NEXT) | instid1(SALU_CYCLE_1)
	s_xor_b64 s[22:23], s[22:23], s[0:1]
	s_mul_i32 s15, s22, s5
	s_delay_alu instid0(VALU_DEP_1)
	s_mul_hi_u32 s21, s22, s13
	s_mul_hi_u32 s24, s22, s5
	s_add_u32 s15, s21, s15
	s_mul_i32 s25, s23, s13
	s_addc_u32 s21, 0, s24
	s_mul_hi_u32 s13, s23, s13
	s_mul_hi_u32 s24, s23, s5
	s_add_u32 s15, s15, s25
	s_addc_u32 s13, s21, s13
	s_mul_i32 s5, s23, s5
	s_addc_u32 s15, s24, 0
	s_add_u32 s5, s13, s5
	s_addc_u32 s13, 0, s15
	s_mul_i32 s21, s20, s5
	s_add_u32 s15, s5, 1
	v_sub_co_u32 v9, s21, s22, s21
	s_addc_u32 s22, s13, 0
	s_mul_i32 s25, s20, s13
	s_mul_hi_u32 s27, s20, s5
	s_delay_alu instid0(VALU_DEP_1)
	v_sub_co_u32 v10, s26, v9, s20
	s_add_u32 s24, s5, 2
	s_addc_u32 s28, s13, 0
	s_add_i32 s27, s27, s25
	s_cmp_lg_u32 s21, 0
	v_readfirstlane_b32 s21, v10
	s_subb_u32 s23, s23, s27
	s_cmp_lg_u32 s26, 0
	s_subb_u32 s25, s23, 0
	s_delay_alu instid0(VALU_DEP_1) | instskip(SKIP_4) | instid1(SALU_CYCLE_1)
	s_cmp_ge_u32 s21, s20
	s_cselect_b32 s21, -1, 0
	s_cmp_eq_u32 s25, 0
	v_readfirstlane_b32 s25, v9
	s_cselect_b32 s21, s21, -1
	s_cmp_lg_u32 s21, 0
	s_cselect_b32 s15, s24, s15
	s_cselect_b32 s21, s28, s22
	s_cmp_ge_u32 s25, s20
	s_cselect_b32 s22, -1, 0
	s_cmp_eq_u32 s23, 0
	s_cselect_b32 s22, s22, -1
	s_delay_alu instid0(SALU_CYCLE_1) | instskip(SKIP_4) | instid1(SALU_CYCLE_1)
	s_cmp_lg_u32 s22, 0
	s_cselect_b32 s23, s21, s13
	s_cselect_b32 s22, s15, s5
	s_mov_b32 s5, 0
	s_xor_b64 s[22:23], s[22:23], s[0:1]
	s_sub_u32 s0, s22, s0
.LBB45_11:                              ;   in Loop: Header=BB45_9 Depth=1
	s_and_not1_b32 vcc_lo, exec_lo, s5
	s_cbranch_vccnz .LBB45_13
; %bb.12:                               ;   in Loop: Header=BB45_9 Depth=1
	v_readfirstlane_b32 s0, v6
	s_delay_alu instid0(VALU_DEP_1) | instskip(NEXT) | instid1(SALU_CYCLE_1)
	s_mul_i32 s1, s6, s0
	s_mul_hi_u32 s1, s0, s1
	s_delay_alu instid0(SALU_CYCLE_1) | instskip(NEXT) | instid1(SALU_CYCLE_1)
	s_add_i32 s0, s0, s1
	s_mul_hi_u32 s0, s4, s0
	s_delay_alu instid0(SALU_CYCLE_1) | instskip(NEXT) | instid1(SALU_CYCLE_1)
	s_mul_i32 s1, s0, s20
	s_sub_i32 s1, s4, s1
	s_add_i32 s4, s0, 1
	s_sub_i32 s5, s1, s20
	s_cmp_ge_u32 s1, s20
	s_cselect_b32 s0, s4, s0
	s_cselect_b32 s1, s5, s1
	s_add_i32 s4, s0, 1
	s_cmp_ge_u32 s1, s20
	s_cselect_b32 s0, s4, s0
.LBB45_13:                              ;   in Loop: Header=BB45_9 Depth=1
	s_delay_alu instid0(SALU_CYCLE_1)
	s_cmp_lg_u32 s16, s0
	s_cbranch_scc0 .LBB45_17
; %bb.14:                               ;   in Loop: Header=BB45_9 Depth=1
	s_add_i32 s1, s14, s20
	s_mov_b32 s5, s12
	s_lshl_b32 s1, s1, 3
	s_mov_b32 s15, s16
	s_add_i32 s4, s1, s17
	s_mul_hi_u32 s1, s0, s8
	s_lshl_b64 s[4:5], s[4:5], 3
	s_delay_alu instid0(SALU_CYCLE_1) | instskip(SKIP_2) | instid1(SALU_CYCLE_1)
	s_add_u32 s4, s2, s4
	s_addc_u32 s5, s3, s5
	s_add_i32 s1, s1, s0
	s_lshr_b32 s1, s1, s9
	s_delay_alu instid0(SALU_CYCLE_1) | instskip(NEXT) | instid1(SALU_CYCLE_1)
	s_mul_i32 s13, s1, s10
	s_cmp_eq_u32 s13, s0
	s_cselect_b32 s13, -1, 0
	s_cmp_lt_u32 s1, s11
	s_cselect_b32 s1, -1, 0
	s_delay_alu instid0(SALU_CYCLE_1)
	s_or_b32 s1, s1, s13
	s_mov_b32 s13, -1
	s_and_b32 vcc_lo, exec_lo, s1
	s_mov_b32 s1, s14
	s_cbranch_vccnz .LBB45_16
; %bb.15:                               ;   in Loop: Header=BB45_9 Depth=1
	s_add_i32 s1, s14, -1
	s_mov_b32 s13, 0
	s_mov_b32 s15, s0
.LBB45_16:                              ;   in Loop: Header=BB45_9 Depth=1
	v_lshl_add_u32 v9, s14, 10, v0
	s_load_b64 s[4:5], s[4:5], 0x0
	s_delay_alu instid0(VALU_DEP_1) | instskip(NEXT) | instid1(VALU_DEP_1)
	v_ashrrev_i32_e32 v10, 31, v9
	v_lshlrev_b64 v[9:10], 2, v[9:10]
	s_delay_alu instid0(VALU_DEP_1) | instskip(NEXT) | instid1(VALU_DEP_2)
	v_add_co_u32 v9, vcc_lo, s18, v9
	v_add_co_ci_u32_e32 v10, vcc_lo, s19, v10, vcc_lo
	s_waitcnt lgkmcnt(0)
	v_max_f32_e64 v11, s4, s4
	global_load_b32 v10, v[9:10], off
	v_max_f32_e32 v9, v8, v8
	s_delay_alu instid0(VALU_DEP_1) | instskip(NEXT) | instid1(VALU_DEP_1)
	v_max_f32_e32 v9, v9, v11
	v_sub_f32_e32 v12, v8, v9
	s_delay_alu instid0(VALU_DEP_1) | instskip(NEXT) | instid1(VALU_DEP_1)
	v_dual_mul_f32 v14, 0x3fb8aa3b, v12 :: v_dual_sub_f32 v11, s4, v9
	v_rndne_f32_e32 v18, v14
	s_delay_alu instid0(VALU_DEP_2) | instskip(SKIP_2) | instid1(VALU_DEP_4)
	v_mul_f32_e32 v13, 0x3fb8aa3b, v11
	v_fma_f32 v17, 0x3fb8aa3b, v12, -v14
	v_cmp_ngt_f32_e32 vcc_lo, 0xc2ce8ed0, v11
	v_sub_f32_e32 v14, v14, v18
	s_delay_alu instid0(VALU_DEP_4) | instskip(SKIP_2) | instid1(VALU_DEP_3)
	v_fma_f32 v15, 0x3fb8aa3b, v11, -v13
	v_rndne_f32_e32 v16, v13
	v_fmac_f32_e32 v17, 0x32a5705f, v12
	v_fmac_f32_e32 v15, 0x32a5705f, v11
	s_delay_alu instid0(VALU_DEP_2) | instskip(NEXT) | instid1(VALU_DEP_1)
	v_dual_sub_f32 v13, v13, v16 :: v_dual_add_f32 v14, v14, v17
	v_add_f32_e32 v13, v13, v15
	s_delay_alu instid0(VALU_DEP_2) | instskip(SKIP_2) | instid1(VALU_DEP_3)
	v_exp_f32_e32 v14, v14
	v_cvt_i32_f32_e32 v15, v16
	v_cvt_i32_f32_e32 v16, v18
	v_exp_f32_e32 v13, v13
	s_waitcnt_depctr 0xfff
	v_ldexp_f32 v14, v14, v16
	v_ldexp_f32 v13, v13, v15
	s_delay_alu instid0(VALU_DEP_1) | instskip(SKIP_1) | instid1(VALU_DEP_4)
	v_cndmask_b32_e32 v13, 0, v13, vcc_lo
	v_cmp_ngt_f32_e32 vcc_lo, 0xc2ce8ed0, v12
	v_cndmask_b32_e32 v14, 0, v14, vcc_lo
	v_cmp_nlt_f32_e32 vcc_lo, 0x42b17218, v11
	s_delay_alu instid0(VALU_DEP_4) | instskip(SKIP_1) | instid1(VALU_DEP_4)
	v_cndmask_b32_e32 v13, 0x7f800000, v13, vcc_lo
	v_cmp_nlt_f32_e32 vcc_lo, 0x42b17218, v12
	v_cndmask_b32_e32 v14, 0x7f800000, v14, vcc_lo
	v_cmp_le_f32_e32 vcc_lo, 0xc1a00000, v11
	s_delay_alu instid0(VALU_DEP_4) | instskip(SKIP_1) | instid1(VALU_DEP_4)
	v_cndmask_b32_e32 v11, 0, v13, vcc_lo
	v_cmp_le_f32_e32 vcc_lo, 0xc1a00000, v12
	v_cndmask_b32_e32 v12, 0, v14, vcc_lo
	s_waitcnt vmcnt(0)
	s_delay_alu instid0(VALU_DEP_3) | instskip(NEXT) | instid1(VALU_DEP_1)
	v_mul_f32_e32 v10, v10, v11
	v_dual_mul_f32 v11, s5, v11 :: v_dual_fmac_f32 v10, v3, v12
	s_delay_alu instid0(VALU_DEP_1)
	v_fmac_f32_e32 v11, v7, v12
	s_cbranch_execz .LBB45_18
	s_branch .LBB45_19
.LBB45_17:                              ;   in Loop: Header=BB45_9 Depth=1
                                        ; implicit-def: $sgpr13
                                        ; implicit-def: $vgpr10
                                        ; implicit-def: $vgpr9
                                        ; implicit-def: $vgpr11
                                        ; implicit-def: $sgpr1
                                        ; implicit-def: $sgpr15
.LBB45_18:                              ;   in Loop: Header=BB45_9 Depth=1
	v_mov_b32_e32 v11, v7
	s_waitcnt vmcnt(0)
	v_dual_mov_b32 v9, v8 :: v_dual_mov_b32 v10, v3
	s_add_i32 s1, s14, -1
	s_mov_b32 s13, 0
	s_mov_b32 s15, s16
.LBB45_19:                              ;   in Loop: Header=BB45_9 Depth=1
	s_and_not1_b32 vcc_lo, exec_lo, s13
	s_cbranch_vccz .LBB45_23
; %bb.20:                               ;   in Loop: Header=BB45_9 Depth=1
	v_dual_mov_b32 v7, v11 :: v_dual_mov_b32 v8, v9
	s_waitcnt vmcnt(0)
	v_mov_b32_e32 v3, v10
	s_mov_b32 s16, s15
	s_mov_b32 s14, s1
	s_branch .LBB45_9
.LBB45_21:
                                        ; implicit-def: $sgpr16_sgpr17
	s_load_b128 s[8:11], s[0:1], 0x44
	s_branch .LBB45_2
.LBB45_22:
                                        ; implicit-def: $sgpr18_sgpr19
	s_branch .LBB45_5
.LBB45_23:
	v_div_scale_f32 v0, null, v11, v11, v10
	s_waitcnt vmcnt(0)
	s_delay_alu instid0(VALU_DEP_1) | instskip(SKIP_2) | instid1(VALU_DEP_1)
	v_rcp_f32_e32 v3, v0
	s_waitcnt_depctr 0xfff
	v_fma_f32 v4, -v0, v3, 1.0
	v_fmac_f32_e32 v3, v4, v3
	v_div_scale_f32 v4, vcc_lo, v10, v11, v10
	s_delay_alu instid0(VALU_DEP_1) | instskip(NEXT) | instid1(VALU_DEP_1)
	v_mul_f32_e32 v5, v4, v3
	v_fma_f32 v6, -v0, v5, v4
	s_delay_alu instid0(VALU_DEP_1) | instskip(NEXT) | instid1(VALU_DEP_1)
	v_fmac_f32_e32 v5, v6, v3
	v_fma_f32 v0, -v0, v5, v4
	s_delay_alu instid0(VALU_DEP_1) | instskip(NEXT) | instid1(VALU_DEP_1)
	v_div_fmas_f32 v0, v0, v3, v5
	v_div_fixup_f32 v0, v0, v11, v10
	global_store_b32 v[1:2], v0, off
.LBB45_24:
	s_nop 0
	s_sendmsg sendmsg(MSG_DEALLOC_VGPRS)
	s_endpgm
	.section	.rodata,"a",@progbits
	.p2align	6, 0x0
	.amdhsa_kernel _ZL33flash_attn_stream_k_fixup_generalILi128ELi4ELi2EEvPfPK15HIP_vector_typeIfLj2EEiiiiS1_IjLj3EES5_S5_S5_
		.amdhsa_group_segment_fixed_size 0
		.amdhsa_private_segment_fixed_size 0
		.amdhsa_kernarg_size 336
		.amdhsa_user_sgpr_count 13
		.amdhsa_user_sgpr_dispatch_ptr 0
		.amdhsa_user_sgpr_queue_ptr 0
		.amdhsa_user_sgpr_kernarg_segment_ptr 1
		.amdhsa_user_sgpr_dispatch_id 0
		.amdhsa_user_sgpr_private_segment_size 0
		.amdhsa_wavefront_size32 1
		.amdhsa_uses_dynamic_stack 0
		.amdhsa_enable_private_segment 0
		.amdhsa_system_sgpr_workgroup_id_x 1
		.amdhsa_system_sgpr_workgroup_id_y 1
		.amdhsa_system_sgpr_workgroup_id_z 1
		.amdhsa_system_sgpr_workgroup_info 0
		.amdhsa_system_vgpr_workitem_id 0
		.amdhsa_next_free_vgpr 19
		.amdhsa_next_free_sgpr 32
		.amdhsa_reserve_vcc 1
		.amdhsa_float_round_mode_32 0
		.amdhsa_float_round_mode_16_64 0
		.amdhsa_float_denorm_mode_32 3
		.amdhsa_float_denorm_mode_16_64 3
		.amdhsa_dx10_clamp 1
		.amdhsa_ieee_mode 1
		.amdhsa_fp16_overflow 0
		.amdhsa_workgroup_processor_mode 1
		.amdhsa_memory_ordered 1
		.amdhsa_forward_progress 0
		.amdhsa_shared_vgpr_count 0
		.amdhsa_exception_fp_ieee_invalid_op 0
		.amdhsa_exception_fp_denorm_src 0
		.amdhsa_exception_fp_ieee_div_zero 0
		.amdhsa_exception_fp_ieee_overflow 0
		.amdhsa_exception_fp_ieee_underflow 0
		.amdhsa_exception_fp_ieee_inexact 0
		.amdhsa_exception_int_div_zero 0
	.end_amdhsa_kernel
	.section	.text._ZL33flash_attn_stream_k_fixup_generalILi128ELi4ELi2EEvPfPK15HIP_vector_typeIfLj2EEiiiiS1_IjLj3EES5_S5_S5_,"axG",@progbits,_ZL33flash_attn_stream_k_fixup_generalILi128ELi4ELi2EEvPfPK15HIP_vector_typeIfLj2EEiiiiS1_IjLj3EES5_S5_S5_,comdat
.Lfunc_end45:
	.size	_ZL33flash_attn_stream_k_fixup_generalILi128ELi4ELi2EEvPfPK15HIP_vector_typeIfLj2EEiiiiS1_IjLj3EES5_S5_S5_, .Lfunc_end45-_ZL33flash_attn_stream_k_fixup_generalILi128ELi4ELi2EEvPfPK15HIP_vector_typeIfLj2EEiiiiS1_IjLj3EES5_S5_S5_
                                        ; -- End function
	.section	.AMDGPU.csdata,"",@progbits
; Kernel info:
; codeLenInByte = 3224
; NumSgprs: 34
; NumVgprs: 19
; ScratchSize: 0
; MemoryBound: 0
; FloatMode: 240
; IeeeMode: 1
; LDSByteSize: 0 bytes/workgroup (compile time only)
; SGPRBlocks: 4
; VGPRBlocks: 2
; NumSGPRsForWavesPerEU: 34
; NumVGPRsForWavesPerEU: 19
; Occupancy: 16
; WaveLimiterHint : 0
; COMPUTE_PGM_RSRC2:SCRATCH_EN: 0
; COMPUTE_PGM_RSRC2:USER_SGPR: 13
; COMPUTE_PGM_RSRC2:TRAP_HANDLER: 0
; COMPUTE_PGM_RSRC2:TGID_X_EN: 1
; COMPUTE_PGM_RSRC2:TGID_Y_EN: 1
; COMPUTE_PGM_RSRC2:TGID_Z_EN: 1
; COMPUTE_PGM_RSRC2:TIDIG_COMP_CNT: 0
	.section	.text._ZL15flash_attn_tileILi128ELi128ELi2ELi2ELb0EEvPKcS1_S1_S1_S1_PKiPfP15HIP_vector_typeIfLj2EEffffjfiS5_IjLj3EEiiiiiiiiiiiliiliiiiil,"axG",@progbits,_ZL15flash_attn_tileILi128ELi128ELi2ELi2ELb0EEvPKcS1_S1_S1_S1_PKiPfP15HIP_vector_typeIfLj2EEffffjfiS5_IjLj3EEiiiiiiiiiiiliiliiiiil,comdat
	.globl	_ZL15flash_attn_tileILi128ELi128ELi2ELi2ELb0EEvPKcS1_S1_S1_S1_PKiPfP15HIP_vector_typeIfLj2EEffffjfiS5_IjLj3EEiiiiiiiiiiiliiliiiiil ; -- Begin function _ZL15flash_attn_tileILi128ELi128ELi2ELi2ELb0EEvPKcS1_S1_S1_S1_PKiPfP15HIP_vector_typeIfLj2EEffffjfiS5_IjLj3EEiiiiiiiiiiiliiliiiiil
	.p2align	8
	.type	_ZL15flash_attn_tileILi128ELi128ELi2ELi2ELb0EEvPKcS1_S1_S1_S1_PKiPfP15HIP_vector_typeIfLj2EEffffjfiS5_IjLj3EEiiiiiiiiiiiliiliiiiil,@function
_ZL15flash_attn_tileILi128ELi128ELi2ELi2ELb0EEvPKcS1_S1_S1_S1_PKiPfP15HIP_vector_typeIfLj2EEffffjfiS5_IjLj3EEiiiiiiiiiiiliiliiiiil: ; @_ZL15flash_attn_tileILi128ELi128ELi2ELi2ELb0EEvPKcS1_S1_S1_S1_PKiPfP15HIP_vector_typeIfLj2EEffffjfiS5_IjLj3EEiiiiiiiiiiiliiliiiiil
; %bb.0:
	s_clause 0x1
	s_load_b128 s[8:11], s[0:1], 0x5c
	s_load_b64 s[34:35], s[0:1], 0x80
	s_mov_b64 s[36:37], 0
	s_waitcnt lgkmcnt(0)
	s_lshr_b32 s2, s11, 31
	s_delay_alu instid0(SALU_CYCLE_1) | instskip(NEXT) | instid1(SALU_CYCLE_1)
	s_add_i32 s2, s11, s2
	s_ashr_i32 s2, s2, 1
	s_delay_alu instid0(SALU_CYCLE_1) | instskip(SKIP_1) | instid1(VALU_DEP_1)
	v_cvt_f32_u32_e32 v1, s2
	s_sub_i32 s4, 0, s2
	v_rcp_iflag_f32_e32 v1, v1
	s_waitcnt_depctr 0xfff
	v_mul_f32_e32 v1, 0x4f7ffffe, v1
	s_delay_alu instid0(VALU_DEP_1) | instskip(NEXT) | instid1(VALU_DEP_1)
	v_cvt_u32_f32_e32 v1, v1
	v_readfirstlane_b32 s3, v1
	s_delay_alu instid0(VALU_DEP_1) | instskip(NEXT) | instid1(SALU_CYCLE_1)
	s_mul_i32 s4, s4, s3
	s_mul_hi_u32 s4, s3, s4
	s_delay_alu instid0(SALU_CYCLE_1) | instskip(NEXT) | instid1(SALU_CYCLE_1)
	s_add_i32 s3, s3, s4
	s_mul_hi_u32 s3, s15, s3
	s_delay_alu instid0(SALU_CYCLE_1) | instskip(SKIP_2) | instid1(SALU_CYCLE_1)
	s_mul_i32 s4, s3, s2
	s_add_i32 s5, s3, 1
	s_sub_i32 s4, s15, s4
	s_sub_i32 s6, s4, s2
	s_cmp_ge_u32 s4, s2
	s_cselect_b32 s3, s5, s3
	s_cselect_b32 s4, s6, s4
	s_add_i32 s5, s3, 1
	s_cmp_ge_u32 s4, s2
	s_cselect_b32 s12, s5, s3
	s_abs_i32 s2, s35
	s_abs_i32 s7, s11
	v_cvt_f32_u32_e32 v1, s2
	s_sub_i32 s4, 0, s2
	s_lshl_b32 s5, s15, 1
	s_mul_i32 s6, s12, s11
	s_delay_alu instid0(VALU_DEP_1) | instskip(SKIP_3) | instid1(VALU_DEP_1)
	v_rcp_iflag_f32_e32 v1, v1
	s_sub_i32 s15, s5, s6
	s_waitcnt_depctr 0xfff
	v_mul_f32_e32 v1, 0x4f7ffffe, v1
	v_cvt_u32_f32_e32 v1, v1
	s_delay_alu instid0(VALU_DEP_1) | instskip(NEXT) | instid1(VALU_DEP_1)
	v_readfirstlane_b32 s3, v1
	s_mul_i32 s4, s4, s3
	s_delay_alu instid0(SALU_CYCLE_1) | instskip(NEXT) | instid1(SALU_CYCLE_1)
	s_mul_hi_u32 s4, s3, s4
	s_add_i32 s3, s3, s4
	s_xor_b32 s4, s11, s35
	s_mul_hi_u32 s3, s7, s3
	s_ashr_i32 s4, s4, 31
	s_mul_i32 s5, s3, s2
	s_add_i32 s6, s3, 1
	s_sub_i32 s5, s7, s5
	s_delay_alu instid0(SALU_CYCLE_1)
	s_sub_i32 s7, s5, s2
	s_cmp_ge_u32 s5, s2
	s_cselect_b32 s3, s6, s3
	s_cselect_b32 s5, s7, s5
	s_add_i32 s6, s3, 1
	s_cmp_ge_u32 s5, s2
	s_cselect_b32 s2, s6, s3
	s_delay_alu instid0(SALU_CYCLE_1) | instskip(NEXT) | instid1(SALU_CYCLE_1)
	s_xor_b32 s2, s2, s4
	s_sub_i32 s35, s2, s4
	s_clause 0x1
	s_load_b512 s[16:31], s[0:1], 0x0
	s_load_b64 s[2:3], s[0:1], 0xb8
	s_abs_i32 s33, s35
	s_delay_alu instid0(SALU_CYCLE_1) | instskip(NEXT) | instid1(VALU_DEP_1)
	v_cvt_f32_u32_e32 v1, s33
	v_rcp_iflag_f32_e32 v1, v1
	s_waitcnt_depctr 0xfff
	v_mul_f32_e32 v1, 0x4f7ffffe, v1
	s_waitcnt lgkmcnt(0)
	s_cmp_eq_u64 s[22:23], 0
	s_delay_alu instid0(VALU_DEP_1) | instskip(NEXT) | instid1(VALU_DEP_1)
	v_cvt_u32_f32_e32 v1, v1
	v_readfirstlane_b32 s38, v1
	s_cbranch_scc1 .LBB46_2
; %bb.1:
	s_abs_i32 s2, s2
	s_abs_i32 s6, s12
	v_cvt_f32_u32_e32 v1, s2
	s_sub_i32 s5, 0, s2
	s_delay_alu instid0(VALU_DEP_1) | instskip(SKIP_2) | instid1(VALU_DEP_1)
	v_rcp_iflag_f32_e32 v1, v1
	s_waitcnt_depctr 0xfff
	v_mul_f32_e32 v1, 0x4f7ffffe, v1
	v_cvt_u32_f32_e32 v1, v1
	s_delay_alu instid0(VALU_DEP_1) | instskip(NEXT) | instid1(VALU_DEP_1)
	v_readfirstlane_b32 s4, v1
	s_mul_i32 s5, s5, s4
	s_delay_alu instid0(SALU_CYCLE_1) | instskip(NEXT) | instid1(SALU_CYCLE_1)
	s_mul_hi_u32 s5, s4, s5
	s_add_i32 s7, s4, s5
	s_load_b64 s[4:5], s[0:1], 0xc8
	s_mul_hi_u32 s7, s6, s7
	s_delay_alu instid0(SALU_CYCLE_1) | instskip(NEXT) | instid1(SALU_CYCLE_1)
	s_mul_i32 s7, s7, s2
	s_sub_i32 s6, s6, s7
	s_ashr_i32 s7, s12, 31
	s_sub_i32 s36, s6, s2
	s_cmp_ge_u32 s6, s2
	s_cselect_b32 s6, s36, s6
	s_delay_alu instid0(SALU_CYCLE_1) | instskip(SKIP_2) | instid1(SALU_CYCLE_1)
	s_sub_i32 s36, s6, s2
	s_cmp_ge_u32 s6, s2
	s_cselect_b32 s2, s36, s6
	s_xor_b32 s2, s2, s7
	s_delay_alu instid0(SALU_CYCLE_1)
	s_sub_i32 s2, s2, s7
	s_waitcnt lgkmcnt(0)
	s_mul_i32 s5, s2, s5
	s_mul_hi_u32 s6, s2, s4
	s_ashr_i32 s7, s2, 31
	s_add_i32 s5, s6, s5
	s_mul_i32 s7, s7, s4
	s_mul_i32 s2, s2, s4
	s_add_i32 s5, s5, s7
	s_add_u32 s36, s22, s2
	s_addc_u32 s37, s23, s5
.LBB46_2:
	v_bfe_u32 v2, v0, 10, 10
	s_load_b128 s[4:7], s[0:1], 0x70
	v_and_b32_e32 v0, 0x3ff, v0
	s_delay_alu instid0(VALU_DEP_2) | instskip(SKIP_1) | instid1(VALU_DEP_3)
	v_lshrrev_b32_e32 v1, 1, v2
	v_and_b32_e32 v21, 1, v2
	v_lshlrev_b32_e32 v11, 1, v0
	s_delay_alu instid0(VALU_DEP_3) | instskip(NEXT) | instid1(VALU_DEP_1)
	v_lshl_add_u32 v1, s13, 1, v1
	v_mul_hi_u32 v3, s8, v1
	s_waitcnt lgkmcnt(0)
	s_mul_i32 s2, s12, s6
	s_mul_i32 s6, s15, s5
	s_delay_alu instid0(VALU_DEP_1)
	v_add_nc_u32_e32 v3, v1, v3
	s_ashr_i32 s7, s2, 31
	s_add_u32 s2, s16, s2
	s_addc_u32 s7, s17, s7
	s_ashr_i32 s8, s6, 31
	v_lshrrev_b32_e32 v3, s9, v3
	s_add_u32 s2, s2, s6
	s_addc_u32 s6, s7, s8
	s_ashr_i32 s7, s4, 31
	s_delay_alu instid0(VALU_DEP_1) | instskip(SKIP_2) | instid1(SALU_CYCLE_1)
	v_mul_lo_u32 v3, v3, s10
	v_alignbit_b32 v7, s7, s4, 2
	s_ashr_i32 s4, s5, 31
	v_alignbit_b32 v9, s4, s5, 2
	s_lshr_b32 s8, s4, 2
	s_lshr_b32 s4, s7, 2
	v_mul_lo_u32 v8, s8, v21
	s_delay_alu instid0(VALU_DEP_4) | instskip(SKIP_1) | instid1(VALU_DEP_1)
	v_sub_nc_u32_e32 v4, v1, v3
	s_cmp_eq_u64 s[26:27], 0
	v_mad_u64_u32 v[5:6], null, v7, v4, 0
	s_delay_alu instid0(VALU_DEP_1) | instskip(NEXT) | instid1(VALU_DEP_1)
	v_mov_b32_e32 v3, v6
	v_mad_u64_u32 v[6:7], null, s4, v4, v[3:4]
	v_mul_lo_u32 v7, v9, v21
	s_delay_alu instid0(VALU_DEP_2) | instskip(NEXT) | instid1(VALU_DEP_2)
	v_lshlrev_b64 v[5:6], 2, v[5:6]
	v_lshlrev_b64 v[7:8], 2, v[7:8]
	s_delay_alu instid0(VALU_DEP_1) | instskip(NEXT) | instid1(VALU_DEP_2)
	v_add_co_u32 v3, vcc_lo, s2, v7
	v_add_co_ci_u32_e32 v7, vcc_lo, s6, v8, vcc_lo
	v_lshlrev_b32_e32 v8, 4, v0
	s_delay_alu instid0(VALU_DEP_3) | instskip(NEXT) | instid1(VALU_DEP_3)
	v_add_co_u32 v3, vcc_lo, v3, v5
	v_add_co_ci_u32_e32 v6, vcc_lo, v7, v6, vcc_lo
	s_load_b32 s2, s[0:1], 0x40
	s_delay_alu instid0(VALU_DEP_2) | instskip(NEXT) | instid1(VALU_DEP_2)
	v_add_co_u32 v5, vcc_lo, v3, v8
	v_add_co_ci_u32_e32 v6, vcc_lo, 0, v6, vcc_lo
	v_lshlrev_b32_e32 v3, 6, v2
	global_load_b128 v[5:8], v[5:6], off
	v_add_lshl_u32 v3, v3, v11, 2
	s_waitcnt vmcnt(0) lgkmcnt(0)
	v_fma_mixlo_f16 v10, v7, s2, 0
	v_fma_mixlo_f16 v9, v5, s2, 0
	s_delay_alu instid0(VALU_DEP_2) | instskip(NEXT) | instid1(VALU_DEP_2)
	v_fma_mixhi_f16 v10, v8, s2, 0
	v_fma_mixhi_f16 v9, v6, s2, 0
	ds_store_b64 v3, v[9:10] offset:9216
	s_waitcnt lgkmcnt(0)
	s_barrier
	buffer_gl0_inv
	s_cbranch_scc1 .LBB46_4
; %bb.3:
	s_load_b32 s2, s[0:1], 0xd0
	s_mov_b32 s5, 0
	s_waitcnt lgkmcnt(0)
	s_mul_i32 s2, s2, s12
	s_delay_alu instid0(SALU_CYCLE_1) | instskip(NEXT) | instid1(SALU_CYCLE_1)
	s_add_i32 s4, s2, s13
	s_lshl_b64 s[4:5], s[4:5], 2
	s_delay_alu instid0(SALU_CYCLE_1)
	s_add_u32 s4, s26, s4
	s_addc_u32 s5, s27, s5
	s_load_b32 s34, s[4:5], 0x0
.LBB46_4:
	v_mbcnt_lo_u32_b32 v20, -1, 0
	s_lshl_b32 s13, s14, 6
	s_waitcnt lgkmcnt(0)
	s_cmp_lt_i32 s13, s34
	s_cbranch_scc1 .LBB46_6
; %bb.5:
	v_mbcnt_lo_u32_b32 v5, -1, 0
	v_mov_b32_e32 v3, 32
	s_mov_b32 s2, 0
	s_mov_b32 s4, 0xfeffffff
	s_delay_alu instid0(VALU_DEP_2)
	v_xor_b32_e32 v27, 16, v5
	v_xor_b32_e32 v26, 8, v5
	;; [unrolled: 1-line block ×5, first 2 shown]
	s_branch .LBB46_7
.LBB46_6:
	s_mov_b32 s2, -1
                                        ; implicit-def: $sgpr4
                                        ; implicit-def: $vgpr5
                                        ; implicit-def: $vgpr3
                                        ; implicit-def: $vgpr27
                                        ; implicit-def: $vgpr26
                                        ; implicit-def: $vgpr25
                                        ; implicit-def: $vgpr24
                                        ; implicit-def: $vgpr23
.LBB46_7:
	s_delay_alu instid0(SALU_CYCLE_1) | instskip(SKIP_2) | instid1(VALU_DEP_3)
	v_cndmask_b32_e64 v6, 0, 1, s2
	v_dual_mov_b32 v47, s2 :: v_dual_lshlrev_b32 v22, 2, v0
	v_dual_mov_b32 v19, s4 :: v_dual_mov_b32 v48, s2
	v_cmp_ne_u32_e32 vcc_lo, 1, v6
	v_mov_b32_e32 v46, s2
	s_cbranch_vccnz .LBB46_11
; %bb.8:
	s_clause 0x1
	s_load_b128 s[4:7], s[0:1], 0x98
	s_load_b64 s[8:9], s[0:1], 0x8c
	s_sub_i32 s2, 0, s33
	s_abs_i32 s26, s15
	s_mul_i32 s2, s2, s38
	s_ashr_i32 s27, s15, 31
	s_mul_hi_u32 s2, s38, s2
	s_ashr_i32 s35, s35, 31
	s_add_i32 s38, s38, s2
	s_ashr_i32 s2, s3, 1
	s_mul_hi_u32 s3, s26, s38
	s_ashr_i32 s38, s12, 31
	s_load_b64 s[22:23], s[0:1], 0xa8
	s_mul_i32 s39, s3, s33
	v_lshrrev_b32_e32 v3, 3, v0
	v_dual_mov_b32 v46, 0 :: v_dual_and_b32 v23, 28, v22
	v_lshrrev_b32_e32 v8, 4, v0
	v_mov_b32_e32 v19, 0xfeffffff
	s_delay_alu instid0(VALU_DEP_4)
	v_lshl_add_u32 v3, v2, 2, v3
	s_waitcnt lgkmcnt(0)
	s_ashr_i32 s16, s6, 2
	s_mul_i32 s5, s12, s5
	s_mul_hi_u32 s6, s12, s4
	s_ashr_i32 s17, s8, 2
	s_mul_i32 s8, s38, s4
	s_add_i32 s5, s6, s5
	s_mul_i32 s4, s12, s4
	s_add_i32 s5, s5, s8
	s_add_u32 s4, s18, s4
	s_addc_u32 s5, s19, s5
	s_sub_i32 s8, s26, s39
	s_xor_b32 s6, s27, s35
	s_add_i32 s18, s3, 1
	s_sub_i32 s19, s8, s33
	s_cmp_ge_u32 s8, s33
	s_mul_i32 s38, s38, s22
	s_cselect_b32 s3, s18, s3
	s_cselect_b32 s8, s19, s8
	s_add_i32 s18, s3, 1
	s_cmp_ge_u32 s8, s33
	s_mul_i32 s8, s12, s23
	s_cselect_b32 s3, s18, s3
	s_mul_hi_u32 s23, s12, s22
	s_xor_b32 s3, s3, s6
	v_mul_lo_u32 v5, s17, v3
	s_sub_i32 s3, s3, s6
	v_lshlrev_b32_e32 v6, 2, v23
	s_mul_i32 s6, s3, s9
	s_mul_i32 s9, s12, s22
	s_ashr_i32 s19, s6, 31
	s_add_u32 s18, s4, s6
	s_addc_u32 s19, s5, s19
	s_add_i32 s4, s23, s8
	s_mul_i32 s3, s3, s7
	s_add_i32 s4, s4, s38
	s_add_u32 s5, s20, s9
	s_addc_u32 s4, s21, s4
	s_ashr_i32 s6, s3, 31
	s_add_u32 s7, s5, s3
	s_addc_u32 s20, s4, s6
	s_lshl_b32 s3, s17, 4
	v_mad_u32_u24 v28, 0x90, v3, v6
	v_lshl_add_u32 v3, v2, 1, v8
	v_dual_mov_b32 v48, 0 :: v_dual_add_nc_u32 v7, s3, v5
	v_and_b32_e32 v42, 60, v22
	v_ashrrev_i32_e32 v6, 31, v5
	s_delay_alu instid0(VALU_DEP_4) | instskip(NEXT) | instid1(VALU_DEP_4)
	v_mul_lo_u32 v13, s16, v3
	v_add_nc_u32_e32 v9, s3, v7
	v_ashrrev_i32_e32 v8, 31, v7
	v_lshlrev_b32_e32 v14, 2, v42
	v_lshl_add_u32 v34, v2, 7, 0x2800
	v_lshlrev_b32_e32 v40, 3, v0
	v_add_nc_u32_e32 v11, s3, v9
	s_lshl_b32 s3, s16, 3
	v_ashrrev_i32_e32 v10, 31, v9
	v_add_nc_u32_e32 v15, s3, v13
	v_lshl_or_b32 v35, v3, 8, v14
	v_ashrrev_i32_e32 v12, 31, v11
	v_ashrrev_i32_e32 v14, 31, v13
	v_lshl_add_u32 v32, v2, 8, 0x2400
	v_add_nc_u32_e32 v17, s3, v15
	v_ashrrev_i32_e32 v16, 31, v15
	v_mad_u64_u32 v[2:3], null, v4, s2, v[0:1]
	v_lshlrev_b64 v[3:4], 2, v[5:6]
	s_delay_alu instid0(VALU_DEP_4)
	v_add_nc_u32_e32 v43, s3, v17
	v_ashrrev_i32_e32 v18, 31, v17
	v_lshlrev_b64 v[5:6], 2, v[7:8]
	v_lshlrev_b64 v[7:8], 2, v[9:10]
	;; [unrolled: 1-line block ×3, first 2 shown]
	v_ashrrev_i32_e32 v44, 31, v43
	v_lshlrev_b64 v[11:12], 2, v[13:14]
	v_lshlrev_b64 v[13:14], 2, v[15:16]
	;; [unrolled: 1-line block ×3, first 2 shown]
	v_add_nc_u32_e32 v29, 0x900, v28
	v_lshlrev_b64 v[17:18], 2, v[43:44]
	v_dual_mov_b32 v47, 0 :: v_dual_add_nc_u32 v30, 0x1200, v28
	v_add_nc_u32_e32 v31, 0x1b00, v28
	v_mul_u32_u24_e32 v33, 0x90, v0
	v_lshl_add_u32 v36, v0, 1, v34
	v_add_nc_u32_e32 v37, 0x800, v35
	v_add_nc_u32_e32 v38, 0x1000, v35
	;; [unrolled: 1-line block ×3, first 2 shown]
	v_lshlrev_b32_e32 v41, 2, v23
	v_xor_b32_e32 v27, 16, v20
	v_xor_b32_e32 v26, 8, v20
	;; [unrolled: 1-line block ×5, first 2 shown]
	v_lshlrev_b32_e32 v42, 2, v42
	v_add_nc_u32_e32 v43, 0x800, v40
	v_add_nc_u32_e32 v44, 0x1000, v40
	v_add_nc_u32_e32 v45, 0x1800, v40
	s_add_u32 s8, s0, 0xd0
	s_addc_u32 s9, s1, 0
.LBB46_9:                               ; =>This Inner Loop Header: Depth=1
	s_mul_hi_i32 s3, s13, s17
	s_mul_i32 s2, s13, s17
	s_mul_hi_i32 s23, s13, s16
	s_lshl_b64 s[2:3], s[2:3], 2
	s_mul_i32 s22, s13, s16
	s_add_u32 s4, s18, s2
	s_addc_u32 s5, s19, s3
	v_add_co_u32 v49, vcc_lo, s4, v5
	v_add_co_u32 v50, s2, s4, v7
	v_add_co_u32 v51, s3, s4, v9
	;; [unrolled: 1-line block ×3, first 2 shown]
	s_delay_alu instid0(VALU_DEP_1)
	v_add_co_ci_u32_e64 v53, s4, s5, v4, s4
	v_add_co_ci_u32_e32 v54, vcc_lo, s5, v6, vcc_lo
	v_add_co_ci_u32_e64 v55, vcc_lo, s5, v8, s2
	v_add_co_ci_u32_e64 v56, vcc_lo, s5, v10, s3
	v_add_co_u32 v73, s4, v52, v41
	v_add_co_u32 v67, vcc_lo, v49, v41
	v_add_co_u32 v69, s2, v50, v41
	v_add_co_ci_u32_e64 v74, s4, 0, v53, s4
	v_add_co_u32 v71, s3, v51, v41
	v_add_co_ci_u32_e32 v68, vcc_lo, 0, v54, vcc_lo
	v_add_co_ci_u32_e64 v70, vcc_lo, 0, v55, s2
	v_add_co_ci_u32_e64 v72, vcc_lo, 0, v56, s3
	s_clause 0x3
	global_load_b128 v[51:54], v[73:74], off
	global_load_b128 v[55:58], v[67:68], off
	;; [unrolled: 1-line block ×4, first 2 shown]
	v_dual_mov_b32 v49, 0 :: v_dual_mov_b32 v50, 0
	v_cmp_gt_i32_e64 s2, 32, v26
	v_cmp_gt_i32_e64 s3, 32, v25
	;; [unrolled: 1-line block ×4, first 2 shown]
	s_waitcnt vmcnt(3)
	ds_store_b128 v28, v[51:54]
	s_waitcnt vmcnt(2)
	ds_store_b128 v29, v[55:58]
	;; [unrolled: 2-line block ×4, first 2 shown]
	s_waitcnt lgkmcnt(0)
	s_barrier
	buffer_gl0_inv
	ds_load_b128 v[51:54], v33
	ds_load_b128 v[55:58], v32
	ds_load_b128 v[59:62], v33 offset:4608
	s_waitcnt lgkmcnt(1)
	;;#ASMSTART
	v_dot2_f32_f16 v49, v51, v55, v49
	;;#ASMEND
	;;#ASMSTART
	v_dot2_f32_f16 v49, v52, v56, v49
	;;#ASMEND
	;;#ASMSTART
	v_dot2_f32_f16 v49, v53, v57, v49
	;;#ASMEND
	;;#ASMSTART
	v_dot2_f32_f16 v49, v54, v58, v49
	;;#ASMEND
	s_waitcnt lgkmcnt(0)
	;;#ASMSTART
	v_dot2_f32_f16 v50, v59, v55, v50
	;;#ASMEND
	;;#ASMSTART
	v_dot2_f32_f16 v50, v60, v56, v50
	;;#ASMEND
	;;#ASMSTART
	v_dot2_f32_f16 v50, v61, v57, v50
	;;#ASMEND
	;;#ASMSTART
	v_dot2_f32_f16 v50, v62, v58, v50
	;;#ASMEND
	ds_load_b128 v[51:54], v33 offset:16
	ds_load_b128 v[55:58], v32 offset:16
	ds_load_b128 v[59:62], v33 offset:4624
	s_waitcnt lgkmcnt(1)
	;;#ASMSTART
	v_dot2_f32_f16 v49, v51, v55, v49
	;;#ASMEND
	;;#ASMSTART
	v_dot2_f32_f16 v49, v52, v56, v49
	;;#ASMEND
	;;#ASMSTART
	v_dot2_f32_f16 v49, v53, v57, v49
	;;#ASMEND
	;;#ASMSTART
	v_dot2_f32_f16 v49, v54, v58, v49
	;;#ASMEND
	s_waitcnt lgkmcnt(0)
	;;#ASMSTART
	v_dot2_f32_f16 v50, v59, v55, v50
	;;#ASMEND
	;;#ASMSTART
	v_dot2_f32_f16 v50, v60, v56, v50
	;;#ASMEND
	;;#ASMSTART
	v_dot2_f32_f16 v50, v61, v57, v50
	;;#ASMEND
	;;#ASMSTART
	v_dot2_f32_f16 v50, v62, v58, v50
	;;#ASMEND
	ds_load_b128 v[51:54], v33 offset:32
	ds_load_b128 v[55:58], v32 offset:32
	;; [unrolled: 29-line block ×7, first 2 shown]
	ds_load_b128 v[59:62], v33 offset:4720
	s_waitcnt lgkmcnt(1)
	;;#ASMSTART
	v_dot2_f32_f16 v49, v51, v55, v49
	;;#ASMEND
	;;#ASMSTART
	v_dot2_f32_f16 v49, v52, v56, v49
	;;#ASMEND
	;; [unrolled: 3-line block ×4, first 2 shown]
	s_waitcnt lgkmcnt(0)
	;;#ASMSTART
	v_dot2_f32_f16 v50, v59, v55, v50
	;;#ASMEND
	;;#ASMSTART
	v_dot2_f32_f16 v50, v60, v56, v50
	;;#ASMEND
	;; [unrolled: 3-line block ×4, first 2 shown]
	s_barrier
	buffer_gl0_inv
	s_clause 0x3
	global_load_b128 v[51:54], v[73:74], off offset:128
	global_load_b128 v[55:58], v[67:68], off offset:128
	;; [unrolled: 1-line block ×4, first 2 shown]
	v_add_nc_u32_e32 v67, s13, v2
	s_waitcnt vmcnt(3)
	ds_store_b128 v28, v[51:54]
	s_waitcnt vmcnt(2)
	ds_store_b128 v29, v[55:58]
	;; [unrolled: 2-line block ×4, first 2 shown]
	s_waitcnt lgkmcnt(0)
	s_barrier
	buffer_gl0_inv
	ds_load_b128 v[51:54], v33
	ds_load_b128 v[55:58], v32 offset:128
	ds_load_b128 v[59:62], v33 offset:4608
	s_waitcnt lgkmcnt(1)
	;;#ASMSTART
	v_dot2_f32_f16 v49, v51, v55, v49
	;;#ASMEND
	;;#ASMSTART
	v_dot2_f32_f16 v49, v52, v56, v49
	;;#ASMEND
	;;#ASMSTART
	v_dot2_f32_f16 v49, v53, v57, v49
	;;#ASMEND
	;;#ASMSTART
	v_dot2_f32_f16 v49, v54, v58, v49
	;;#ASMEND
	s_waitcnt lgkmcnt(0)
	;;#ASMSTART
	v_dot2_f32_f16 v50, v59, v55, v50
	;;#ASMEND
	;;#ASMSTART
	v_dot2_f32_f16 v50, v60, v56, v50
	;;#ASMEND
	;;#ASMSTART
	v_dot2_f32_f16 v50, v61, v57, v50
	;;#ASMEND
	;;#ASMSTART
	v_dot2_f32_f16 v50, v62, v58, v50
	;;#ASMEND
	ds_load_b128 v[51:54], v33 offset:16
	ds_load_b128 v[55:58], v32 offset:144
	ds_load_b128 v[59:62], v33 offset:4624
	s_waitcnt lgkmcnt(1)
	;;#ASMSTART
	v_dot2_f32_f16 v49, v51, v55, v49
	;;#ASMEND
	;;#ASMSTART
	v_dot2_f32_f16 v49, v52, v56, v49
	;;#ASMEND
	;;#ASMSTART
	v_dot2_f32_f16 v49, v53, v57, v49
	;;#ASMEND
	;;#ASMSTART
	v_dot2_f32_f16 v49, v54, v58, v49
	;;#ASMEND
	s_waitcnt lgkmcnt(0)
	;;#ASMSTART
	v_dot2_f32_f16 v50, v59, v55, v50
	;;#ASMEND
	;;#ASMSTART
	v_dot2_f32_f16 v50, v60, v56, v50
	;;#ASMEND
	;;#ASMSTART
	v_dot2_f32_f16 v50, v61, v57, v50
	;;#ASMEND
	;;#ASMSTART
	v_dot2_f32_f16 v50, v62, v58, v50
	;;#ASMEND
	ds_load_b128 v[51:54], v33 offset:32
	;; [unrolled: 29-line block ×7, first 2 shown]
	ds_load_b128 v[55:58], v32 offset:240
	ds_load_b128 v[59:62], v33 offset:4720
	v_ashrrev_i32_e32 v68, 31, v67
	s_waitcnt lgkmcnt(1)
	;;#ASMSTART
	v_dot2_f32_f16 v49, v51, v55, v49
	;;#ASMEND
	s_delay_alu instid0(VALU_DEP_1)
	v_lshlrev_b64 v[67:68], 1, v[67:68]
	;;#ASMSTART
	v_dot2_f32_f16 v49, v52, v56, v49
	;;#ASMEND
	;;#ASMSTART
	v_dot2_f32_f16 v49, v53, v57, v49
	;;#ASMEND
	;; [unrolled: 3-line block ×3, first 2 shown]
	s_waitcnt lgkmcnt(0)
	;;#ASMSTART
	v_dot2_f32_f16 v50, v59, v55, v50
	;;#ASMEND
	;;#ASMSTART
	v_dot2_f32_f16 v50, v60, v56, v50
	;;#ASMEND
	v_add_co_u32 v67, vcc_lo, s36, v67
	v_add_co_ci_u32_e32 v68, vcc_lo, s37, v68, vcc_lo
	;;#ASMSTART
	v_dot2_f32_f16 v50, v61, v57, v50
	;;#ASMEND
	;;#ASMSTART
	v_dot2_f32_f16 v50, v62, v58, v50
	;;#ASMEND
	s_clause 0x1
	flat_load_u16 v69, v[67:68]
	flat_load_u16 v67, v[67:68] offset:64
	v_mov_b32_e32 v68, v19
	v_cmp_gt_i32_e32 vcc_lo, 32, v27
	v_cndmask_b32_e64 v51, v20, v26, s2
	v_cndmask_b32_e64 v52, v20, v25, s3
	s_lshl_b64 s[2:3], s[22:23], 2
	v_cndmask_b32_e64 v53, v20, v24, s4
	v_cndmask_b32_e64 v54, v20, v23, s5
	s_add_u32 s4, s7, s2
	s_addc_u32 s5, s20, s3
	s_or_b32 s6, s13, 32
	v_dual_cndmask_b32 v19, v20, v27 :: v_dual_lshlrev_b32 v72, 2, v53
	v_add_co_u32 v55, vcc_lo, s4, v13
	v_add_co_u32 v56, s2, s4, v15
	v_add_co_u32 v57, s3, s4, v17
	;; [unrolled: 1-line block ×3, first 2 shown]
	s_mul_hi_i32 s23, s6, s16
	s_mul_i32 s22, s6, s16
	v_add_co_ci_u32_e32 v53, vcc_lo, s5, v14, vcc_lo
	v_add_co_ci_u32_e64 v61, vcc_lo, s5, v18, s3
	v_add_co_u32 v63, s3, v57, v42
	s_waitcnt vmcnt(0) lgkmcnt(0)
	s_barrier
	buffer_gl0_inv
	v_lshlrev_b32_e32 v19, 2, v19
	v_cvt_f32_f16_e32 v69, v69
	v_cvt_f32_f16_e32 v67, v67
	v_lshlrev_b32_e32 v71, 2, v52
	v_add_co_ci_u32_e64 v52, s4, s5, v12, s4
	s_delay_alu instid0(VALU_DEP_4) | instskip(NEXT) | instid1(VALU_DEP_4)
	v_dual_add_f32 v49, v49, v69 :: v_dual_lshlrev_b32 v70, 2, v51
	v_dual_add_f32 v50, v50, v67 :: v_dual_lshlrev_b32 v73, 2, v54
	v_add_co_ci_u32_e64 v54, vcc_lo, s5, v16, s2
	s_lshl_b64 s[4:5], s[22:23], 2
	v_add_co_u32 v55, vcc_lo, v55, v42
	v_add_co_u32 v59, s2, v56, v42
	s_add_u32 s6, s7, s4
	v_add_co_u32 v51, s4, v58, v42
	s_delay_alu instid0(VALU_DEP_1)
	v_add_co_ci_u32_e64 v52, s4, 0, v52, s4
	v_add_co_ci_u32_e32 v56, vcc_lo, 0, v53, vcc_lo
	v_add_co_ci_u32_e64 v60, vcc_lo, 0, v54, s2
	v_add_co_ci_u32_e64 v64, vcc_lo, 0, v61, s3
	s_addc_u32 s5, s20, s5
	v_add_co_u32 v53, vcc_lo, s6, v13
	v_add_co_u32 v54, s2, s6, v15
	v_add_co_u32 v57, s3, s6, v17
	;; [unrolled: 1-line block ×3, first 2 shown]
	s_delay_alu instid0(VALU_DEP_1)
	v_add_co_ci_u32_e64 v61, s4, s5, v12, s4
	v_add_co_ci_u32_e32 v62, vcc_lo, s5, v14, vcc_lo
	v_add_co_ci_u32_e64 v65, vcc_lo, s5, v16, s2
	v_add_co_ci_u32_e64 v66, vcc_lo, s5, v18, s3
	v_add_co_u32 v101, vcc_lo, v53, v42
	v_add_co_u32 v103, s2, v54, v42
	v_add_co_u32 v105, s3, v57, v42
	;; [unrolled: 1-line block ×3, first 2 shown]
	s_delay_alu instid0(VALU_DEP_1)
	v_add_co_ci_u32_e64 v98, s4, 0, v61, s4
	v_add_co_ci_u32_e32 v102, vcc_lo, 0, v62, vcc_lo
	v_add_co_ci_u32_e64 v104, vcc_lo, 0, v65, s2
	v_add_co_ci_u32_e64 v106, vcc_lo, 0, v66, s3
	s_clause 0x3
	global_load_b128 v[51:54], v[51:52], off
	global_load_b128 v[55:58], v[55:56], off
	;; [unrolled: 1-line block ×4, first 2 shown]
	v_add_f32_e32 v67, 0x40051340, v49
	v_add_f32_e32 v69, 0x40051340, v50
	s_delay_alu instid0(VALU_DEP_1) | instskip(SKIP_3) | instid1(VALU_DEP_1)
	v_max3_f32 v67, v68, v67, v69
	ds_bpermute_b32 v19, v19, v67
	s_waitcnt lgkmcnt(0)
	v_max_f32_e32 v19, v19, v19
	v_max_f32_e32 v19, v67, v19
	ds_bpermute_b32 v67, v70, v19
	s_waitcnt lgkmcnt(0)
	v_max_f32_e32 v67, v67, v67
	s_delay_alu instid0(VALU_DEP_1) | instskip(SKIP_3) | instid1(VALU_DEP_1)
	v_max_f32_e32 v19, v19, v67
	ds_bpermute_b32 v67, v71, v19
	s_waitcnt lgkmcnt(0)
	v_max_f32_e32 v67, v67, v67
	v_max_f32_e32 v19, v19, v67
	ds_bpermute_b32 v67, v72, v19
	s_waitcnt lgkmcnt(0)
	v_max_f32_e32 v67, v67, v67
	s_delay_alu instid0(VALU_DEP_1) | instskip(SKIP_3) | instid1(VALU_DEP_1)
	v_max_f32_e32 v19, v19, v67
	ds_bpermute_b32 v67, v73, v19
	s_waitcnt lgkmcnt(0)
	v_max_f32_e32 v67, v67, v67
	v_max_f32_e32 v19, v19, v67
	s_delay_alu instid0(VALU_DEP_1) | instskip(SKIP_1) | instid1(VALU_DEP_2)
	v_sub_f32_e32 v49, v49, v19
	v_sub_f32_e32 v50, v50, v19
	v_dual_sub_f32 v67, v68, v19 :: v_dual_mul_f32 v68, 0x3fb8aa3b, v49
	s_delay_alu instid0(VALU_DEP_1) | instskip(SKIP_2) | instid1(VALU_DEP_4)
	v_dual_mul_f32 v69, 0x3fb8aa3b, v50 :: v_dual_mul_f32 v70, 0x3fb8aa3b, v67
	v_cmp_ngt_f32_e64 s3, 0xc2ce8ed0, v49
	v_cmp_nlt_f32_e64 s6, 0x42b17218, v49
	v_fma_f32 v71, 0x3fb8aa3b, v49, -v68
	v_rndne_f32_e32 v72, v68
	v_fma_f32 v73, 0x3fb8aa3b, v50, -v69
	v_rndne_f32_e32 v74, v69
	v_cmp_ngt_f32_e32 vcc_lo, 0xc2ce8ed0, v50
	v_fmac_f32_e32 v71, 0x32a5705f, v49
	v_sub_f32_e32 v49, v68, v72
	v_cmp_nlt_f32_e64 s4, 0x42b17218, v50
	v_fmac_f32_e32 v73, 0x32a5705f, v50
	v_sub_f32_e32 v50, v69, v74
	v_fma_f32 v75, 0x3fb8aa3b, v67, -v70
	v_rndne_f32_e32 v76, v70
	v_add_f32_e32 v49, v49, v71
	v_cmp_ngt_f32_e64 s2, 0xc2ce8ed0, v67
	v_add_f32_e32 v50, v50, v73
	v_cmp_nlt_f32_e64 s5, 0x42b17218, v67
	v_fmac_f32_e32 v75, 0x32a5705f, v67
	v_sub_f32_e32 v67, v70, v76
	v_exp_f32_e32 v49, v49
	v_exp_f32_e32 v50, v50
	v_cvt_i32_f32_e32 v68, v72
	v_cvt_i32_f32_e32 v69, v74
	v_add_f32_e32 v67, v67, v75
	v_cvt_i32_f32_e32 v70, v76
	s_delay_alu instid0(VALU_DEP_2) | instskip(NEXT) | instid1(TRANS32_DEP_3)
	v_exp_f32_e32 v67, v67
	v_ldexp_f32 v49, v49, v68
	s_delay_alu instid0(TRANS32_DEP_2) | instskip(NEXT) | instid1(VALU_DEP_2)
	v_ldexp_f32 v50, v50, v69
	v_cndmask_b32_e64 v49, 0, v49, s3
	s_delay_alu instid0(VALU_DEP_2) | instskip(SKIP_4) | instid1(VALU_DEP_3)
	v_cndmask_b32_e32 v50, 0, v50, vcc_lo
	s_waitcnt_depctr 0xfff
	v_ldexp_f32 v67, v67, v70
	v_cndmask_b32_e64 v107, 0x7f800000, v49, s6
	v_cndmask_b32_e64 v108, 0x7f800000, v50, s4
	;; [unrolled: 1-line block ×3, first 2 shown]
	s_delay_alu instid0(VALU_DEP_3) | instskip(NEXT) | instid1(VALU_DEP_3)
	v_cvt_f16_f32_e32 v49, v107
	v_cvt_f16_f32_e32 v50, v108
	ds_store_b16 v36, v49
	ds_store_b16 v36, v50 offset:64
	s_waitcnt vmcnt(3)
	ds_store_b128 v35, v[51:54]
	s_waitcnt vmcnt(2)
	ds_store_b128 v37, v[55:58]
	s_waitcnt vmcnt(1)
	ds_store_b128 v38, v[59:62]
	s_waitcnt vmcnt(0)
	ds_store_b128 v39, v[63:66]
	v_cndmask_b32_e64 v109, 0x7f800000, v67, s5
	s_waitcnt lgkmcnt(0)
	s_barrier
	buffer_gl0_inv
	ds_load_2addr_b64 v[49:52], v40 offset1:32
	ds_load_b128 v[53:56], v34
	ds_load_b128 v[57:60], v34 offset:16
	ds_load_b128 v[61:64], v34 offset:32
	;; [unrolled: 1-line block ×3, first 2 shown]
	ds_load_2addr_b64 v[69:72], v40 offset0:64 offset1:96
	ds_load_2addr_b64 v[73:76], v40 offset0:128 offset1:160
	;; [unrolled: 1-line block ×3, first 2 shown]
	ds_load_2addr_b64 v[81:84], v43 offset1:32
	ds_load_2addr_b64 v[85:88], v43 offset0:64 offset1:96
	ds_load_2addr_b64 v[89:92], v43 offset0:128 offset1:160
	;; [unrolled: 1-line block ×3, first 2 shown]
	v_cvt_f16_f32_e32 v99, v109
	v_add_f32_e32 v107, v107, v108
	s_waitcnt lgkmcnt(10)
	v_pk_mul_f16 v49, v49, v53 op_sel_hi:[1,0]
	v_pk_mul_f16 v50, v50, v53 op_sel_hi:[1,0]
	s_delay_alu instid0(VALU_DEP_2) | instskip(NEXT) | instid1(VALU_DEP_2)
	v_pk_fma_f16 v46, v46, v99, v49 op_sel_hi:[1,0,1]
	v_pk_fma_f16 v47, v47, v99, v50 op_sel_hi:[1,0,1]
	s_delay_alu instid0(VALU_DEP_2) | instskip(NEXT) | instid1(VALU_DEP_2)
	v_pk_fma_f16 v46, v51, v53, v46 op_sel:[0,1,0]
	v_pk_fma_f16 v47, v52, v53, v47 op_sel:[0,1,0]
	ds_load_2addr_b64 v[49:52], v44 offset1:32
	s_waitcnt lgkmcnt(7)
	v_pk_fma_f16 v46, v69, v54, v46 op_sel_hi:[1,0,1]
	v_pk_fma_f16 v47, v70, v54, v47 op_sel_hi:[1,0,1]
	s_delay_alu instid0(VALU_DEP_2) | instskip(NEXT) | instid1(VALU_DEP_2)
	v_pk_fma_f16 v46, v71, v54, v46 op_sel:[0,1,0]
	v_pk_fma_f16 v47, v72, v54, v47 op_sel:[0,1,0]
	ds_load_2addr_b64 v[69:72], v44 offset0:64 offset1:96
	s_waitcnt lgkmcnt(7)
	v_pk_fma_f16 v46, v73, v55, v46 op_sel_hi:[1,0,1]
	v_pk_fma_f16 v47, v74, v55, v47 op_sel_hi:[1,0,1]
	s_delay_alu instid0(VALU_DEP_2) | instskip(NEXT) | instid1(VALU_DEP_2)
	v_pk_fma_f16 v46, v75, v55, v46 op_sel:[0,1,0]
	v_pk_fma_f16 v47, v76, v55, v47 op_sel:[0,1,0]
	ds_load_2addr_b64 v[73:76], v44 offset0:128 offset1:160
	;; [unrolled: 7-line block ×3, first 2 shown]
	ds_load_2addr_b64 v[77:80], v45 offset1:32
	s_waitcnt lgkmcnt(8)
	v_pk_fma_f16 v46, v81, v57, v46 op_sel_hi:[1,0,1]
	v_pk_fma_f16 v47, v82, v57, v47 op_sel_hi:[1,0,1]
	s_delay_alu instid0(VALU_DEP_2) | instskip(NEXT) | instid1(VALU_DEP_2)
	v_pk_fma_f16 v46, v83, v57, v46 op_sel:[0,1,0]
	v_pk_fma_f16 v47, v84, v57, v47 op_sel:[0,1,0]
	ds_load_2addr_b64 v[81:84], v45 offset0:64 offset1:96
	s_waitcnt lgkmcnt(8)
	v_pk_fma_f16 v46, v85, v58, v46 op_sel_hi:[1,0,1]
	v_pk_fma_f16 v47, v86, v58, v47 op_sel_hi:[1,0,1]
	s_delay_alu instid0(VALU_DEP_2) | instskip(NEXT) | instid1(VALU_DEP_2)
	v_pk_fma_f16 v46, v87, v58, v46 op_sel:[0,1,0]
	v_pk_fma_f16 v47, v88, v58, v47 op_sel:[0,1,0]
	ds_load_2addr_b64 v[85:88], v45 offset0:128 offset1:160
	;; [unrolled: 7-line block ×3, first 2 shown]
	s_waitcnt lgkmcnt(0)
	s_barrier
	v_pk_fma_f16 v46, v93, v60, v46 op_sel_hi:[1,0,1]
	v_pk_fma_f16 v47, v94, v60, v47 op_sel_hi:[1,0,1]
	buffer_gl0_inv
	global_load_b128 v[97:100], v[97:98], off
	v_pk_fma_f16 v46, v95, v60, v46 op_sel:[0,1,0]
	v_pk_fma_f16 v47, v96, v60, v47 op_sel:[0,1,0]
	s_clause 0x2
	global_load_b128 v[57:60], v[101:102], off
	global_load_b128 v[93:96], v[103:104], off
	;; [unrolled: 1-line block ×3, first 2 shown]
	v_mov_b32_e32 v106, v48
	s_waitcnt vmcnt(3)
	ds_store_b128 v35, v[97:100]
	s_waitcnt vmcnt(2)
	ds_store_b128 v37, v[57:60]
	;; [unrolled: 2-line block ×4, first 2 shown]
	v_pk_fma_f16 v46, v49, v61, v46 op_sel_hi:[1,0,1]
	v_pk_fma_f16 v47, v50, v61, v47 op_sel_hi:[1,0,1]
	s_waitcnt lgkmcnt(0)
	s_barrier
	buffer_gl0_inv
	v_pk_fma_f16 v46, v51, v61, v46 op_sel:[0,1,0]
	v_pk_fma_f16 v47, v52, v61, v47 op_sel:[0,1,0]
	s_delay_alu instid0(VALU_DEP_2) | instskip(NEXT) | instid1(VALU_DEP_2)
	v_pk_fma_f16 v46, v69, v62, v46 op_sel_hi:[1,0,1]
	v_pk_fma_f16 v47, v70, v62, v47 op_sel_hi:[1,0,1]
	s_delay_alu instid0(VALU_DEP_2) | instskip(NEXT) | instid1(VALU_DEP_2)
	v_pk_fma_f16 v46, v71, v62, v46 op_sel:[0,1,0]
	v_pk_fma_f16 v47, v72, v62, v47 op_sel:[0,1,0]
	s_delay_alu instid0(VALU_DEP_2) | instskip(NEXT) | instid1(VALU_DEP_2)
	v_pk_fma_f16 v46, v73, v63, v46 op_sel_hi:[1,0,1]
	v_pk_fma_f16 v47, v74, v63, v47 op_sel_hi:[1,0,1]
	s_delay_alu instid0(VALU_DEP_2) | instskip(NEXT) | instid1(VALU_DEP_2)
	;; [unrolled: 6-line block ×7, first 2 shown]
	v_pk_fma_f16 v108, v91, v68, v46 op_sel:[0,1,0]
	v_pk_fma_f16 v110, v92, v68, v47 op_sel:[0,1,0]
	ds_load_2addr_b64 v[46:49], v40 offset1:32
	ds_load_b128 v[50:53], v34 offset:64
	ds_load_b128 v[54:57], v34 offset:80
	;; [unrolled: 1-line block ×4, first 2 shown]
	ds_load_2addr_b64 v[66:69], v40 offset0:64 offset1:96
	ds_load_2addr_b64 v[70:73], v40 offset0:128 offset1:160
	;; [unrolled: 1-line block ×3, first 2 shown]
	ds_load_2addr_b64 v[78:81], v43 offset1:32
	ds_load_2addr_b64 v[82:85], v43 offset0:64 offset1:96
	ds_load_2addr_b64 v[86:89], v43 offset0:128 offset1:160
	;; [unrolled: 1-line block ×3, first 2 shown]
	ds_load_2addr_b64 v[94:97], v44 offset1:32
	ds_load_2addr_b64 v[98:101], v44 offset0:64 offset1:96
	ds_load_2addr_b64 v[102:105], v44 offset0:128 offset1:160
	s_waitcnt lgkmcnt(13)
	v_pk_fma_f16 v46, v46, v50, v108 op_sel_hi:[1,0,1]
	v_pk_fma_f16 v47, v47, v50, v110 op_sel_hi:[1,0,1]
	s_delay_alu instid0(VALU_DEP_2) | instskip(NEXT) | instid1(VALU_DEP_2)
	v_pk_fma_f16 v108, v48, v50, v46 op_sel:[0,1,0]
	v_pk_fma_f16 v50, v49, v50, v47 op_sel:[0,1,0]
	ds_load_2addr_b64 v[46:49], v44 offset0:192 offset1:224
	s_waitcnt lgkmcnt(10)
	v_pk_fma_f16 v66, v66, v51, v108 op_sel_hi:[1,0,1]
	v_pk_fma_f16 v50, v67, v51, v50 op_sel_hi:[1,0,1]
	s_delay_alu instid0(VALU_DEP_2) | instskip(NEXT) | instid1(VALU_DEP_2)
	v_pk_fma_f16 v108, v68, v51, v66 op_sel:[0,1,0]
	v_pk_fma_f16 v50, v69, v51, v50 op_sel:[0,1,0]
	ds_load_2addr_b64 v[66:69], v45 offset1:32
	s_waitcnt lgkmcnt(10)
	v_pk_fma_f16 v51, v70, v52, v108 op_sel_hi:[1,0,1]
	v_pk_fma_f16 v50, v71, v52, v50 op_sel_hi:[1,0,1]
	s_delay_alu instid0(VALU_DEP_2) | instskip(NEXT) | instid1(VALU_DEP_2)
	v_pk_fma_f16 v51, v72, v52, v51 op_sel:[0,1,0]
	v_pk_fma_f16 v50, v73, v52, v50 op_sel:[0,1,0]
	ds_load_2addr_b64 v[70:73], v45 offset0:64 offset1:96
	s_waitcnt lgkmcnt(10)
	v_pk_fma_f16 v51, v74, v53, v51 op_sel_hi:[1,0,1]
	v_pk_fma_f16 v50, v75, v53, v50 op_sel_hi:[1,0,1]
	s_delay_alu instid0(VALU_DEP_2) | instskip(NEXT) | instid1(VALU_DEP_2)
	v_pk_fma_f16 v108, v76, v53, v51 op_sel:[0,1,0]
	v_pk_fma_f16 v110, v77, v53, v50 op_sel:[0,1,0]
	ds_load_2addr_b64 v[50:53], v45 offset0:128 offset1:160
	ds_load_2addr_b64 v[74:77], v45 offset0:192 offset1:224
	s_waitcnt lgkmcnt(0)
	s_barrier
	v_pk_fma_f16 v78, v78, v54, v108 op_sel_hi:[1,0,1]
	v_pk_fma_f16 v79, v79, v54, v110 op_sel_hi:[1,0,1]
	buffer_gl0_inv
	s_load_b32 s2, s[8:9], 0x4
	v_pk_fma_f16 v78, v80, v54, v78 op_sel:[0,1,0]
	v_pk_fma_f16 v54, v81, v54, v79 op_sel:[0,1,0]
	s_delay_alu instid0(VALU_DEP_2) | instskip(NEXT) | instid1(VALU_DEP_2)
	v_pk_fma_f16 v78, v82, v55, v78 op_sel_hi:[1,0,1]
	v_pk_fma_f16 v54, v83, v55, v54 op_sel_hi:[1,0,1]
	s_delay_alu instid0(VALU_DEP_2) | instskip(NEXT) | instid1(VALU_DEP_2)
	v_pk_fma_f16 v78, v84, v55, v78 op_sel:[0,1,0]
	v_pk_fma_f16 v54, v85, v55, v54 op_sel:[0,1,0]
	s_delay_alu instid0(VALU_DEP_2) | instskip(NEXT) | instid1(VALU_DEP_2)
	v_pk_fma_f16 v55, v86, v56, v78 op_sel_hi:[1,0,1]
	v_pk_fma_f16 v54, v87, v56, v54 op_sel_hi:[1,0,1]
	s_waitcnt lgkmcnt(0)
	s_lshl_b32 s2, s2, 6
	s_delay_alu instid0(VALU_DEP_2) | instskip(NEXT) | instid1(VALU_DEP_2)
	v_pk_fma_f16 v55, v88, v56, v55 op_sel:[0,1,0]
	v_pk_fma_f16 v54, v89, v56, v54 op_sel:[0,1,0]
	s_add_i32 s13, s2, s13
	s_delay_alu instid0(SALU_CYCLE_1) | instskip(NEXT) | instid1(VALU_DEP_2)
	s_cmp_lt_i32 s13, s34
	v_pk_fma_f16 v55, v90, v57, v55 op_sel_hi:[1,0,1]
	s_delay_alu instid0(VALU_DEP_2) | instskip(NEXT) | instid1(VALU_DEP_2)
	v_pk_fma_f16 v54, v91, v57, v54 op_sel_hi:[1,0,1]
	v_pk_fma_f16 v55, v92, v57, v55 op_sel:[0,1,0]
	s_delay_alu instid0(VALU_DEP_2) | instskip(NEXT) | instid1(VALU_DEP_2)
	v_pk_fma_f16 v54, v93, v57, v54 op_sel:[0,1,0]
	v_pk_fma_f16 v55, v94, v58, v55 op_sel_hi:[1,0,1]
	s_delay_alu instid0(VALU_DEP_2) | instskip(NEXT) | instid1(VALU_DEP_2)
	v_pk_fma_f16 v54, v95, v58, v54 op_sel_hi:[1,0,1]
	v_pk_fma_f16 v55, v96, v58, v55 op_sel:[0,1,0]
	s_delay_alu instid0(VALU_DEP_2) | instskip(NEXT) | instid1(VALU_DEP_2)
	v_pk_fma_f16 v54, v97, v58, v54 op_sel:[0,1,0]
	;; [unrolled: 6-line block ×4, first 2 shown]
	v_pk_fma_f16 v46, v46, v61, v55 op_sel_hi:[1,0,1]
	s_delay_alu instid0(VALU_DEP_2) | instskip(NEXT) | instid1(VALU_DEP_2)
	v_pk_fma_f16 v47, v47, v61, v54 op_sel_hi:[1,0,1]
	v_pk_fma_f16 v46, v48, v61, v46 op_sel:[0,1,0]
	s_delay_alu instid0(VALU_DEP_2) | instskip(SKIP_1) | instid1(VALU_DEP_3)
	v_pk_fma_f16 v47, v49, v61, v47 op_sel:[0,1,0]
	v_mov_b32_e32 v48, v107
	v_pk_fma_f16 v46, v66, v62, v46 op_sel_hi:[1,0,1]
	s_delay_alu instid0(VALU_DEP_3) | instskip(NEXT) | instid1(VALU_DEP_3)
	v_pk_fma_f16 v47, v67, v62, v47 op_sel_hi:[1,0,1]
	v_fmac_f32_e32 v48, v106, v109
	s_delay_alu instid0(VALU_DEP_3) | instskip(NEXT) | instid1(VALU_DEP_3)
	v_pk_fma_f16 v46, v68, v62, v46 op_sel:[0,1,0]
	v_pk_fma_f16 v47, v69, v62, v47 op_sel:[0,1,0]
	s_delay_alu instid0(VALU_DEP_2) | instskip(NEXT) | instid1(VALU_DEP_2)
	v_pk_fma_f16 v46, v70, v63, v46 op_sel_hi:[1,0,1]
	v_pk_fma_f16 v47, v71, v63, v47 op_sel_hi:[1,0,1]
	s_delay_alu instid0(VALU_DEP_2) | instskip(NEXT) | instid1(VALU_DEP_2)
	v_pk_fma_f16 v46, v72, v63, v46 op_sel:[0,1,0]
	v_pk_fma_f16 v47, v73, v63, v47 op_sel:[0,1,0]
	s_delay_alu instid0(VALU_DEP_2) | instskip(NEXT) | instid1(VALU_DEP_2)
	v_pk_fma_f16 v46, v50, v64, v46 op_sel_hi:[1,0,1]
	v_pk_fma_f16 v47, v51, v64, v47 op_sel_hi:[1,0,1]
	s_delay_alu instid0(VALU_DEP_2) | instskip(NEXT) | instid1(VALU_DEP_2)
	;; [unrolled: 6-line block ×3, first 2 shown]
	v_pk_fma_f16 v46, v76, v65, v46 op_sel:[0,1,0]
	v_pk_fma_f16 v47, v77, v65, v47 op_sel:[0,1,0]
	s_cbranch_scc1 .LBB46_9
; %bb.10:
	v_mov_b32_e32 v3, 32
	v_mov_b32_e32 v5, v20
.LBB46_11:
	s_delay_alu instid0(VALU_DEP_2)
	v_cmp_lt_i32_e32 vcc_lo, v27, v3
	s_cmp_eq_u64 s[24:25], 0
	s_cselect_b32 s2, -1, 0
	s_cmp_lg_u32 s14, 0
	v_cndmask_b32_e32 v2, v5, v27, vcc_lo
	v_cmp_lt_i32_e32 vcc_lo, v26, v3
	s_cselect_b32 s3, -1, 0
	s_delay_alu instid0(SALU_CYCLE_1) | instskip(NEXT) | instid1(VALU_DEP_2)
	s_or_b32 s2, s3, s2
	v_lshlrev_b32_e32 v2, 2, v2
	v_cndmask_b32_e32 v4, v5, v26, vcc_lo
	v_cmp_lt_i32_e32 vcc_lo, v25, v3
	ds_bpermute_b32 v2, v2, v48
	v_lshlrev_b32_e32 v4, 2, v4
	v_cndmask_b32_e32 v6, v5, v25, vcc_lo
	v_cmp_lt_i32_e32 vcc_lo, v24, v3
	s_delay_alu instid0(VALU_DEP_2)
	v_lshlrev_b32_e32 v6, 2, v6
	s_waitcnt lgkmcnt(0)
	v_add_f32_e32 v2, v48, v2
	ds_bpermute_b32 v4, v4, v2
	s_waitcnt lgkmcnt(0)
	v_add_f32_e32 v2, v2, v4
	ds_bpermute_b32 v4, v6, v2
	v_cndmask_b32_e32 v6, v5, v24, vcc_lo
	v_cmp_lt_i32_e32 vcc_lo, v23, v3
	s_delay_alu instid0(VALU_DEP_2) | instskip(SKIP_2) | instid1(VALU_DEP_1)
	v_dual_cndmask_b32 v3, v5, v23 :: v_dual_lshlrev_b32 v6, 2, v6
	s_and_b32 vcc_lo, exec_lo, s2
	s_waitcnt lgkmcnt(0)
	v_dual_add_f32 v2, v2, v4 :: v_dual_lshlrev_b32 v3, 2, v3
	ds_bpermute_b32 v4, v6, v2
	s_waitcnt lgkmcnt(0)
	v_add_f32_e32 v2, v2, v4
	ds_bpermute_b32 v3, v3, v2
	s_waitcnt lgkmcnt(0)
	v_add_f32_e32 v20, v2, v3
	s_cbranch_vccnz .LBB46_13
; %bb.12:
	v_add_nc_u32_e32 v2, s15, v21
	s_delay_alu instid0(VALU_DEP_1) | instskip(NEXT) | instid1(VALU_DEP_1)
	v_ashrrev_i32_e32 v3, 31, v2
	v_lshlrev_b64 v[2:3], 2, v[2:3]
	s_delay_alu instid0(VALU_DEP_1) | instskip(NEXT) | instid1(VALU_DEP_2)
	v_add_co_u32 v2, vcc_lo, s24, v2
	v_add_co_ci_u32_e32 v3, vcc_lo, s25, v3, vcc_lo
	global_load_b32 v2, v[2:3], off
	s_waitcnt vmcnt(0)
	v_dual_max_f32 v3, v19, v19 :: v_dual_max_f32 v4, v2, v2
	s_delay_alu instid0(VALU_DEP_1) | instskip(NEXT) | instid1(VALU_DEP_1)
	v_max_f32_e32 v3, v3, v4
	v_sub_f32_e32 v2, v2, v3
	s_delay_alu instid0(VALU_DEP_1) | instskip(NEXT) | instid1(VALU_DEP_1)
	v_mul_f32_e32 v6, 0x3fb8aa3b, v2
	v_fma_f32 v9, 0x3fb8aa3b, v2, -v6
	v_sub_f32_e32 v4, v19, v3
	v_rndne_f32_e32 v10, v6
	v_mov_b32_e32 v19, v3
	s_delay_alu instid0(VALU_DEP_4) | instskip(NEXT) | instid1(VALU_DEP_3)
	v_fmac_f32_e32 v9, 0x32a5705f, v2
	v_dual_mul_f32 v5, 0x3fb8aa3b, v4 :: v_dual_sub_f32 v6, v6, v10
	v_cmp_ngt_f32_e32 vcc_lo, 0xc2ce8ed0, v4
	s_delay_alu instid0(VALU_DEP_2) | instskip(SKIP_1) | instid1(VALU_DEP_2)
	v_fma_f32 v7, 0x3fb8aa3b, v4, -v5
	v_rndne_f32_e32 v8, v5
	v_dual_add_f32 v6, v6, v9 :: v_dual_fmac_f32 v7, 0x32a5705f, v4
	s_delay_alu instid0(VALU_DEP_2) | instskip(NEXT) | instid1(VALU_DEP_2)
	v_sub_f32_e32 v5, v5, v8
	v_exp_f32_e32 v6, v6
	s_delay_alu instid0(VALU_DEP_1) | instskip(SKIP_2) | instid1(VALU_DEP_3)
	v_add_f32_e32 v5, v5, v7
	v_cvt_i32_f32_e32 v7, v8
	v_cvt_i32_f32_e32 v8, v10
	v_exp_f32_e32 v5, v5
	s_waitcnt_depctr 0xfff
	v_ldexp_f32 v6, v6, v8
	v_ldexp_f32 v5, v5, v7
	s_delay_alu instid0(VALU_DEP_1) | instskip(SKIP_1) | instid1(VALU_DEP_4)
	v_cndmask_b32_e32 v5, 0, v5, vcc_lo
	v_cmp_ngt_f32_e32 vcc_lo, 0xc2ce8ed0, v2
	v_cndmask_b32_e32 v6, 0, v6, vcc_lo
	v_cmp_nlt_f32_e32 vcc_lo, 0x42b17218, v4
	s_delay_alu instid0(VALU_DEP_4) | instskip(SKIP_1) | instid1(VALU_DEP_2)
	v_cndmask_b32_e32 v4, 0x7f800000, v5, vcc_lo
	v_cmp_nlt_f32_e32 vcc_lo, 0x42b17218, v2
	v_cvt_f16_f32_e32 v5, v4
	v_cndmask_b32_e32 v2, 0x7f800000, v6, vcc_lo
	s_delay_alu instid0(VALU_DEP_2) | instskip(NEXT) | instid1(VALU_DEP_2)
	v_pk_mul_f16 v46, v5, v46 op_sel_hi:[0,1]
	v_fmac_f32_e32 v2, v20, v4
	v_pk_mul_f16 v47, v5, v47 op_sel_hi:[0,1]
	s_delay_alu instid0(VALU_DEP_2)
	v_mov_b32_e32 v20, v2
.LBB46_13:
	s_mov_b32 s2, exec_lo
	v_cmpx_gt_i32_e64 s10, v1
	s_cbranch_execz .LBB46_16
; %bb.14:
	s_delay_alu instid0(VALU_DEP_2) | instskip(SKIP_2) | instid1(VALU_DEP_2)
	v_div_scale_f32 v4, null, v20, v20, 1.0
	v_div_scale_f32 v6, vcc_lo, 1.0, v20, 1.0
	s_load_b32 s0, s[0:1], 0xd4
	v_rcp_f32_e32 v5, v4
	v_cvt_f32_f16_e32 v8, v47
	s_waitcnt_depctr 0xfff
	v_fma_f32 v2, -v4, v5, 1.0
	s_delay_alu instid0(VALU_DEP_1) | instskip(SKIP_3) | instid1(VALU_DEP_2)
	v_fmac_f32_e32 v5, v2, v5
	v_mad_u64_u32 v[2:3], null, s12, s10, v[1:2]
	s_waitcnt lgkmcnt(0)
	s_cmp_lg_u32 s0, 1
	v_mul_f32_e32 v3, v6, v5
	s_cselect_b32 s1, -1, 0
	s_delay_alu instid0(VALU_DEP_2) | instskip(NEXT) | instid1(VALU_DEP_2)
	v_mul_lo_u32 v1, v2, s11
	v_fma_f32 v2, -v4, v3, v6
	s_delay_alu instid0(VALU_DEP_1) | instskip(NEXT) | instid1(VALU_DEP_3)
	v_fmac_f32_e32 v3, v2, v5
	v_add3_u32 v7, s15, v21, v1
	s_delay_alu instid0(VALU_DEP_2) | instskip(SKIP_1) | instid1(VALU_DEP_3)
	v_fma_f32 v4, -v4, v3, v6
	v_lshrrev_b32_e32 v6, 16, v47
	v_mad_u64_u32 v[1:2], null, s0, v7, s[14:15]
	s_delay_alu instid0(VALU_DEP_3)
	v_div_fmas_f32 v2, v4, v5, v3
	v_mov_b32_e32 v3, 0
	v_lshrrev_b32_e32 v5, 16, v46
	v_cmp_eq_u32_e32 vcc_lo, 0, v0
	v_cvt_f32_f16_e32 v0, v6
	v_div_fixup_f32 v7, v2, v20, 1.0
	v_lshl_add_u32 v2, v1, 7, v22
	v_cvt_f32_f16_e32 v4, v46
	v_cvt_f32_f16_e32 v5, v5
	s_delay_alu instid0(VALU_DEP_4) | instskip(NEXT) | instid1(VALU_DEP_4)
	v_cndmask_b32_e64 v9, v7, 1.0, s1
	v_lshlrev_b64 v[6:7], 2, v[2:3]
	s_delay_alu instid0(VALU_DEP_2) | instskip(SKIP_1) | instid1(VALU_DEP_3)
	v_mul_f32_e32 v2, v9, v4
	v_mul_f32_e32 v4, v9, v8
	v_add_co_u32 v6, s0, s28, v6
	v_mul_f32_e32 v3, v9, v5
	v_mul_f32_e32 v5, v9, v0
	v_add_co_ci_u32_e64 v7, s0, s29, v7, s0
	s_and_b32 s0, vcc_lo, s1
	global_store_b128 v[6:7], v[2:5], off
	s_and_b32 exec_lo, exec_lo, s0
	s_cbranch_execz .LBB46_16
; %bb.15:
	v_ashrrev_i32_e32 v2, 31, v1
	s_delay_alu instid0(VALU_DEP_1) | instskip(NEXT) | instid1(VALU_DEP_1)
	v_lshlrev_b64 v[0:1], 3, v[1:2]
	v_add_co_u32 v0, vcc_lo, s30, v0
	s_delay_alu instid0(VALU_DEP_2)
	v_add_co_ci_u32_e32 v1, vcc_lo, s31, v1, vcc_lo
	global_store_b64 v[0:1], v[19:20], off
.LBB46_16:
	s_nop 0
	s_sendmsg sendmsg(MSG_DEALLOC_VGPRS)
	s_endpgm
	.section	.rodata,"a",@progbits
	.p2align	6, 0x0
	.amdhsa_kernel _ZL15flash_attn_tileILi128ELi128ELi2ELi2ELb0EEvPKcS1_S1_S1_S1_PKiPfP15HIP_vector_typeIfLj2EEffffjfiS5_IjLj3EEiiiiiiiiiiiliiliiiiil
		.amdhsa_group_segment_fixed_size 10752
		.amdhsa_private_segment_fixed_size 0
		.amdhsa_kernarg_size 464
		.amdhsa_user_sgpr_count 13
		.amdhsa_user_sgpr_dispatch_ptr 0
		.amdhsa_user_sgpr_queue_ptr 0
		.amdhsa_user_sgpr_kernarg_segment_ptr 1
		.amdhsa_user_sgpr_dispatch_id 0
		.amdhsa_user_sgpr_private_segment_size 0
		.amdhsa_wavefront_size32 1
		.amdhsa_uses_dynamic_stack 0
		.amdhsa_enable_private_segment 0
		.amdhsa_system_sgpr_workgroup_id_x 1
		.amdhsa_system_sgpr_workgroup_id_y 1
		.amdhsa_system_sgpr_workgroup_id_z 1
		.amdhsa_system_sgpr_workgroup_info 0
		.amdhsa_system_vgpr_workitem_id 1
		.amdhsa_next_free_vgpr 111
		.amdhsa_next_free_sgpr 40
		.amdhsa_reserve_vcc 1
		.amdhsa_float_round_mode_32 0
		.amdhsa_float_round_mode_16_64 0
		.amdhsa_float_denorm_mode_32 3
		.amdhsa_float_denorm_mode_16_64 3
		.amdhsa_dx10_clamp 1
		.amdhsa_ieee_mode 1
		.amdhsa_fp16_overflow 0
		.amdhsa_workgroup_processor_mode 1
		.amdhsa_memory_ordered 1
		.amdhsa_forward_progress 0
		.amdhsa_shared_vgpr_count 0
		.amdhsa_exception_fp_ieee_invalid_op 0
		.amdhsa_exception_fp_denorm_src 0
		.amdhsa_exception_fp_ieee_div_zero 0
		.amdhsa_exception_fp_ieee_overflow 0
		.amdhsa_exception_fp_ieee_underflow 0
		.amdhsa_exception_fp_ieee_inexact 0
		.amdhsa_exception_int_div_zero 0
	.end_amdhsa_kernel
	.section	.text._ZL15flash_attn_tileILi128ELi128ELi2ELi2ELb0EEvPKcS1_S1_S1_S1_PKiPfP15HIP_vector_typeIfLj2EEffffjfiS5_IjLj3EEiiiiiiiiiiiliiliiiiil,"axG",@progbits,_ZL15flash_attn_tileILi128ELi128ELi2ELi2ELb0EEvPKcS1_S1_S1_S1_PKiPfP15HIP_vector_typeIfLj2EEffffjfiS5_IjLj3EEiiiiiiiiiiiliiliiiiil,comdat
.Lfunc_end46:
	.size	_ZL15flash_attn_tileILi128ELi128ELi2ELi2ELb0EEvPKcS1_S1_S1_S1_PKiPfP15HIP_vector_typeIfLj2EEffffjfiS5_IjLj3EEiiiiiiiiiiiliiliiiiil, .Lfunc_end46-_ZL15flash_attn_tileILi128ELi128ELi2ELi2ELb0EEvPKcS1_S1_S1_S1_PKiPfP15HIP_vector_typeIfLj2EEffffjfiS5_IjLj3EEiiiiiiiiiiiliiliiiiil
                                        ; -- End function
	.section	.AMDGPU.csdata,"",@progbits
; Kernel info:
; codeLenInByte = 8836
; NumSgprs: 42
; NumVgprs: 111
; ScratchSize: 0
; MemoryBound: 0
; FloatMode: 240
; IeeeMode: 1
; LDSByteSize: 10752 bytes/workgroup (compile time only)
; SGPRBlocks: 5
; VGPRBlocks: 13
; NumSGPRsForWavesPerEU: 42
; NumVGPRsForWavesPerEU: 111
; Occupancy: 12
; WaveLimiterHint : 1
; COMPUTE_PGM_RSRC2:SCRATCH_EN: 0
; COMPUTE_PGM_RSRC2:USER_SGPR: 13
; COMPUTE_PGM_RSRC2:TRAP_HANDLER: 0
; COMPUTE_PGM_RSRC2:TGID_X_EN: 1
; COMPUTE_PGM_RSRC2:TGID_Y_EN: 1
; COMPUTE_PGM_RSRC2:TGID_Z_EN: 1
; COMPUTE_PGM_RSRC2:TIDIG_COMP_CNT: 1
	.section	.text._ZL33flash_attn_stream_k_fixup_uniformILi128ELi2ELi2EEvPfPK15HIP_vector_typeIfLj2EEiiiiiiS1_IjLj3EES5_S5_,"axG",@progbits,_ZL33flash_attn_stream_k_fixup_uniformILi128ELi2ELi2EEvPfPK15HIP_vector_typeIfLj2EEiiiiiiS1_IjLj3EES5_S5_,comdat
	.globl	_ZL33flash_attn_stream_k_fixup_uniformILi128ELi2ELi2EEvPfPK15HIP_vector_typeIfLj2EEiiiiiiS1_IjLj3EES5_S5_ ; -- Begin function _ZL33flash_attn_stream_k_fixup_uniformILi128ELi2ELi2EEvPfPK15HIP_vector_typeIfLj2EEiiiiiiS1_IjLj3EES5_S5_
	.p2align	8
	.type	_ZL33flash_attn_stream_k_fixup_uniformILi128ELi2ELi2EEvPfPK15HIP_vector_typeIfLj2EEiiiiiiS1_IjLj3EES5_S5_,@function
_ZL33flash_attn_stream_k_fixup_uniformILi128ELi2ELi2EEvPfPK15HIP_vector_typeIfLj2EEiiiiiiS1_IjLj3EES5_S5_: ; @_ZL33flash_attn_stream_k_fixup_uniformILi128ELi2ELi2EEvPfPK15HIP_vector_typeIfLj2EEiiiiiiS1_IjLj3EES5_S5_
; %bb.0:
	s_clause 0x1
	s_load_b256 s[4:11], s[0:1], 0x1c
	s_load_b128 s[16:19], s[0:1], 0x3c
	s_waitcnt lgkmcnt(0)
	s_mul_hi_u32 s2, s7, s13
	s_delay_alu instid0(SALU_CYCLE_1) | instskip(NEXT) | instid1(SALU_CYCLE_1)
	s_add_i32 s2, s13, s2
	s_lshr_b32 s2, s2, s8
	s_delay_alu instid0(SALU_CYCLE_1) | instskip(SKIP_2) | instid1(SALU_CYCLE_1)
	s_mul_i32 s3, s2, s9
	s_load_b64 s[8:9], s[0:1], 0x10
	s_sub_i32 s7, s13, s3
	s_mul_hi_u32 s3, s7, s10
	s_delay_alu instid0(SALU_CYCLE_1) | instskip(NEXT) | instid1(SALU_CYCLE_1)
	s_add_i32 s3, s7, s3
	s_lshr_b32 s3, s3, s11
	s_delay_alu instid0(SALU_CYCLE_1) | instskip(NEXT) | instid1(SALU_CYCLE_1)
	s_mul_i32 s10, s3, s16
	s_sub_i32 s7, s7, s10
	s_delay_alu instid0(SALU_CYCLE_1) | instskip(NEXT) | instid1(SALU_CYCLE_1)
	s_mul_hi_u32 s10, s7, s17
	s_add_i32 s10, s7, s10
	s_delay_alu instid0(SALU_CYCLE_1) | instskip(NEXT) | instid1(SALU_CYCLE_1)
	s_lshr_b32 s10, s10, s18
	s_mul_i32 s11, s10, s19
	s_lshl_b32 s10, s10, 1
	s_sub_i32 s7, s7, s11
	s_delay_alu instid0(SALU_CYCLE_1) | instskip(NEXT) | instid1(SALU_CYCLE_1)
	s_lshl_b32 s11, s7, 1
	s_add_i32 s11, s11, s14
	s_waitcnt lgkmcnt(0)
	s_cmp_lt_i32 s11, s8
	s_cselect_b32 s11, -1, 0
	s_add_i32 s12, s10, s15
	s_delay_alu instid0(SALU_CYCLE_1) | instskip(SKIP_1) | instid1(SALU_CYCLE_1)
	s_cmp_lt_i32 s12, s5
	s_cselect_b32 s12, -1, 0
	s_and_b32 s11, s11, s12
	s_delay_alu instid0(SALU_CYCLE_1)
	s_and_not1_b32 vcc_lo, exec_lo, s11
	s_cbranch_vccnz .LBB47_6
; %bb.1:
	s_mul_i32 s2, s2, s8
	s_mul_i32 s5, s3, s5
	s_add_i32 s2, s2, s14
	s_mul_i32 s7, s9, s7
	s_mul_i32 s2, s2, s9
	s_lshl_b32 s7, s7, 8
	s_add_i32 s8, s2, s15
	s_load_b128 s[0:3], s[0:1], 0x0
	s_add_i32 s5, s8, s5
	s_lshl_b32 s9, s14, 1
	s_add_i32 s5, s5, s10
	s_delay_alu instid0(SALU_CYCLE_1) | instskip(NEXT) | instid1(SALU_CYCLE_1)
	s_lshl_b32 s5, s5, 7
	s_add_i32 s7, s7, s5
	s_mul_i32 s5, s13, s6
	v_or_b32_e32 v1, s7, v0
	s_add_i32 s10, s5, s6
	s_delay_alu instid0(VALU_DEP_1) | instskip(NEXT) | instid1(VALU_DEP_1)
	v_ashrrev_i32_e32 v2, 31, v1
	v_lshlrev_b64 v[1:2], 2, v[1:2]
	s_waitcnt lgkmcnt(0)
	s_delay_alu instid0(VALU_DEP_1) | instskip(NEXT) | instid1(VALU_DEP_2)
	v_add_co_u32 v1, vcc_lo, s0, v1
	v_add_co_ci_u32_e32 v2, vcc_lo, s1, v2, vcc_lo
	s_add_i32 s0, s9, s15
	s_lshl_b32 s1, s10, 2
	s_delay_alu instid0(SALU_CYCLE_1) | instskip(SKIP_2) | instid1(SALU_CYCLE_1)
	s_add_i32 s0, s0, s1
	global_load_b32 v5, v[1:2], off
	s_add_i32 s0, s0, -4
	s_ashr_i32 s1, s0, 31
	s_delay_alu instid0(SALU_CYCLE_1) | instskip(NEXT) | instid1(SALU_CYCLE_1)
	s_lshl_b64 s[0:1], s[0:1], 3
	s_add_u32 s0, s2, s0
	s_addc_u32 s1, s3, s1
	s_add_i32 s7, s10, -2
	s_load_b32 s11, s[0:1], 0x4
	s_cmp_lt_i32 s7, s5
	s_cbranch_scc1 .LBB47_4
; %bb.2:
	s_lshl_b32 s16, s4, 4
	s_load_b32 s12, s[0:1], 0x0
	s_ashr_i32 s17, s16, 31
	s_delay_alu instid0(SALU_CYCLE_1) | instskip(NEXT) | instid1(SALU_CYCLE_1)
	s_lshl_b64 s[0:1], s[16:17], 2
	s_add_u32 s7, s2, s0
	s_addc_u32 s8, s3, s1
	s_add_i32 s13, s13, 1
	s_lshl_b32 s0, s14, 8
	s_lshl_b32 s1, s15, 7
	s_mul_i32 s6, s6, s13
	s_add_i32 s0, s1, s0
	s_lshl_b32 s1, s6, 9
	s_delay_alu instid0(SALU_CYCLE_1)
	s_add_i32 s0, s0, s1
	s_lshl_b32 s1, s6, 2
	v_or_b32_e32 v0, s0, v0
	s_lshl_b32 s0, s4, 2
	s_add_i32 s1, s15, s1
	s_waitcnt lgkmcnt(0)
	v_mov_b32_e32 v6, s11
	s_add_i32 s0, s1, s0
	v_dual_mov_b32 v0, s12 :: v_dual_add_nc_u32 v3, 0xfffffc00, v0
	s_add_i32 s0, s0, s9
	s_add_i32 s4, s10, -1
	s_add_i32 s0, s0, -8
.LBB47_3:                               ; =>This Inner Loop Header: Depth=1
	s_delay_alu instid0(VALU_DEP_1) | instskip(SKIP_1) | instid1(SALU_CYCLE_1)
	v_ashrrev_i32_e32 v4, 31, v3
	s_ashr_i32 s1, s0, 31
	s_lshl_b64 s[10:11], s[0:1], 3
	s_delay_alu instid0(SALU_CYCLE_1) | instskip(NEXT) | instid1(VALU_DEP_1)
	s_add_u32 s10, s2, s10
	v_lshlrev_b64 v[7:8], 2, v[3:4]
	s_addc_u32 s11, s3, s11
	s_add_i32 s4, s4, -1
	s_add_i32 s0, s0, -4
	s_cmp_le_i32 s4, s5
	s_load_b64 s[10:11], s[10:11], 0x0
	v_add_co_u32 v7, vcc_lo, s7, v7
	v_add_co_ci_u32_e32 v8, vcc_lo, s8, v8, vcc_lo
	global_load_b32 v4, v[7:8], off
	v_max_f32_e32 v7, v0, v0
	s_waitcnt lgkmcnt(0)
	v_max_f32_e64 v8, s10, s10
	s_delay_alu instid0(VALU_DEP_1) | instskip(NEXT) | instid1(VALU_DEP_1)
	v_max_f32_e32 v7, v7, v8
	v_sub_f32_e32 v8, s10, v7
	s_delay_alu instid0(VALU_DEP_1) | instskip(NEXT) | instid1(VALU_DEP_1)
	v_dual_sub_f32 v0, v0, v7 :: v_dual_mul_f32 v9, 0x3fb8aa3b, v8
	v_fma_f32 v10, 0x3fb8aa3b, v8, -v9
	v_rndne_f32_e32 v11, v9
	s_delay_alu instid0(VALU_DEP_3) | instskip(NEXT) | instid1(VALU_DEP_2)
	v_mul_f32_e32 v12, 0x3fb8aa3b, v0
	v_dual_fmac_f32 v10, 0x32a5705f, v8 :: v_dual_sub_f32 v9, v9, v11
	v_cvt_i32_f32_e32 v11, v11
	s_delay_alu instid0(VALU_DEP_3) | instskip(SKIP_1) | instid1(VALU_DEP_4)
	v_fma_f32 v13, 0x3fb8aa3b, v0, -v12
	v_rndne_f32_e32 v14, v12
	v_add_f32_e32 v9, v9, v10
	v_cmp_ngt_f32_e32 vcc_lo, 0xc2ce8ed0, v8
	s_delay_alu instid0(VALU_DEP_3) | instskip(NEXT) | instid1(VALU_DEP_3)
	v_sub_f32_e32 v10, v12, v14
	v_exp_f32_e32 v9, v9
	s_waitcnt_depctr 0xfff
	v_ldexp_f32 v9, v9, v11
	v_cvt_i32_f32_e32 v11, v14
	s_delay_alu instid0(VALU_DEP_2) | instskip(SKIP_1) | instid1(VALU_DEP_2)
	v_cndmask_b32_e32 v9, 0, v9, vcc_lo
	v_cmp_nlt_f32_e32 vcc_lo, 0x42b17218, v8
	v_cndmask_b32_e32 v9, 0x7f800000, v9, vcc_lo
	v_cmp_ngt_f32_e32 vcc_lo, 0xc2ce8ed0, v0
	v_fmac_f32_e32 v13, 0x32a5705f, v0
	s_delay_alu instid0(VALU_DEP_1) | instskip(NEXT) | instid1(VALU_DEP_1)
	v_add_f32_e32 v10, v10, v13
	v_exp_f32_e32 v10, v10
	s_waitcnt_depctr 0xfff
	v_ldexp_f32 v10, v10, v11
	s_delay_alu instid0(VALU_DEP_1)
	v_dual_mov_b32 v11, v6 :: v_dual_cndmask_b32 v10, 0, v10
	v_cmp_le_f32_e32 vcc_lo, 0xc1a00000, v8
	s_waitcnt vmcnt(1)
	v_dual_cndmask_b32 v8, 0, v9 :: v_dual_mov_b32 v9, v5
	v_cmp_nlt_f32_e32 vcc_lo, 0x42b17218, v0
	v_cndmask_b32_e32 v5, 0x7f800000, v10, vcc_lo
	s_delay_alu instid0(VALU_DEP_3) | instskip(SKIP_2) | instid1(VALU_DEP_3)
	v_mul_f32_e32 v10, s11, v8
	v_cmp_le_f32_e32 vcc_lo, 0xc1a00000, v0
	v_mov_b32_e32 v0, v7
	v_mov_b32_e32 v6, v10
	s_waitcnt vmcnt(0)
	v_dual_cndmask_b32 v12, 0, v5 :: v_dual_mul_f32 v5, v4, v8
	s_delay_alu instid0(VALU_DEP_1) | instskip(NEXT) | instid1(VALU_DEP_2)
	v_dual_fmac_f32 v6, v11, v12 :: v_dual_add_nc_u32 v3, 0xfffffe00, v3
	v_fmac_f32_e32 v5, v9, v12
	s_cbranch_scc0 .LBB47_3
	s_branch .LBB47_5
.LBB47_4:
	s_waitcnt lgkmcnt(0)
	v_mov_b32_e32 v6, s11
.LBB47_5:
	s_waitcnt vmcnt(0)
	s_delay_alu instid0(VALU_DEP_1) | instskip(NEXT) | instid1(VALU_DEP_1)
	v_div_scale_f32 v0, null, v6, v6, v5
	v_rcp_f32_e32 v3, v0
	s_waitcnt_depctr 0xfff
	v_fma_f32 v4, -v0, v3, 1.0
	s_delay_alu instid0(VALU_DEP_1) | instskip(SKIP_1) | instid1(VALU_DEP_1)
	v_fmac_f32_e32 v3, v4, v3
	v_div_scale_f32 v4, vcc_lo, v5, v6, v5
	v_mul_f32_e32 v7, v4, v3
	s_delay_alu instid0(VALU_DEP_1) | instskip(NEXT) | instid1(VALU_DEP_1)
	v_fma_f32 v8, -v0, v7, v4
	v_fmac_f32_e32 v7, v8, v3
	s_delay_alu instid0(VALU_DEP_1) | instskip(NEXT) | instid1(VALU_DEP_1)
	v_fma_f32 v0, -v0, v7, v4
	v_div_fmas_f32 v0, v0, v3, v7
	s_delay_alu instid0(VALU_DEP_1)
	v_div_fixup_f32 v0, v0, v6, v5
	global_store_b32 v[1:2], v0, off
.LBB47_6:
	s_nop 0
	s_sendmsg sendmsg(MSG_DEALLOC_VGPRS)
	s_endpgm
	.section	.rodata,"a",@progbits
	.p2align	6, 0x0
	.amdhsa_kernel _ZL33flash_attn_stream_k_fixup_uniformILi128ELi2ELi2EEvPfPK15HIP_vector_typeIfLj2EEiiiiiiS1_IjLj3EES5_S5_
		.amdhsa_group_segment_fixed_size 0
		.amdhsa_private_segment_fixed_size 0
		.amdhsa_kernarg_size 76
		.amdhsa_user_sgpr_count 13
		.amdhsa_user_sgpr_dispatch_ptr 0
		.amdhsa_user_sgpr_queue_ptr 0
		.amdhsa_user_sgpr_kernarg_segment_ptr 1
		.amdhsa_user_sgpr_dispatch_id 0
		.amdhsa_user_sgpr_private_segment_size 0
		.amdhsa_wavefront_size32 1
		.amdhsa_uses_dynamic_stack 0
		.amdhsa_enable_private_segment 0
		.amdhsa_system_sgpr_workgroup_id_x 1
		.amdhsa_system_sgpr_workgroup_id_y 1
		.amdhsa_system_sgpr_workgroup_id_z 1
		.amdhsa_system_sgpr_workgroup_info 0
		.amdhsa_system_vgpr_workitem_id 0
		.amdhsa_next_free_vgpr 15
		.amdhsa_next_free_sgpr 20
		.amdhsa_reserve_vcc 1
		.amdhsa_float_round_mode_32 0
		.amdhsa_float_round_mode_16_64 0
		.amdhsa_float_denorm_mode_32 3
		.amdhsa_float_denorm_mode_16_64 3
		.amdhsa_dx10_clamp 1
		.amdhsa_ieee_mode 1
		.amdhsa_fp16_overflow 0
		.amdhsa_workgroup_processor_mode 1
		.amdhsa_memory_ordered 1
		.amdhsa_forward_progress 0
		.amdhsa_shared_vgpr_count 0
		.amdhsa_exception_fp_ieee_invalid_op 0
		.amdhsa_exception_fp_denorm_src 0
		.amdhsa_exception_fp_ieee_div_zero 0
		.amdhsa_exception_fp_ieee_overflow 0
		.amdhsa_exception_fp_ieee_underflow 0
		.amdhsa_exception_fp_ieee_inexact 0
		.amdhsa_exception_int_div_zero 0
	.end_amdhsa_kernel
	.section	.text._ZL33flash_attn_stream_k_fixup_uniformILi128ELi2ELi2EEvPfPK15HIP_vector_typeIfLj2EEiiiiiiS1_IjLj3EES5_S5_,"axG",@progbits,_ZL33flash_attn_stream_k_fixup_uniformILi128ELi2ELi2EEvPfPK15HIP_vector_typeIfLj2EEiiiiiiS1_IjLj3EES5_S5_,comdat
.Lfunc_end47:
	.size	_ZL33flash_attn_stream_k_fixup_uniformILi128ELi2ELi2EEvPfPK15HIP_vector_typeIfLj2EEiiiiiiS1_IjLj3EES5_S5_, .Lfunc_end47-_ZL33flash_attn_stream_k_fixup_uniformILi128ELi2ELi2EEvPfPK15HIP_vector_typeIfLj2EEiiiiiiS1_IjLj3EES5_S5_
                                        ; -- End function
	.section	.AMDGPU.csdata,"",@progbits
; Kernel info:
; codeLenInByte = 996
; NumSgprs: 22
; NumVgprs: 15
; ScratchSize: 0
; MemoryBound: 0
; FloatMode: 240
; IeeeMode: 1
; LDSByteSize: 0 bytes/workgroup (compile time only)
; SGPRBlocks: 2
; VGPRBlocks: 1
; NumSGPRsForWavesPerEU: 22
; NumVGPRsForWavesPerEU: 15
; Occupancy: 16
; WaveLimiterHint : 0
; COMPUTE_PGM_RSRC2:SCRATCH_EN: 0
; COMPUTE_PGM_RSRC2:USER_SGPR: 13
; COMPUTE_PGM_RSRC2:TRAP_HANDLER: 0
; COMPUTE_PGM_RSRC2:TGID_X_EN: 1
; COMPUTE_PGM_RSRC2:TGID_Y_EN: 1
; COMPUTE_PGM_RSRC2:TGID_Z_EN: 1
; COMPUTE_PGM_RSRC2:TIDIG_COMP_CNT: 0
	.section	.text._ZL33flash_attn_stream_k_fixup_generalILi128ELi2ELi2EEvPfPK15HIP_vector_typeIfLj2EEiiiiS1_IjLj3EES5_S5_S5_,"axG",@progbits,_ZL33flash_attn_stream_k_fixup_generalILi128ELi2ELi2EEvPfPK15HIP_vector_typeIfLj2EEiiiiS1_IjLj3EES5_S5_S5_,comdat
	.globl	_ZL33flash_attn_stream_k_fixup_generalILi128ELi2ELi2EEvPfPK15HIP_vector_typeIfLj2EEiiiiS1_IjLj3EES5_S5_S5_ ; -- Begin function _ZL33flash_attn_stream_k_fixup_generalILi128ELi2ELi2EEvPfPK15HIP_vector_typeIfLj2EEiiiiS1_IjLj3EES5_S5_S5_
	.p2align	8
	.type	_ZL33flash_attn_stream_k_fixup_generalILi128ELi2ELi2EEvPfPK15HIP_vector_typeIfLj2EEiiiiS1_IjLj3EES5_S5_S5_,@function
_ZL33flash_attn_stream_k_fixup_generalILi128ELi2ELi2EEvPfPK15HIP_vector_typeIfLj2EEiiiiS1_IjLj3EES5_S5_S5_: ; @_ZL33flash_attn_stream_k_fixup_generalILi128ELi2ELi2EEvPfPK15HIP_vector_typeIfLj2EEiiiiS1_IjLj3EES5_S5_S5_
; %bb.0:
	s_clause 0x1
	s_load_b128 s[4:7], s[0:1], 0x10
	s_load_b32 s20, s[0:1], 0x50
	s_mov_b32 s2, 0
	s_waitcnt lgkmcnt(0)
	s_mul_hi_i32 s3, s7, s13
	s_mul_i32 s12, s7, s13
	s_cmp_lg_u64 s[2:3], 0
	s_cbranch_scc0 .LBB48_21
; %bb.1:
	v_cvt_f32_ubyte0_e32 v1, 0
	v_cvt_f32_u32_e32 v2, s20
	s_sub_u32 s10, 0, s20
	s_subb_u32 s11, 0, 0
	s_delay_alu instid0(VALU_DEP_1) | instskip(NEXT) | instid1(VALU_DEP_1)
	v_fmamk_f32 v1, v1, 0x4f800000, v2
	v_rcp_f32_e32 v1, v1
	s_waitcnt_depctr 0xfff
	v_mul_f32_e32 v1, 0x5f7ffffc, v1
	s_delay_alu instid0(VALU_DEP_1) | instskip(NEXT) | instid1(VALU_DEP_1)
	v_mul_f32_e32 v2, 0x2f800000, v1
	v_trunc_f32_e32 v2, v2
	s_delay_alu instid0(VALU_DEP_1) | instskip(SKIP_1) | instid1(VALU_DEP_2)
	v_fmamk_f32 v1, v2, 0xcf800000, v1
	v_cvt_u32_f32_e32 v2, v2
	v_cvt_u32_f32_e32 v1, v1
	s_delay_alu instid0(VALU_DEP_2) | instskip(NEXT) | instid1(VALU_DEP_2)
	v_readfirstlane_b32 s8, v2
	v_readfirstlane_b32 s9, v1
	s_delay_alu instid0(VALU_DEP_2) | instskip(NEXT) | instid1(VALU_DEP_1)
	s_mul_i32 s16, s10, s8
	s_mul_hi_u32 s18, s10, s9
	s_mul_i32 s17, s11, s9
	s_add_i32 s16, s18, s16
	s_mul_i32 s19, s10, s9
	s_add_i32 s16, s16, s17
	s_mul_hi_u32 s18, s9, s19
	s_mul_hi_u32 s21, s8, s19
	s_mul_i32 s17, s8, s19
	s_mul_hi_u32 s19, s9, s16
	s_mul_i32 s9, s9, s16
	s_mul_hi_u32 s22, s8, s16
	s_add_u32 s9, s18, s9
	s_addc_u32 s18, 0, s19
	s_add_u32 s9, s9, s17
	s_mul_i32 s16, s8, s16
	s_addc_u32 s9, s18, s21
	s_addc_u32 s17, s22, 0
	s_add_u32 s9, s9, s16
	s_addc_u32 s16, 0, s17
	v_add_co_u32 v1, s9, v1, s9
	s_delay_alu instid0(VALU_DEP_1) | instskip(SKIP_1) | instid1(VALU_DEP_1)
	s_cmp_lg_u32 s9, 0
	s_addc_u32 s8, s8, s16
	v_readfirstlane_b32 s9, v1
	s_mul_i32 s16, s10, s8
	s_delay_alu instid0(VALU_DEP_1)
	s_mul_hi_u32 s17, s10, s9
	s_mul_i32 s11, s11, s9
	s_add_i32 s16, s17, s16
	s_mul_i32 s10, s10, s9
	s_add_i32 s16, s16, s11
	s_mul_hi_u32 s17, s8, s10
	s_mul_i32 s18, s8, s10
	s_mul_hi_u32 s10, s9, s10
	s_mul_hi_u32 s19, s9, s16
	s_mul_i32 s9, s9, s16
	s_mul_hi_u32 s11, s8, s16
	s_add_u32 s9, s10, s9
	s_addc_u32 s10, 0, s19
	s_add_u32 s9, s9, s18
	s_mul_i32 s16, s8, s16
	s_addc_u32 s9, s10, s17
	s_addc_u32 s10, s11, 0
	s_add_u32 s9, s9, s16
	s_addc_u32 s10, 0, s10
	v_add_co_u32 v1, s9, v1, s9
	s_delay_alu instid0(VALU_DEP_1) | instskip(SKIP_2) | instid1(SALU_CYCLE_1)
	s_cmp_lg_u32 s9, 0
	s_addc_u32 s16, s8, s10
	s_ashr_i32 s8, s3, 31
	s_add_u32 s10, s12, s8
	s_addc_u32 s11, s3, s8
	v_readfirstlane_b32 s3, v1
	s_mov_b32 s9, s8
	s_delay_alu instid0(SALU_CYCLE_1) | instskip(NEXT) | instid1(SALU_CYCLE_1)
	s_xor_b64 s[10:11], s[10:11], s[8:9]
	s_mul_i32 s18, s10, s16
	s_delay_alu instid0(VALU_DEP_1)
	s_mul_hi_u32 s19, s10, s3
	s_mul_hi_u32 s17, s10, s16
	;; [unrolled: 1-line block ×3, first 2 shown]
	s_mul_i32 s3, s11, s3
	s_add_u32 s18, s19, s18
	s_addc_u32 s17, 0, s17
	s_mul_hi_u32 s21, s11, s16
	s_add_u32 s3, s18, s3
	s_mul_i32 s16, s11, s16
	s_addc_u32 s3, s17, s22
	s_addc_u32 s17, s21, 0
	s_add_u32 s3, s3, s16
	s_addc_u32 s16, 0, s17
	s_mul_i32 s18, s20, s3
	s_add_u32 s17, s3, 1
	v_sub_co_u32 v1, s10, s10, s18
	s_mul_hi_u32 s18, s20, s3
	s_addc_u32 s19, s16, 0
	s_mul_i32 s21, s20, s16
	s_delay_alu instid0(VALU_DEP_1)
	v_sub_co_u32 v2, s22, v1, s20
	s_add_u32 s23, s3, 2
	s_addc_u32 s24, s16, 0
	s_add_i32 s18, s18, s21
	s_cmp_lg_u32 s10, 0
	v_readfirstlane_b32 s10, v2
	s_subb_u32 s11, s11, s18
	s_cmp_lg_u32 s22, 0
	s_subb_u32 s18, s11, 0
	s_delay_alu instid0(VALU_DEP_1) | instskip(SKIP_4) | instid1(SALU_CYCLE_1)
	s_cmp_ge_u32 s10, s20
	s_cselect_b32 s10, -1, 0
	s_cmp_eq_u32 s18, 0
	v_readfirstlane_b32 s18, v1
	s_cselect_b32 s10, s10, -1
	s_cmp_lg_u32 s10, 0
	s_cselect_b32 s10, s23, s17
	s_cselect_b32 s17, s24, s19
	s_cmp_ge_u32 s18, s20
	s_cselect_b32 s18, -1, 0
	s_cmp_eq_u32 s11, 0
	s_cselect_b32 s11, s18, -1
	s_delay_alu instid0(SALU_CYCLE_1) | instskip(SKIP_2) | instid1(SALU_CYCLE_1)
	s_cmp_lg_u32 s11, 0
	s_cselect_b32 s11, s17, s16
	s_cselect_b32 s10, s10, s3
	s_xor_b64 s[10:11], s[10:11], s[8:9]
	s_delay_alu instid0(SALU_CYCLE_1)
	s_sub_u32 s16, s10, s8
	s_load_b128 s[8:11], s[0:1], 0x44
	s_and_not1_b32 vcc_lo, exec_lo, s2
	s_cbranch_vccnz .LBB48_3
.LBB48_2:
	v_cvt_f32_u32_e32 v1, s20
	s_sub_i32 s3, 0, s20
	s_delay_alu instid0(VALU_DEP_1) | instskip(SKIP_2) | instid1(VALU_DEP_1)
	v_rcp_iflag_f32_e32 v1, v1
	s_waitcnt_depctr 0xfff
	v_mul_f32_e32 v1, 0x4f7ffffe, v1
	v_cvt_u32_f32_e32 v1, v1
	s_delay_alu instid0(VALU_DEP_1) | instskip(NEXT) | instid1(VALU_DEP_1)
	v_readfirstlane_b32 s2, v1
	s_mul_i32 s3, s3, s2
	s_delay_alu instid0(SALU_CYCLE_1) | instskip(NEXT) | instid1(SALU_CYCLE_1)
	s_mul_hi_u32 s3, s2, s3
	s_add_i32 s2, s2, s3
	s_delay_alu instid0(SALU_CYCLE_1) | instskip(NEXT) | instid1(SALU_CYCLE_1)
	s_mul_hi_u32 s2, s12, s2
	s_mul_i32 s3, s2, s20
	s_waitcnt lgkmcnt(0)
	s_add_i32 s11, s2, 1
	s_sub_i32 s3, s12, s3
	s_delay_alu instid0(SALU_CYCLE_1)
	s_sub_i32 s12, s3, s20
	s_cmp_ge_u32 s3, s20
	s_cselect_b32 s2, s11, s2
	s_cselect_b32 s3, s12, s3
	s_add_i32 s11, s2, 1
	s_cmp_ge_u32 s3, s20
	s_cselect_b32 s16, s11, s2
.LBB48_3:
	s_waitcnt lgkmcnt(0)
	s_add_i32 s11, s13, 1
	s_mov_b32 s2, 0
	s_mul_hi_i32 s3, s7, s11
	s_mul_i32 s11, s7, s11
	s_cmp_lg_u64 s[2:3], 0
	s_cbranch_scc0 .LBB48_22
; %bb.4:
	v_cvt_f32_ubyte0_e32 v1, 0
	v_cvt_f32_u32_e32 v2, s20
	s_sub_u32 s18, 0, s20
	s_subb_u32 s19, 0, 0
	s_delay_alu instid0(VALU_DEP_1) | instskip(NEXT) | instid1(VALU_DEP_1)
	v_fmamk_f32 v1, v1, 0x4f800000, v2
	v_rcp_f32_e32 v1, v1
	s_waitcnt_depctr 0xfff
	v_mul_f32_e32 v1, 0x5f7ffffc, v1
	s_delay_alu instid0(VALU_DEP_1) | instskip(NEXT) | instid1(VALU_DEP_1)
	v_mul_f32_e32 v2, 0x2f800000, v1
	v_trunc_f32_e32 v2, v2
	s_delay_alu instid0(VALU_DEP_1) | instskip(SKIP_1) | instid1(VALU_DEP_2)
	v_fmamk_f32 v1, v2, 0xcf800000, v1
	v_cvt_u32_f32_e32 v2, v2
	v_cvt_u32_f32_e32 v1, v1
	s_delay_alu instid0(VALU_DEP_2) | instskip(NEXT) | instid1(VALU_DEP_2)
	v_readfirstlane_b32 s12, v2
	v_readfirstlane_b32 s17, v1
	s_delay_alu instid0(VALU_DEP_2) | instskip(NEXT) | instid1(VALU_DEP_1)
	s_mul_i32 s21, s18, s12
	s_mul_hi_u32 s23, s18, s17
	s_mul_i32 s22, s19, s17
	s_add_i32 s21, s23, s21
	s_mul_i32 s24, s18, s17
	s_add_i32 s21, s21, s22
	s_mul_hi_u32 s23, s17, s24
	s_mul_hi_u32 s25, s12, s24
	s_mul_i32 s22, s12, s24
	s_mul_hi_u32 s24, s17, s21
	s_mul_i32 s17, s17, s21
	s_mul_hi_u32 s26, s12, s21
	s_add_u32 s17, s23, s17
	s_addc_u32 s23, 0, s24
	s_add_u32 s17, s17, s22
	s_mul_i32 s21, s12, s21
	s_addc_u32 s17, s23, s25
	s_addc_u32 s22, s26, 0
	s_add_u32 s17, s17, s21
	s_addc_u32 s21, 0, s22
	v_add_co_u32 v1, s17, v1, s17
	s_delay_alu instid0(VALU_DEP_1) | instskip(SKIP_1) | instid1(VALU_DEP_1)
	s_cmp_lg_u32 s17, 0
	s_addc_u32 s12, s12, s21
	v_readfirstlane_b32 s17, v1
	s_mul_i32 s21, s18, s12
	s_delay_alu instid0(VALU_DEP_1)
	s_mul_hi_u32 s22, s18, s17
	s_mul_i32 s19, s19, s17
	s_add_i32 s21, s22, s21
	s_mul_i32 s18, s18, s17
	s_add_i32 s21, s21, s19
	s_mul_hi_u32 s22, s12, s18
	s_mul_i32 s23, s12, s18
	s_mul_hi_u32 s18, s17, s18
	s_mul_hi_u32 s24, s17, s21
	s_mul_i32 s17, s17, s21
	s_mul_hi_u32 s19, s12, s21
	s_add_u32 s17, s18, s17
	s_addc_u32 s18, 0, s24
	s_add_u32 s17, s17, s23
	s_mul_i32 s21, s12, s21
	s_addc_u32 s17, s18, s22
	s_addc_u32 s18, s19, 0
	s_add_u32 s17, s17, s21
	s_addc_u32 s18, 0, s18
	v_add_co_u32 v1, s17, v1, s17
	s_delay_alu instid0(VALU_DEP_1) | instskip(SKIP_2) | instid1(SALU_CYCLE_1)
	s_cmp_lg_u32 s17, 0
	s_addc_u32 s12, s12, s18
	s_ashr_i32 s18, s3, 31
	s_add_u32 s22, s11, s18
	s_addc_u32 s23, s3, s18
	v_readfirstlane_b32 s3, v1
	s_mov_b32 s19, s18
	s_delay_alu instid0(SALU_CYCLE_1) | instskip(NEXT) | instid1(SALU_CYCLE_1)
	s_xor_b64 s[22:23], s[22:23], s[18:19]
	s_mul_i32 s21, s22, s12
	s_delay_alu instid0(VALU_DEP_1)
	s_mul_hi_u32 s24, s22, s3
	s_mul_hi_u32 s17, s22, s12
	;; [unrolled: 1-line block ×3, first 2 shown]
	s_mul_i32 s3, s23, s3
	s_add_u32 s21, s24, s21
	s_addc_u32 s17, 0, s17
	s_mul_hi_u32 s25, s23, s12
	s_add_u32 s3, s21, s3
	s_mul_i32 s12, s23, s12
	s_addc_u32 s3, s17, s26
	s_addc_u32 s17, s25, 0
	s_add_u32 s3, s3, s12
	s_addc_u32 s12, 0, s17
	s_mul_i32 s21, s20, s3
	s_add_u32 s17, s3, 1
	v_sub_co_u32 v1, s21, s22, s21
	s_mul_hi_u32 s22, s20, s3
	s_addc_u32 s24, s12, 0
	s_mul_i32 s25, s20, s12
	s_delay_alu instid0(VALU_DEP_1)
	v_sub_co_u32 v2, s26, v1, s20
	s_add_u32 s27, s3, 2
	s_addc_u32 s28, s12, 0
	s_add_i32 s22, s22, s25
	s_cmp_lg_u32 s21, 0
	v_readfirstlane_b32 s21, v2
	s_subb_u32 s22, s23, s22
	s_cmp_lg_u32 s26, 0
	s_subb_u32 s23, s22, 0
	s_delay_alu instid0(VALU_DEP_1) | instskip(SKIP_4) | instid1(SALU_CYCLE_1)
	s_cmp_ge_u32 s21, s20
	s_cselect_b32 s21, -1, 0
	s_cmp_eq_u32 s23, 0
	v_readfirstlane_b32 s23, v1
	s_cselect_b32 s21, s21, -1
	s_cmp_lg_u32 s21, 0
	s_cselect_b32 s17, s27, s17
	s_cselect_b32 s21, s28, s24
	s_cmp_ge_u32 s23, s20
	s_cselect_b32 s23, -1, 0
	s_cmp_eq_u32 s22, 0
	s_cselect_b32 s22, s23, -1
	s_delay_alu instid0(SALU_CYCLE_1) | instskip(SKIP_2) | instid1(SALU_CYCLE_1)
	s_cmp_lg_u32 s22, 0
	s_cselect_b32 s23, s21, s12
	s_cselect_b32 s22, s17, s3
	s_xor_b64 s[22:23], s[22:23], s[18:19]
	s_delay_alu instid0(SALU_CYCLE_1)
	s_sub_u32 s18, s22, s18
	s_and_not1_b32 vcc_lo, exec_lo, s2
	s_cbranch_vccnz .LBB48_6
.LBB48_5:
	v_cvt_f32_u32_e32 v1, s20
	s_sub_i32 s3, 0, s20
	s_delay_alu instid0(VALU_DEP_1) | instskip(SKIP_2) | instid1(VALU_DEP_1)
	v_rcp_iflag_f32_e32 v1, v1
	s_waitcnt_depctr 0xfff
	v_mul_f32_e32 v1, 0x4f7ffffe, v1
	v_cvt_u32_f32_e32 v1, v1
	s_delay_alu instid0(VALU_DEP_1) | instskip(NEXT) | instid1(VALU_DEP_1)
	v_readfirstlane_b32 s2, v1
	s_mul_i32 s3, s3, s2
	s_delay_alu instid0(SALU_CYCLE_1) | instskip(NEXT) | instid1(SALU_CYCLE_1)
	s_mul_hi_u32 s3, s2, s3
	s_add_i32 s2, s2, s3
	s_delay_alu instid0(SALU_CYCLE_1) | instskip(NEXT) | instid1(SALU_CYCLE_1)
	s_mul_hi_u32 s2, s11, s2
	s_mul_i32 s3, s2, s20
	s_delay_alu instid0(SALU_CYCLE_1)
	s_sub_i32 s3, s11, s3
	s_add_i32 s11, s2, 1
	s_sub_i32 s12, s3, s20
	s_cmp_ge_u32 s3, s20
	s_cselect_b32 s2, s11, s2
	s_cselect_b32 s3, s12, s3
	s_add_i32 s11, s2, 1
	s_cmp_ge_u32 s3, s20
	s_cselect_b32 s18, s11, s2
.LBB48_6:
	s_delay_alu instid0(SALU_CYCLE_1) | instskip(SKIP_3) | instid1(SALU_CYCLE_1)
	s_cmp_eq_u32 s16, s18
	s_mul_hi_u32 s2, s16, s8
	s_cselect_b32 s3, -1, 0
	s_add_i32 s2, s2, s16
	s_lshr_b32 s11, s2, s9
	s_delay_alu instid0(SALU_CYCLE_1) | instskip(NEXT) | instid1(SALU_CYCLE_1)
	s_mul_i32 s2, s11, s10
	s_cmp_eq_u32 s2, s16
	s_mul_hi_u32 s2, s18, s8
	s_cselect_b32 s12, -1, 0
	s_add_i32 s2, s2, s18
	s_delay_alu instid0(SALU_CYCLE_1) | instskip(NEXT) | instid1(SALU_CYCLE_1)
	s_lshr_b32 s2, s2, s9
	s_cmp_eq_u32 s11, s2
	s_mul_i32 s2, s2, s10
	s_cselect_b32 s17, -1, 0
	s_cmp_lg_u32 s2, s18
	s_cselect_b32 s2, -1, 0
	s_or_b32 s3, s3, s12
	s_and_b32 s2, s17, s2
	s_delay_alu instid0(SALU_CYCLE_1) | instskip(NEXT) | instid1(SALU_CYCLE_1)
	s_or_b32 s2, s3, s2
	s_and_b32 vcc_lo, exec_lo, s2
	s_cbranch_vccnz .LBB48_24
; %bb.7:
	s_load_b256 s[24:31], s[0:1], 0x20
	s_waitcnt lgkmcnt(0)
	s_mul_hi_u32 s2, s16, s24
	s_delay_alu instid0(SALU_CYCLE_1) | instskip(NEXT) | instid1(SALU_CYCLE_1)
	s_add_i32 s2, s2, s16
	s_lshr_b32 s17, s2, s25
	s_load_b32 s2, s[0:1], 0x40
	s_mul_i32 s3, s17, s26
	s_delay_alu instid0(SALU_CYCLE_1) | instskip(NEXT) | instid1(SALU_CYCLE_1)
	s_sub_i32 s3, s16, s3
	s_mul_hi_u32 s12, s3, s27
	s_delay_alu instid0(SALU_CYCLE_1) | instskip(NEXT) | instid1(SALU_CYCLE_1)
	s_add_i32 s12, s3, s12
	s_lshr_b32 s21, s12, s28
	s_delay_alu instid0(SALU_CYCLE_1) | instskip(NEXT) | instid1(SALU_CYCLE_1)
	s_mul_i32 s12, s21, s29
	s_sub_i32 s3, s3, s12
	s_delay_alu instid0(SALU_CYCLE_1) | instskip(NEXT) | instid1(SALU_CYCLE_1)
	s_mul_hi_u32 s12, s3, s30
	s_add_i32 s12, s3, s12
	s_delay_alu instid0(SALU_CYCLE_1)
	s_lshr_b32 s12, s12, s31
	s_waitcnt lgkmcnt(0)
	s_mul_i32 s2, s12, s2
	s_lshl_b32 s23, s12, 1
	s_sub_i32 s2, s3, s2
	s_mov_b32 s12, 0
	s_mul_hi_u32 s3, s2, s8
	s_delay_alu instid0(SALU_CYCLE_1) | instskip(NEXT) | instid1(SALU_CYCLE_1)
	s_add_i32 s2, s2, s3
	s_lshr_b32 s22, s2, s9
	s_delay_alu instid0(SALU_CYCLE_1) | instskip(NEXT) | instid1(SALU_CYCLE_1)
	s_lshl_b32 s2, s22, 1
	s_add_i32 s2, s2, s14
	s_delay_alu instid0(SALU_CYCLE_1) | instskip(SKIP_2) | instid1(SALU_CYCLE_1)
	s_cmp_lt_i32 s2, s4
	s_cselect_b32 s2, -1, 0
	s_add_i32 s3, s23, s15
	s_cmp_lt_i32 s3, s6
	s_cselect_b32 s3, -1, 0
	s_delay_alu instid0(SALU_CYCLE_1) | instskip(NEXT) | instid1(SALU_CYCLE_1)
	s_and_b32 s2, s2, s3
	s_and_not1_b32 vcc_lo, exec_lo, s2
	s_cbranch_vccnz .LBB48_24
; %bb.8:
	s_load_b128 s[0:3], s[0:1], 0x0
	s_lshl_b32 s18, s20, 4
	s_mov_b32 s19, s12
	s_lshl_b32 s24, s14, 1
	s_lshl_b64 s[18:19], s[18:19], 2
	s_mul_i32 s4, s17, s4
	s_add_i32 s17, s24, s15
	s_mul_i32 s21, s21, s6
	v_cvt_f32_ubyte0_e32 v4, 0
	v_cvt_f32_u32_e32 v5, s20
	s_waitcnt lgkmcnt(0)
	s_add_u32 s18, s2, s18
	s_addc_u32 s19, s3, s19
	s_add_i32 s4, s4, s14
	s_delay_alu instid0(SALU_CYCLE_1) | instskip(SKIP_4) | instid1(SALU_CYCLE_1)
	s_mul_i32 s4, s4, s5
	s_mul_i32 s5, s5, s22
	s_add_i32 s4, s4, s15
	s_lshl_b32 s5, s5, 8
	s_add_i32 s4, s4, s21
	s_add_i32 s4, s4, s23
	s_delay_alu instid0(SALU_CYCLE_1) | instskip(NEXT) | instid1(SALU_CYCLE_1)
	s_lshl_b32 s4, s4, 7
	s_add_i32 s5, s5, s4
	s_delay_alu instid0(SALU_CYCLE_1) | instskip(SKIP_1) | instid1(VALU_DEP_2)
	v_or_b32_e32 v1, s5, v0
	v_lshl_or_b32 v0, s17, 7, v0
	v_ashrrev_i32_e32 v2, 31, v1
	s_delay_alu instid0(VALU_DEP_1) | instskip(NEXT) | instid1(VALU_DEP_1)
	v_lshlrev_b64 v[1:2], 2, v[1:2]
	v_add_co_u32 v1, vcc_lo, s0, v1
	s_delay_alu instid0(VALU_DEP_2) | instskip(SKIP_1) | instid1(SALU_CYCLE_1)
	v_add_co_ci_u32_e32 v2, vcc_lo, s1, v2, vcc_lo
	s_lshl_b32 s0, s13, 2
	s_add_i32 s0, s17, s0
	global_load_b32 v3, v[1:2], off
	s_ashr_i32 s1, s0, 31
	s_delay_alu instid0(SALU_CYCLE_1) | instskip(NEXT) | instid1(SALU_CYCLE_1)
	s_lshl_b64 s[0:1], s[0:1], 3
	s_add_u32 s0, s2, s0
	s_addc_u32 s1, s3, s1
	s_add_i32 s14, s13, -1
	s_load_b64 s[0:1], s[0:1], 0x0
	v_fmac_f32_e32 v5, 0x4f800000, v4
	s_sub_i32 s6, 0, s20
	s_waitcnt lgkmcnt(0)
	v_mov_b32_e32 v8, s0
	s_delay_alu instid0(VALU_DEP_2) | instskip(SKIP_2) | instid1(VALU_DEP_2)
	v_rcp_f32_e32 v4, v5
	v_cvt_f32_u32_e32 v5, s20
	v_mov_b32_e32 v7, s1
	v_rcp_iflag_f32_e32 v5, v5
	s_waitcnt_depctr 0xfff
	v_mul_f32_e32 v4, 0x5f7ffffc, v4
	s_delay_alu instid0(VALU_DEP_1) | instskip(SKIP_1) | instid1(VALU_DEP_2)
	v_mul_f32_e32 v6, 0x2f800000, v4
	v_mul_f32_e32 v9, 0x4f7ffffe, v5
	v_trunc_f32_e32 v6, v6
	s_delay_alu instid0(VALU_DEP_1) | instskip(SKIP_1) | instid1(VALU_DEP_4)
	v_fmac_f32_e32 v4, 0xcf800000, v6
	v_cvt_u32_f32_e32 v5, v6
	v_cvt_u32_f32_e32 v6, v9
	s_delay_alu instid0(VALU_DEP_3)
	v_cvt_u32_f32_e32 v4, v4
.LBB48_9:                               ; =>This Inner Loop Header: Depth=1
	s_mul_hi_i32 s13, s14, s7
	s_mul_i32 s4, s14, s7
	s_cmp_lg_u64 s[12:13], 0
	s_mov_b32 s5, -1
                                        ; implicit-def: $sgpr0_sgpr1
	s_cbranch_scc0 .LBB48_11
; %bb.10:                               ;   in Loop: Header=BB48_9 Depth=1
	v_readfirstlane_b32 s0, v4
	v_readfirstlane_b32 s1, v5
	s_sub_u32 s5, 0, s20
	s_subb_u32 s15, 0, 0
	s_delay_alu instid0(VALU_DEP_2) | instskip(NEXT) | instid1(VALU_DEP_1)
	s_mul_hi_u32 s21, s5, s0
	s_mul_i32 s22, s5, s1
	s_mul_i32 s23, s15, s0
	s_add_i32 s21, s21, s22
	s_mul_i32 s22, s5, s0
	s_add_i32 s21, s21, s23
	s_mul_hi_u32 s23, s0, s22
	s_mul_i32 s24, s0, s21
	s_mul_hi_u32 s0, s0, s21
	s_add_u32 s23, s23, s24
	s_mul_i32 s25, s1, s22
	s_addc_u32 s0, 0, s0
	s_mul_hi_u32 s22, s1, s22
	s_mul_hi_u32 s24, s1, s21
	s_add_u32 s23, s23, s25
	s_addc_u32 s0, s0, s22
	s_mul_i32 s21, s1, s21
	s_addc_u32 s22, s24, 0
	s_add_u32 s0, s0, s21
	s_addc_u32 s21, 0, s22
	v_add_co_u32 v9, s0, v4, s0
	s_delay_alu instid0(VALU_DEP_1) | instskip(SKIP_1) | instid1(VALU_DEP_1)
	s_cmp_lg_u32 s0, 0
	s_addc_u32 s1, s1, s21
	v_readfirstlane_b32 s0, v9
	s_mul_i32 s21, s5, s1
	s_delay_alu instid0(VALU_DEP_1)
	s_mul_hi_u32 s22, s5, s0
	s_mul_i32 s15, s15, s0
	s_add_i32 s21, s22, s21
	s_mul_i32 s5, s5, s0
	s_add_i32 s21, s21, s15
	s_mul_hi_u32 s15, s1, s5
	s_mul_i32 s23, s1, s5
	s_mul_i32 s24, s0, s21
	s_mul_hi_u32 s5, s0, s5
	s_mul_hi_u32 s0, s0, s21
	s_add_u32 s5, s5, s24
	s_addc_u32 s0, 0, s0
	s_mul_hi_u32 s22, s1, s21
	s_add_u32 s5, s5, s23
	s_addc_u32 s0, s0, s15
	s_mul_i32 s5, s1, s21
	s_addc_u32 s15, s22, 0
	s_add_u32 s0, s0, s5
	s_addc_u32 s5, 0, s15
	v_add_co_u32 v9, s0, v9, s0
	s_delay_alu instid0(VALU_DEP_1) | instskip(SKIP_2) | instid1(SALU_CYCLE_1)
	s_cmp_lg_u32 s0, 0
	s_addc_u32 s5, s1, s5
	s_ashr_i32 s0, s13, 31
	s_add_u32 s22, s4, s0
	s_addc_u32 s23, s13, s0
	v_readfirstlane_b32 s13, v9
	s_mov_b32 s1, s0
	s_delay_alu instid0(SALU_CYCLE_1) | instskip(NEXT) | instid1(SALU_CYCLE_1)
	s_xor_b64 s[22:23], s[22:23], s[0:1]
	s_mul_i32 s15, s22, s5
	s_delay_alu instid0(VALU_DEP_1)
	s_mul_hi_u32 s21, s22, s13
	s_mul_hi_u32 s24, s22, s5
	s_add_u32 s15, s21, s15
	s_mul_i32 s25, s23, s13
	s_addc_u32 s21, 0, s24
	s_mul_hi_u32 s13, s23, s13
	s_mul_hi_u32 s24, s23, s5
	s_add_u32 s15, s15, s25
	s_addc_u32 s13, s21, s13
	s_mul_i32 s5, s23, s5
	s_addc_u32 s15, s24, 0
	s_add_u32 s5, s13, s5
	s_addc_u32 s13, 0, s15
	s_mul_i32 s21, s20, s5
	s_add_u32 s15, s5, 1
	v_sub_co_u32 v9, s21, s22, s21
	s_addc_u32 s22, s13, 0
	s_mul_i32 s25, s20, s13
	s_mul_hi_u32 s27, s20, s5
	s_delay_alu instid0(VALU_DEP_1)
	v_sub_co_u32 v10, s26, v9, s20
	s_add_u32 s24, s5, 2
	s_addc_u32 s28, s13, 0
	s_add_i32 s27, s27, s25
	s_cmp_lg_u32 s21, 0
	v_readfirstlane_b32 s21, v10
	s_subb_u32 s23, s23, s27
	s_cmp_lg_u32 s26, 0
	s_subb_u32 s25, s23, 0
	s_delay_alu instid0(VALU_DEP_1) | instskip(SKIP_4) | instid1(SALU_CYCLE_1)
	s_cmp_ge_u32 s21, s20
	s_cselect_b32 s21, -1, 0
	s_cmp_eq_u32 s25, 0
	v_readfirstlane_b32 s25, v9
	s_cselect_b32 s21, s21, -1
	s_cmp_lg_u32 s21, 0
	s_cselect_b32 s15, s24, s15
	s_cselect_b32 s21, s28, s22
	s_cmp_ge_u32 s25, s20
	s_cselect_b32 s22, -1, 0
	s_cmp_eq_u32 s23, 0
	s_cselect_b32 s22, s22, -1
	s_delay_alu instid0(SALU_CYCLE_1) | instskip(SKIP_4) | instid1(SALU_CYCLE_1)
	s_cmp_lg_u32 s22, 0
	s_cselect_b32 s23, s21, s13
	s_cselect_b32 s22, s15, s5
	s_mov_b32 s5, 0
	s_xor_b64 s[22:23], s[22:23], s[0:1]
	s_sub_u32 s0, s22, s0
.LBB48_11:                              ;   in Loop: Header=BB48_9 Depth=1
	s_and_not1_b32 vcc_lo, exec_lo, s5
	s_cbranch_vccnz .LBB48_13
; %bb.12:                               ;   in Loop: Header=BB48_9 Depth=1
	v_readfirstlane_b32 s0, v6
	s_delay_alu instid0(VALU_DEP_1) | instskip(NEXT) | instid1(SALU_CYCLE_1)
	s_mul_i32 s1, s6, s0
	s_mul_hi_u32 s1, s0, s1
	s_delay_alu instid0(SALU_CYCLE_1) | instskip(NEXT) | instid1(SALU_CYCLE_1)
	s_add_i32 s0, s0, s1
	s_mul_hi_u32 s0, s4, s0
	s_delay_alu instid0(SALU_CYCLE_1) | instskip(NEXT) | instid1(SALU_CYCLE_1)
	s_mul_i32 s1, s0, s20
	s_sub_i32 s1, s4, s1
	s_add_i32 s4, s0, 1
	s_sub_i32 s5, s1, s20
	s_cmp_ge_u32 s1, s20
	s_cselect_b32 s0, s4, s0
	s_cselect_b32 s1, s5, s1
	s_add_i32 s4, s0, 1
	s_cmp_ge_u32 s1, s20
	s_cselect_b32 s0, s4, s0
.LBB48_13:                              ;   in Loop: Header=BB48_9 Depth=1
	s_delay_alu instid0(SALU_CYCLE_1)
	s_cmp_lg_u32 s16, s0
	s_cbranch_scc0 .LBB48_17
; %bb.14:                               ;   in Loop: Header=BB48_9 Depth=1
	s_add_i32 s1, s14, s20
	s_mov_b32 s5, s12
	s_lshl_b32 s1, s1, 2
	s_mov_b32 s15, s16
	s_add_i32 s4, s1, s17
	s_mul_hi_u32 s1, s0, s8
	s_lshl_b64 s[4:5], s[4:5], 3
	s_delay_alu instid0(SALU_CYCLE_1) | instskip(SKIP_2) | instid1(SALU_CYCLE_1)
	s_add_u32 s4, s2, s4
	s_addc_u32 s5, s3, s5
	s_add_i32 s1, s1, s0
	s_lshr_b32 s1, s1, s9
	s_delay_alu instid0(SALU_CYCLE_1) | instskip(NEXT) | instid1(SALU_CYCLE_1)
	s_mul_i32 s13, s1, s10
	s_cmp_eq_u32 s13, s0
	s_cselect_b32 s13, -1, 0
	s_cmp_lt_u32 s1, s11
	s_cselect_b32 s1, -1, 0
	s_delay_alu instid0(SALU_CYCLE_1)
	s_or_b32 s1, s1, s13
	s_mov_b32 s13, -1
	s_and_b32 vcc_lo, exec_lo, s1
	s_mov_b32 s1, s14
	s_cbranch_vccnz .LBB48_16
; %bb.15:                               ;   in Loop: Header=BB48_9 Depth=1
	s_add_i32 s1, s14, -1
	s_mov_b32 s13, 0
	s_mov_b32 s15, s0
.LBB48_16:                              ;   in Loop: Header=BB48_9 Depth=1
	v_lshl_add_u32 v9, s14, 9, v0
	s_load_b64 s[4:5], s[4:5], 0x0
	s_delay_alu instid0(VALU_DEP_1) | instskip(NEXT) | instid1(VALU_DEP_1)
	v_ashrrev_i32_e32 v10, 31, v9
	v_lshlrev_b64 v[9:10], 2, v[9:10]
	s_delay_alu instid0(VALU_DEP_1) | instskip(NEXT) | instid1(VALU_DEP_2)
	v_add_co_u32 v9, vcc_lo, s18, v9
	v_add_co_ci_u32_e32 v10, vcc_lo, s19, v10, vcc_lo
	s_waitcnt lgkmcnt(0)
	v_max_f32_e64 v11, s4, s4
	global_load_b32 v10, v[9:10], off
	v_max_f32_e32 v9, v8, v8
	s_delay_alu instid0(VALU_DEP_1) | instskip(NEXT) | instid1(VALU_DEP_1)
	v_max_f32_e32 v9, v9, v11
	v_sub_f32_e32 v12, v8, v9
	s_delay_alu instid0(VALU_DEP_1) | instskip(NEXT) | instid1(VALU_DEP_1)
	v_dual_mul_f32 v14, 0x3fb8aa3b, v12 :: v_dual_sub_f32 v11, s4, v9
	v_rndne_f32_e32 v18, v14
	s_delay_alu instid0(VALU_DEP_2) | instskip(SKIP_2) | instid1(VALU_DEP_4)
	v_mul_f32_e32 v13, 0x3fb8aa3b, v11
	v_fma_f32 v17, 0x3fb8aa3b, v12, -v14
	v_cmp_ngt_f32_e32 vcc_lo, 0xc2ce8ed0, v11
	v_sub_f32_e32 v14, v14, v18
	s_delay_alu instid0(VALU_DEP_4) | instskip(SKIP_2) | instid1(VALU_DEP_3)
	v_fma_f32 v15, 0x3fb8aa3b, v11, -v13
	v_rndne_f32_e32 v16, v13
	v_fmac_f32_e32 v17, 0x32a5705f, v12
	v_fmac_f32_e32 v15, 0x32a5705f, v11
	s_delay_alu instid0(VALU_DEP_2) | instskip(NEXT) | instid1(VALU_DEP_1)
	v_dual_sub_f32 v13, v13, v16 :: v_dual_add_f32 v14, v14, v17
	v_add_f32_e32 v13, v13, v15
	s_delay_alu instid0(VALU_DEP_2) | instskip(SKIP_2) | instid1(VALU_DEP_3)
	v_exp_f32_e32 v14, v14
	v_cvt_i32_f32_e32 v15, v16
	v_cvt_i32_f32_e32 v16, v18
	v_exp_f32_e32 v13, v13
	s_waitcnt_depctr 0xfff
	v_ldexp_f32 v14, v14, v16
	v_ldexp_f32 v13, v13, v15
	s_delay_alu instid0(VALU_DEP_1) | instskip(SKIP_1) | instid1(VALU_DEP_4)
	v_cndmask_b32_e32 v13, 0, v13, vcc_lo
	v_cmp_ngt_f32_e32 vcc_lo, 0xc2ce8ed0, v12
	v_cndmask_b32_e32 v14, 0, v14, vcc_lo
	v_cmp_nlt_f32_e32 vcc_lo, 0x42b17218, v11
	s_delay_alu instid0(VALU_DEP_4) | instskip(SKIP_1) | instid1(VALU_DEP_4)
	v_cndmask_b32_e32 v13, 0x7f800000, v13, vcc_lo
	v_cmp_nlt_f32_e32 vcc_lo, 0x42b17218, v12
	v_cndmask_b32_e32 v14, 0x7f800000, v14, vcc_lo
	v_cmp_le_f32_e32 vcc_lo, 0xc1a00000, v11
	s_delay_alu instid0(VALU_DEP_4) | instskip(SKIP_1) | instid1(VALU_DEP_4)
	v_cndmask_b32_e32 v11, 0, v13, vcc_lo
	v_cmp_le_f32_e32 vcc_lo, 0xc1a00000, v12
	v_cndmask_b32_e32 v12, 0, v14, vcc_lo
	s_waitcnt vmcnt(0)
	s_delay_alu instid0(VALU_DEP_3) | instskip(NEXT) | instid1(VALU_DEP_1)
	v_mul_f32_e32 v10, v10, v11
	v_dual_mul_f32 v11, s5, v11 :: v_dual_fmac_f32 v10, v3, v12
	s_delay_alu instid0(VALU_DEP_1)
	v_fmac_f32_e32 v11, v7, v12
	s_cbranch_execz .LBB48_18
	s_branch .LBB48_19
.LBB48_17:                              ;   in Loop: Header=BB48_9 Depth=1
                                        ; implicit-def: $sgpr13
                                        ; implicit-def: $vgpr10
                                        ; implicit-def: $vgpr9
                                        ; implicit-def: $vgpr11
                                        ; implicit-def: $sgpr1
                                        ; implicit-def: $sgpr15
.LBB48_18:                              ;   in Loop: Header=BB48_9 Depth=1
	v_mov_b32_e32 v11, v7
	s_waitcnt vmcnt(0)
	v_dual_mov_b32 v9, v8 :: v_dual_mov_b32 v10, v3
	s_add_i32 s1, s14, -1
	s_mov_b32 s13, 0
	s_mov_b32 s15, s16
.LBB48_19:                              ;   in Loop: Header=BB48_9 Depth=1
	s_and_not1_b32 vcc_lo, exec_lo, s13
	s_cbranch_vccz .LBB48_23
; %bb.20:                               ;   in Loop: Header=BB48_9 Depth=1
	v_dual_mov_b32 v7, v11 :: v_dual_mov_b32 v8, v9
	s_waitcnt vmcnt(0)
	v_mov_b32_e32 v3, v10
	s_mov_b32 s16, s15
	s_mov_b32 s14, s1
	s_branch .LBB48_9
.LBB48_21:
                                        ; implicit-def: $sgpr16_sgpr17
	s_load_b128 s[8:11], s[0:1], 0x44
	s_branch .LBB48_2
.LBB48_22:
                                        ; implicit-def: $sgpr18_sgpr19
	s_branch .LBB48_5
.LBB48_23:
	v_div_scale_f32 v0, null, v11, v11, v10
	s_waitcnt vmcnt(0)
	s_delay_alu instid0(VALU_DEP_1) | instskip(SKIP_2) | instid1(VALU_DEP_1)
	v_rcp_f32_e32 v3, v0
	s_waitcnt_depctr 0xfff
	v_fma_f32 v4, -v0, v3, 1.0
	v_fmac_f32_e32 v3, v4, v3
	v_div_scale_f32 v4, vcc_lo, v10, v11, v10
	s_delay_alu instid0(VALU_DEP_1) | instskip(NEXT) | instid1(VALU_DEP_1)
	v_mul_f32_e32 v5, v4, v3
	v_fma_f32 v6, -v0, v5, v4
	s_delay_alu instid0(VALU_DEP_1) | instskip(NEXT) | instid1(VALU_DEP_1)
	v_fmac_f32_e32 v5, v6, v3
	v_fma_f32 v0, -v0, v5, v4
	s_delay_alu instid0(VALU_DEP_1) | instskip(NEXT) | instid1(VALU_DEP_1)
	v_div_fmas_f32 v0, v0, v3, v5
	v_div_fixup_f32 v0, v0, v11, v10
	global_store_b32 v[1:2], v0, off
.LBB48_24:
	s_nop 0
	s_sendmsg sendmsg(MSG_DEALLOC_VGPRS)
	s_endpgm
	.section	.rodata,"a",@progbits
	.p2align	6, 0x0
	.amdhsa_kernel _ZL33flash_attn_stream_k_fixup_generalILi128ELi2ELi2EEvPfPK15HIP_vector_typeIfLj2EEiiiiS1_IjLj3EES5_S5_S5_
		.amdhsa_group_segment_fixed_size 0
		.amdhsa_private_segment_fixed_size 0
		.amdhsa_kernarg_size 336
		.amdhsa_user_sgpr_count 13
		.amdhsa_user_sgpr_dispatch_ptr 0
		.amdhsa_user_sgpr_queue_ptr 0
		.amdhsa_user_sgpr_kernarg_segment_ptr 1
		.amdhsa_user_sgpr_dispatch_id 0
		.amdhsa_user_sgpr_private_segment_size 0
		.amdhsa_wavefront_size32 1
		.amdhsa_uses_dynamic_stack 0
		.amdhsa_enable_private_segment 0
		.amdhsa_system_sgpr_workgroup_id_x 1
		.amdhsa_system_sgpr_workgroup_id_y 1
		.amdhsa_system_sgpr_workgroup_id_z 1
		.amdhsa_system_sgpr_workgroup_info 0
		.amdhsa_system_vgpr_workitem_id 0
		.amdhsa_next_free_vgpr 19
		.amdhsa_next_free_sgpr 32
		.amdhsa_reserve_vcc 1
		.amdhsa_float_round_mode_32 0
		.amdhsa_float_round_mode_16_64 0
		.amdhsa_float_denorm_mode_32 3
		.amdhsa_float_denorm_mode_16_64 3
		.amdhsa_dx10_clamp 1
		.amdhsa_ieee_mode 1
		.amdhsa_fp16_overflow 0
		.amdhsa_workgroup_processor_mode 1
		.amdhsa_memory_ordered 1
		.amdhsa_forward_progress 0
		.amdhsa_shared_vgpr_count 0
		.amdhsa_exception_fp_ieee_invalid_op 0
		.amdhsa_exception_fp_denorm_src 0
		.amdhsa_exception_fp_ieee_div_zero 0
		.amdhsa_exception_fp_ieee_overflow 0
		.amdhsa_exception_fp_ieee_underflow 0
		.amdhsa_exception_fp_ieee_inexact 0
		.amdhsa_exception_int_div_zero 0
	.end_amdhsa_kernel
	.section	.text._ZL33flash_attn_stream_k_fixup_generalILi128ELi2ELi2EEvPfPK15HIP_vector_typeIfLj2EEiiiiS1_IjLj3EES5_S5_S5_,"axG",@progbits,_ZL33flash_attn_stream_k_fixup_generalILi128ELi2ELi2EEvPfPK15HIP_vector_typeIfLj2EEiiiiS1_IjLj3EES5_S5_S5_,comdat
.Lfunc_end48:
	.size	_ZL33flash_attn_stream_k_fixup_generalILi128ELi2ELi2EEvPfPK15HIP_vector_typeIfLj2EEiiiiS1_IjLj3EES5_S5_S5_, .Lfunc_end48-_ZL33flash_attn_stream_k_fixup_generalILi128ELi2ELi2EEvPfPK15HIP_vector_typeIfLj2EEiiiiS1_IjLj3EES5_S5_S5_
                                        ; -- End function
	.section	.AMDGPU.csdata,"",@progbits
; Kernel info:
; codeLenInByte = 3224
; NumSgprs: 34
; NumVgprs: 19
; ScratchSize: 0
; MemoryBound: 0
; FloatMode: 240
; IeeeMode: 1
; LDSByteSize: 0 bytes/workgroup (compile time only)
; SGPRBlocks: 4
; VGPRBlocks: 2
; NumSGPRsForWavesPerEU: 34
; NumVGPRsForWavesPerEU: 19
; Occupancy: 16
; WaveLimiterHint : 0
; COMPUTE_PGM_RSRC2:SCRATCH_EN: 0
; COMPUTE_PGM_RSRC2:USER_SGPR: 13
; COMPUTE_PGM_RSRC2:TRAP_HANDLER: 0
; COMPUTE_PGM_RSRC2:TGID_X_EN: 1
; COMPUTE_PGM_RSRC2:TGID_Y_EN: 1
; COMPUTE_PGM_RSRC2:TGID_Z_EN: 1
; COMPUTE_PGM_RSRC2:TIDIG_COMP_CNT: 0
	.section	.text._ZL15flash_attn_tileILi128ELi128ELi1ELi2ELb0EEvPKcS1_S1_S1_S1_PKiPfP15HIP_vector_typeIfLj2EEffffjfiS5_IjLj3EEiiiiiiiiiiiliiliiiiil,"axG",@progbits,_ZL15flash_attn_tileILi128ELi128ELi1ELi2ELb0EEvPKcS1_S1_S1_S1_PKiPfP15HIP_vector_typeIfLj2EEffffjfiS5_IjLj3EEiiiiiiiiiiiliiliiiiil,comdat
	.globl	_ZL15flash_attn_tileILi128ELi128ELi1ELi2ELb0EEvPKcS1_S1_S1_S1_PKiPfP15HIP_vector_typeIfLj2EEffffjfiS5_IjLj3EEiiiiiiiiiiiliiliiiiil ; -- Begin function _ZL15flash_attn_tileILi128ELi128ELi1ELi2ELb0EEvPKcS1_S1_S1_S1_PKiPfP15HIP_vector_typeIfLj2EEffffjfiS5_IjLj3EEiiiiiiiiiiiliiliiiiil
	.p2align	8
	.type	_ZL15flash_attn_tileILi128ELi128ELi1ELi2ELb0EEvPKcS1_S1_S1_S1_PKiPfP15HIP_vector_typeIfLj2EEffffjfiS5_IjLj3EEiiiiiiiiiiiliiliiiiil,@function
_ZL15flash_attn_tileILi128ELi128ELi1ELi2ELb0EEvPKcS1_S1_S1_S1_PKiPfP15HIP_vector_typeIfLj2EEffffjfiS5_IjLj3EEiiiiiiiiiiiliiliiiiil: ; @_ZL15flash_attn_tileILi128ELi128ELi1ELi2ELb0EEvPKcS1_S1_S1_S1_PKiPfP15HIP_vector_typeIfLj2EEffffjfiS5_IjLj3EEiiiiiiiiiiiliiliiiiil
; %bb.0:
	s_clause 0x1
	s_load_b128 s[4:7], s[0:1], 0x5c
	s_load_b64 s[34:35], s[0:1], 0x80
	s_mov_b64 s[36:37], 0
	s_waitcnt lgkmcnt(0)
	s_lshr_b32 s2, s7, 31
	s_delay_alu instid0(SALU_CYCLE_1) | instskip(NEXT) | instid1(SALU_CYCLE_1)
	s_add_i32 s2, s7, s2
	s_ashr_i32 s2, s2, 1
	s_delay_alu instid0(SALU_CYCLE_1) | instskip(SKIP_1) | instid1(VALU_DEP_1)
	v_cvt_f32_u32_e32 v1, s2
	s_sub_i32 s8, 0, s2
	v_rcp_iflag_f32_e32 v1, v1
	s_waitcnt_depctr 0xfff
	v_mul_f32_e32 v1, 0x4f7ffffe, v1
	s_delay_alu instid0(VALU_DEP_1) | instskip(NEXT) | instid1(VALU_DEP_1)
	v_cvt_u32_f32_e32 v1, v1
	v_readfirstlane_b32 s3, v1
	s_delay_alu instid0(VALU_DEP_1) | instskip(NEXT) | instid1(SALU_CYCLE_1)
	s_mul_i32 s8, s8, s3
	s_mul_hi_u32 s8, s3, s8
	s_delay_alu instid0(SALU_CYCLE_1) | instskip(NEXT) | instid1(SALU_CYCLE_1)
	s_add_i32 s3, s3, s8
	s_mul_hi_u32 s3, s15, s3
	s_delay_alu instid0(SALU_CYCLE_1) | instskip(SKIP_2) | instid1(SALU_CYCLE_1)
	s_mul_i32 s8, s3, s2
	s_add_i32 s9, s3, 1
	s_sub_i32 s8, s15, s8
	s_sub_i32 s10, s8, s2
	s_cmp_ge_u32 s8, s2
	s_cselect_b32 s3, s9, s3
	s_cselect_b32 s8, s10, s8
	s_add_i32 s9, s3, 1
	s_cmp_ge_u32 s8, s2
	s_cselect_b32 s12, s9, s3
	s_abs_i32 s2, s35
	s_abs_i32 s11, s7
	v_cvt_f32_u32_e32 v1, s2
	s_sub_i32 s8, 0, s2
	s_lshl_b32 s9, s15, 1
	s_mul_i32 s10, s12, s7
	s_delay_alu instid0(VALU_DEP_1) | instskip(SKIP_3) | instid1(VALU_DEP_1)
	v_rcp_iflag_f32_e32 v1, v1
	s_sub_i32 s15, s9, s10
	s_waitcnt_depctr 0xfff
	v_mul_f32_e32 v1, 0x4f7ffffe, v1
	v_cvt_u32_f32_e32 v1, v1
	s_delay_alu instid0(VALU_DEP_1) | instskip(NEXT) | instid1(VALU_DEP_1)
	v_readfirstlane_b32 s3, v1
	s_mul_i32 s8, s8, s3
	s_delay_alu instid0(SALU_CYCLE_1) | instskip(NEXT) | instid1(SALU_CYCLE_1)
	s_mul_hi_u32 s8, s3, s8
	s_add_i32 s3, s3, s8
	s_xor_b32 s8, s7, s35
	s_mul_hi_u32 s3, s11, s3
	s_ashr_i32 s8, s8, 31
	s_mul_i32 s9, s3, s2
	s_add_i32 s10, s3, 1
	s_sub_i32 s9, s11, s9
	s_delay_alu instid0(SALU_CYCLE_1)
	s_sub_i32 s11, s9, s2
	s_cmp_ge_u32 s9, s2
	s_cselect_b32 s3, s10, s3
	s_cselect_b32 s9, s11, s9
	s_add_i32 s10, s3, 1
	s_cmp_ge_u32 s9, s2
	s_cselect_b32 s2, s10, s3
	s_delay_alu instid0(SALU_CYCLE_1) | instskip(NEXT) | instid1(SALU_CYCLE_1)
	s_xor_b32 s2, s2, s8
	s_sub_i32 s35, s2, s8
	s_clause 0x1
	s_load_b512 s[16:31], s[0:1], 0x0
	s_load_b64 s[2:3], s[0:1], 0xb8
	s_abs_i32 s33, s35
	s_delay_alu instid0(SALU_CYCLE_1) | instskip(NEXT) | instid1(VALU_DEP_1)
	v_cvt_f32_u32_e32 v1, s33
	v_rcp_iflag_f32_e32 v1, v1
	s_waitcnt_depctr 0xfff
	v_mul_f32_e32 v1, 0x4f7ffffe, v1
	s_waitcnt lgkmcnt(0)
	s_cmp_eq_u64 s[22:23], 0
	s_delay_alu instid0(VALU_DEP_1) | instskip(NEXT) | instid1(VALU_DEP_1)
	v_cvt_u32_f32_e32 v1, v1
	v_readfirstlane_b32 s38, v1
	s_cbranch_scc1 .LBB49_2
; %bb.1:
	s_abs_i32 s2, s2
	s_abs_i32 s10, s12
	v_cvt_f32_u32_e32 v1, s2
	s_sub_i32 s9, 0, s2
	s_delay_alu instid0(VALU_DEP_1) | instskip(SKIP_2) | instid1(VALU_DEP_1)
	v_rcp_iflag_f32_e32 v1, v1
	s_waitcnt_depctr 0xfff
	v_mul_f32_e32 v1, 0x4f7ffffe, v1
	v_cvt_u32_f32_e32 v1, v1
	s_delay_alu instid0(VALU_DEP_1) | instskip(NEXT) | instid1(VALU_DEP_1)
	v_readfirstlane_b32 s8, v1
	s_mul_i32 s9, s9, s8
	s_delay_alu instid0(SALU_CYCLE_1) | instskip(NEXT) | instid1(SALU_CYCLE_1)
	s_mul_hi_u32 s9, s8, s9
	s_add_i32 s11, s8, s9
	s_load_b64 s[8:9], s[0:1], 0xc8
	s_mul_hi_u32 s11, s10, s11
	s_delay_alu instid0(SALU_CYCLE_1) | instskip(NEXT) | instid1(SALU_CYCLE_1)
	s_mul_i32 s11, s11, s2
	s_sub_i32 s10, s10, s11
	s_ashr_i32 s11, s12, 31
	s_sub_i32 s36, s10, s2
	s_cmp_ge_u32 s10, s2
	s_cselect_b32 s10, s36, s10
	s_delay_alu instid0(SALU_CYCLE_1) | instskip(SKIP_2) | instid1(SALU_CYCLE_1)
	s_sub_i32 s36, s10, s2
	s_cmp_ge_u32 s10, s2
	s_cselect_b32 s2, s36, s10
	s_xor_b32 s2, s2, s11
	s_delay_alu instid0(SALU_CYCLE_1)
	s_sub_i32 s2, s2, s11
	s_waitcnt lgkmcnt(0)
	s_mul_i32 s9, s2, s9
	s_mul_hi_u32 s10, s2, s8
	s_ashr_i32 s11, s2, 31
	s_add_i32 s9, s10, s9
	s_mul_i32 s11, s11, s8
	s_mul_i32 s2, s2, s8
	s_add_i32 s9, s9, s11
	s_add_u32 s36, s22, s2
	s_addc_u32 s37, s23, s9
.LBB49_2:
	v_bfe_u32 v3, v0, 10, 10
	s_load_b128 s[8:11], s[0:1], 0x70
	v_and_b32_e32 v0, 0x3ff, v0
	s_delay_alu instid0(VALU_DEP_2) | instskip(SKIP_1) | instid1(VALU_DEP_2)
	v_lshrrev_b32_e32 v1, 1, v3
	v_and_b32_e32 v21, 1, v3
	v_add_nc_u32_e32 v1, s13, v1
	s_delay_alu instid0(VALU_DEP_1) | instskip(SKIP_3) | instid1(VALU_DEP_1)
	v_mul_hi_u32 v2, s4, v1
	s_waitcnt lgkmcnt(0)
	s_mul_i32 s2, s12, s10
	s_mul_i32 s4, s15, s9
	v_add_nc_u32_e32 v2, v1, v2
	s_delay_alu instid0(VALU_DEP_1)
	v_lshrrev_b32_e32 v2, s5, v2
	s_ashr_i32 s5, s2, 31
	s_add_u32 s2, s16, s2
	s_addc_u32 s5, s17, s5
	s_ashr_i32 s10, s4, 31
	v_mul_lo_u32 v2, v2, s6
	s_add_u32 s2, s2, s4
	s_addc_u32 s4, s5, s10
	s_ashr_i32 s5, s8, 31
	s_delay_alu instid0(SALU_CYCLE_1) | instskip(SKIP_2) | instid1(VALU_DEP_2)
	v_alignbit_b32 v4, s5, s8, 2
	s_ashr_i32 s8, s9, 31
	s_lshr_b32 s5, s5, 2
	v_sub_nc_u32_e32 v5, v1, v2
	s_lshr_b32 s10, s8, 2
	s_cmp_eq_u64 s[26:27], 0
	v_mul_lo_u32 v9, s10, v21
	s_delay_alu instid0(VALU_DEP_2) | instskip(SKIP_1) | instid1(VALU_DEP_2)
	v_mad_u64_u32 v[6:7], null, v4, v5, 0
	v_alignbit_b32 v4, s8, s9, 2
	v_mov_b32_e32 v2, v7
	s_delay_alu instid0(VALU_DEP_1) | instskip(NEXT) | instid1(VALU_DEP_3)
	v_mad_u64_u32 v[7:8], null, s5, v5, v[2:3]
	v_mul_lo_u32 v8, v4, v21
	s_delay_alu instid0(VALU_DEP_2) | instskip(NEXT) | instid1(VALU_DEP_2)
	v_lshlrev_b64 v[6:7], 2, v[6:7]
	v_lshlrev_b64 v[8:9], 2, v[8:9]
	s_delay_alu instid0(VALU_DEP_1) | instskip(NEXT) | instid1(VALU_DEP_2)
	v_add_co_u32 v2, vcc_lo, s2, v8
	v_add_co_ci_u32_e32 v4, vcc_lo, s4, v9, vcc_lo
	v_lshlrev_b32_e32 v8, 4, v0
	s_delay_alu instid0(VALU_DEP_3) | instskip(NEXT) | instid1(VALU_DEP_3)
	v_add_co_u32 v2, vcc_lo, v2, v6
	v_add_co_ci_u32_e32 v4, vcc_lo, v4, v7, vcc_lo
	s_load_b32 s2, s[0:1], 0x40
	s_delay_alu instid0(VALU_DEP_2) | instskip(NEXT) | instid1(VALU_DEP_2)
	v_add_co_u32 v6, vcc_lo, v2, v8
	v_add_co_ci_u32_e32 v7, vcc_lo, 0, v4, vcc_lo
	v_lshlrev_b32_e32 v4, 6, v3
	v_lshlrev_b32_e32 v2, 1, v0
	global_load_b128 v[6:9], v[6:7], off
	v_add_lshl_u32 v2, v4, v2, 2
	s_waitcnt vmcnt(0) lgkmcnt(0)
	v_fma_mixlo_f16 v11, v8, s2, 0
	v_fma_mixlo_f16 v10, v6, s2, 0
	s_delay_alu instid0(VALU_DEP_2) | instskip(NEXT) | instid1(VALU_DEP_2)
	v_fma_mixhi_f16 v11, v9, s2, 0
	v_fma_mixhi_f16 v10, v7, s2, 0
	ds_store_b64 v2, v[10:11] offset:4608
	s_waitcnt lgkmcnt(0)
	s_barrier
	buffer_gl0_inv
	s_cbranch_scc1 .LBB49_4
; %bb.3:
	s_load_b32 s2, s[0:1], 0xd0
	s_mov_b32 s5, 0
	s_waitcnt lgkmcnt(0)
	s_mul_i32 s2, s2, s12
	s_delay_alu instid0(SALU_CYCLE_1) | instskip(NEXT) | instid1(SALU_CYCLE_1)
	s_add_i32 s4, s2, s13
	s_lshl_b64 s[4:5], s[4:5], 2
	s_delay_alu instid0(SALU_CYCLE_1)
	s_add_u32 s4, s26, s4
	s_addc_u32 s5, s27, s5
	s_load_b32 s34, s[4:5], 0x0
.LBB49_4:
	v_mbcnt_lo_u32_b32 v22, -1, 0
	s_lshl_b32 s5, s14, 5
	s_waitcnt lgkmcnt(0)
	s_cmp_lt_i32 s5, s34
	s_cbranch_scc1 .LBB49_6
; %bb.5:
	v_mbcnt_lo_u32_b32 v6, -1, 0
	v_mov_b32_e32 v24, 32
	s_mov_b32 s2, 0
	s_mov_b32 s4, 0xfeffffff
	s_delay_alu instid0(VALU_DEP_2)
	v_xor_b32_e32 v29, 16, v6
	v_xor_b32_e32 v28, 8, v6
	;; [unrolled: 1-line block ×5, first 2 shown]
	s_branch .LBB49_7
.LBB49_6:
	s_mov_b32 s2, -1
                                        ; implicit-def: $sgpr4
                                        ; implicit-def: $vgpr6
                                        ; implicit-def: $vgpr24
                                        ; implicit-def: $vgpr29
                                        ; implicit-def: $vgpr28
                                        ; implicit-def: $vgpr27
                                        ; implicit-def: $vgpr26
                                        ; implicit-def: $vgpr25
.LBB49_7:
	s_delay_alu instid0(SALU_CYCLE_1) | instskip(SKIP_2) | instid1(VALU_DEP_3)
	v_cndmask_b32_e64 v2, 0, 1, s2
	v_dual_mov_b32 v30, s2 :: v_dual_mov_b32 v35, s2
	v_dual_mov_b32 v23, s2 :: v_dual_lshlrev_b32 v20, 2, v0
	v_cmp_ne_u32_e32 vcc_lo, 1, v2
	v_mov_b32_e32 v2, s4
	s_cbranch_vccnz .LBB49_11
; %bb.8:
	s_clause 0x1
	s_load_b128 s[8:11], s[0:1], 0x98
	s_load_b64 s[16:17], s[0:1], 0x8c
	s_sub_i32 s2, 0, s33
	s_abs_i32 s4, s15
	s_mul_i32 s2, s2, s38
	s_ashr_i32 s27, s35, 31
	s_mul_hi_u32 s2, s38, s2
	s_ashr_i32 s35, s12, 31
	s_add_i32 s38, s38, s2
	s_ashr_i32 s2, s3, 1
	s_mul_hi_u32 s3, s4, s38
	s_ashr_i32 s26, s15, 31
	s_load_b64 s[22:23], s[0:1], 0xa8
	s_mul_i32 s38, s3, s33
	v_lshrrev_b32_e32 v2, 3, v0
	v_dual_mov_b32 v23, 0 :: v_dual_and_b32 v24, 28, v20
	v_lshrrev_b32_e32 v9, 4, v0
	v_and_b32_e32 v30, 60, v20
	s_delay_alu instid0(VALU_DEP_4)
	v_lshl_add_u32 v2, v3, 2, v2
	s_waitcnt lgkmcnt(0)
	s_mul_i32 s9, s12, s9
	s_mul_hi_u32 s39, s12, s8
	s_mul_i32 s40, s35, s8
	s_add_i32 s9, s39, s9
	s_mul_i32 s8, s12, s8
	s_ashr_i32 s13, s10, 2
	s_ashr_i32 s16, s16, 2
	s_add_i32 s9, s9, s40
	s_add_u32 s8, s18, s8
	s_addc_u32 s9, s19, s9
	s_sub_i32 s4, s4, s38
	s_xor_b32 s18, s26, s27
	s_add_i32 s19, s3, 1
	s_sub_i32 s26, s4, s33
	s_cmp_ge_u32 s4, s33
	s_mul_i32 s35, s35, s22
	s_cselect_b32 s3, s19, s3
	s_cselect_b32 s4, s26, s4
	s_add_i32 s19, s3, 1
	s_cmp_ge_u32 s4, s33
	s_mul_i32 s4, s12, s23
	s_cselect_b32 s3, s19, s3
	s_mul_hi_u32 s19, s12, s22
	s_xor_b32 s3, s3, s18
	v_mul_lo_u32 v6, s16, v2
	s_sub_i32 s3, s3, s18
	s_mul_i32 s22, s12, s22
	s_mul_i32 s17, s3, s17
	;; [unrolled: 1-line block ×3, first 2 shown]
	s_ashr_i32 s18, s17, 31
	s_add_u32 s17, s8, s17
	s_addc_u32 s18, s9, s18
	s_add_i32 s4, s19, s4
	v_lshlrev_b32_e32 v7, 2, v24
	s_add_i32 s4, s4, s35
	s_add_u32 s8, s20, s22
	s_addc_u32 s4, s21, s4
	s_ashr_i32 s9, s3, 31
	s_add_u32 s11, s8, s3
	s_addc_u32 s19, s4, s9
	s_lshl_b32 s3, s16, 3
	v_mad_u32_u24 v31, 0x90, v2, v7
	v_lshl_add_u32 v2, v3, 1, v9
	v_dual_mov_b32 v35, 0 :: v_dual_add_nc_u32 v8, s3, v6
	v_lshlrev_b32_e32 v15, 2, v30
	v_ashrrev_i32_e32 v7, 31, v6
	s_delay_alu instid0(VALU_DEP_4) | instskip(NEXT) | instid1(VALU_DEP_4)
	v_mul_lo_u32 v14, s13, v2
	v_add_nc_u32_e32 v10, s3, v8
	v_ashrrev_i32_e32 v9, 31, v8
	v_lshlrev_b32_e32 v46, 2, v30
	v_mov_b32_e32 v30, 0
	v_lshl_or_b32 v39, v2, 8, v15
	v_add_nc_u32_e32 v12, s3, v10
	s_and_b32 s3, s10, -4
	v_ashrrev_i32_e32 v11, 31, v10
	v_add_nc_u32_e32 v16, s3, v14
	v_ashrrev_i32_e32 v15, 31, v14
	v_ashrrev_i32_e32 v13, 31, v12
	v_add_nc_u32_e32 v38, 0x1400, v4
	v_lshlrev_b32_e32 v44, 3, v0
	v_add_nc_u32_e32 v18, s3, v16
	v_ashrrev_i32_e32 v17, 31, v16
	v_lshl_add_u32 v37, v3, 8, 0x1200
	v_mad_u64_u32 v[3:4], null, v5, s2, v[0:1]
	s_delay_alu instid0(VALU_DEP_4)
	v_add_nc_u32_e32 v47, s3, v18
	v_ashrrev_i32_e32 v19, 31, v18
	v_lshlrev_b64 v[4:5], 2, v[6:7]
	v_lshlrev_b64 v[6:7], 2, v[8:9]
	;; [unrolled: 1-line block ×3, first 2 shown]
	v_ashrrev_i32_e32 v48, 31, v47
	v_lshlrev_b64 v[10:11], 2, v[12:13]
	v_lshlrev_b64 v[12:13], 2, v[14:15]
	;; [unrolled: 1-line block ×5, first 2 shown]
	v_add_nc_u32_e32 v32, 0x480, v31
	v_add_nc_u32_e32 v33, 0x900, v31
	;; [unrolled: 1-line block ×3, first 2 shown]
	v_mul_u32_u24_e32 v36, 0x90, v0
	v_lshl_add_u32 v40, v0, 1, v38
	v_add_nc_u32_e32 v41, 0x400, v39
	v_add_nc_u32_e32 v42, 0x800, v39
	;; [unrolled: 1-line block ×3, first 2 shown]
	v_dual_mov_b32 v2, 0xfeffffff :: v_dual_lshlrev_b32 v45, 2, v24
	v_mov_b32_e32 v24, 32
	v_xor_b32_e32 v29, 16, v22
	v_xor_b32_e32 v28, 8, v22
	;; [unrolled: 1-line block ×5, first 2 shown]
	v_add_nc_u32_e32 v47, 0x800, v44
	s_add_u32 s8, s0, 0xd0
	s_addc_u32 s9, s1, 0
.LBB49_9:                               ; =>This Inner Loop Header: Depth=1
	s_mul_hi_i32 s3, s5, s16
	s_mul_i32 s2, s5, s16
	v_mov_b32_e32 v104, v2
	s_lshl_b64 s[2:3], s[2:3], 2
	s_delay_alu instid0(SALU_CYCLE_1)
	s_add_u32 s4, s17, s2
	s_addc_u32 s10, s18, s3
	v_add_co_u32 v48, vcc_lo, s4, v6
	v_add_co_u32 v49, s2, s4, v8
	v_add_co_u32 v50, s3, s4, v10
	;; [unrolled: 1-line block ×3, first 2 shown]
	s_delay_alu instid0(VALU_DEP_1)
	v_add_co_ci_u32_e64 v52, s4, s10, v5, s4
	v_add_co_ci_u32_e32 v53, vcc_lo, s10, v7, vcc_lo
	v_add_co_ci_u32_e64 v54, vcc_lo, s10, v9, s2
	v_add_co_ci_u32_e64 v55, vcc_lo, s10, v11, s3
	v_add_co_u32 v71, s4, v51, v45
	v_add_co_u32 v65, vcc_lo, v48, v45
	v_add_co_u32 v67, s2, v49, v45
	v_add_co_ci_u32_e64 v72, s4, 0, v52, s4
	v_add_co_u32 v69, s3, v50, v45
	v_add_co_ci_u32_e32 v66, vcc_lo, 0, v53, vcc_lo
	v_add_co_ci_u32_e64 v68, vcc_lo, 0, v54, s2
	v_add_co_ci_u32_e64 v70, vcc_lo, 0, v55, s3
	s_clause 0x3
	global_load_b128 v[49:52], v[71:72], off
	global_load_b128 v[53:56], v[65:66], off
	;; [unrolled: 1-line block ×4, first 2 shown]
	v_mov_b32_e32 v48, 0
	s_mul_hi_i32 s3, s5, s13
	s_mul_i32 s2, s5, s13
	s_waitcnt vmcnt(3)
	ds_store_b128 v31, v[49:52]
	s_waitcnt vmcnt(2)
	ds_store_b128 v32, v[53:56]
	;; [unrolled: 2-line block ×4, first 2 shown]
	s_waitcnt lgkmcnt(0)
	s_barrier
	buffer_gl0_inv
	ds_load_b128 v[49:52], v36
	ds_load_b128 v[53:56], v37
	s_waitcnt lgkmcnt(0)
	;;#ASMSTART
	v_dot2_f32_f16 v48, v49, v53, v48
	;;#ASMEND
	;;#ASMSTART
	v_dot2_f32_f16 v48, v50, v54, v48
	;;#ASMEND
	;;#ASMSTART
	v_dot2_f32_f16 v48, v51, v55, v48
	;;#ASMEND
	;;#ASMSTART
	v_dot2_f32_f16 v48, v52, v56, v48
	;;#ASMEND
	ds_load_b128 v[49:52], v36 offset:16
	ds_load_b128 v[53:56], v37 offset:16
	s_waitcnt lgkmcnt(0)
	;;#ASMSTART
	v_dot2_f32_f16 v48, v49, v53, v48
	;;#ASMEND
	;;#ASMSTART
	v_dot2_f32_f16 v48, v50, v54, v48
	;;#ASMEND
	;;#ASMSTART
	v_dot2_f32_f16 v48, v51, v55, v48
	;;#ASMEND
	;;#ASMSTART
	v_dot2_f32_f16 v48, v52, v56, v48
	;;#ASMEND
	ds_load_b128 v[49:52], v36 offset:32
	ds_load_b128 v[53:56], v37 offset:32
	;; [unrolled: 15-line block ×7, first 2 shown]
	s_waitcnt lgkmcnt(0)
	;;#ASMSTART
	v_dot2_f32_f16 v48, v49, v53, v48
	;;#ASMEND
	;;#ASMSTART
	v_dot2_f32_f16 v48, v50, v54, v48
	;;#ASMEND
	;; [unrolled: 3-line block ×4, first 2 shown]
	s_barrier
	buffer_gl0_inv
	s_clause 0x3
	global_load_b128 v[49:52], v[71:72], off offset:128
	global_load_b128 v[53:56], v[65:66], off offset:128
	;; [unrolled: 1-line block ×4, first 2 shown]
	v_add_nc_u32_e32 v65, s5, v3
	s_lshl_b64 s[2:3], s[2:3], 2
	s_waitcnt vmcnt(3)
	ds_store_b128 v31, v[49:52]
	s_waitcnt vmcnt(2)
	ds_store_b128 v32, v[53:56]
	;; [unrolled: 2-line block ×4, first 2 shown]
	s_waitcnt lgkmcnt(0)
	s_barrier
	buffer_gl0_inv
	ds_load_b128 v[49:52], v36
	ds_load_b128 v[53:56], v37 offset:128
	s_waitcnt lgkmcnt(0)
	;;#ASMSTART
	v_dot2_f32_f16 v48, v49, v53, v48
	;;#ASMEND
	;;#ASMSTART
	v_dot2_f32_f16 v48, v50, v54, v48
	;;#ASMEND
	;;#ASMSTART
	v_dot2_f32_f16 v48, v51, v55, v48
	;;#ASMEND
	;;#ASMSTART
	v_dot2_f32_f16 v48, v52, v56, v48
	;;#ASMEND
	ds_load_b128 v[49:52], v36 offset:16
	ds_load_b128 v[53:56], v37 offset:144
	s_waitcnt lgkmcnt(0)
	;;#ASMSTART
	v_dot2_f32_f16 v48, v49, v53, v48
	;;#ASMEND
	;;#ASMSTART
	v_dot2_f32_f16 v48, v50, v54, v48
	;;#ASMEND
	;;#ASMSTART
	v_dot2_f32_f16 v48, v51, v55, v48
	;;#ASMEND
	;;#ASMSTART
	v_dot2_f32_f16 v48, v52, v56, v48
	;;#ASMEND
	ds_load_b128 v[49:52], v36 offset:32
	;; [unrolled: 15-line block ×7, first 2 shown]
	ds_load_b128 v[53:56], v37 offset:240
	v_ashrrev_i32_e32 v66, 31, v65
	s_waitcnt lgkmcnt(0)
	;;#ASMSTART
	v_dot2_f32_f16 v48, v49, v53, v48
	;;#ASMEND
	s_delay_alu instid0(VALU_DEP_1)
	v_lshlrev_b64 v[65:66], 1, v[65:66]
	;;#ASMSTART
	v_dot2_f32_f16 v48, v50, v54, v48
	;;#ASMEND
	;;#ASMSTART
	v_dot2_f32_f16 v48, v51, v55, v48
	;;#ASMEND
	;; [unrolled: 3-line block ×3, first 2 shown]
	s_add_u32 s4, s11, s2
	s_addc_u32 s10, s19, s3
	v_add_co_u32 v65, vcc_lo, s36, v65
	v_add_co_ci_u32_e32 v66, vcc_lo, s37, v66, vcc_lo
	v_add_co_u32 v49, vcc_lo, s4, v14
	v_add_co_u32 v50, s2, s4, v16
	flat_load_u16 v65, v[65:66]
	v_add_co_u32 v51, s3, s4, v18
	v_add_co_u32 v52, s4, s4, v12
	s_delay_alu instid0(VALU_DEP_1)
	v_add_co_ci_u32_e64 v54, s4, s10, v13, s4
	v_add_co_ci_u32_e32 v55, vcc_lo, s10, v15, vcc_lo
	v_add_co_ci_u32_e64 v56, vcc_lo, s10, v17, s2
	v_add_co_ci_u32_e64 v59, vcc_lo, s10, v19, s3
	v_add_co_u32 v53, vcc_lo, v49, v46
	v_add_co_u32 v49, s4, v52, v46
	v_add_co_u32 v57, s2, v50, v46
	v_add_co_ci_u32_e64 v50, s4, 0, v54, s4
	v_add_co_u32 v61, s3, v51, v46
	v_add_co_ci_u32_e32 v54, vcc_lo, 0, v55, vcc_lo
	v_add_co_ci_u32_e64 v58, vcc_lo, 0, v56, s2
	v_add_co_ci_u32_e64 v62, vcc_lo, 0, v59, s3
	s_waitcnt vmcnt(0) lgkmcnt(0)
	s_barrier
	buffer_gl0_inv
	s_clause 0x3
	global_load_b128 v[49:52], v[49:50], off
	global_load_b128 v[53:56], v[53:54], off
	;; [unrolled: 1-line block ×4, first 2 shown]
	v_cmp_gt_i32_e32 vcc_lo, 32, v29
	s_or_b32 s2, s5, 16
	s_delay_alu instid0(SALU_CYCLE_1) | instskip(SKIP_1) | instid1(SALU_CYCLE_1)
	s_mul_hi_i32 s3, s2, s13
	s_mul_i32 s2, s2, s13
	s_lshl_b64 s[2:3], s[2:3], 2
	s_delay_alu instid0(SALU_CYCLE_1) | instskip(SKIP_4) | instid1(VALU_DEP_1)
	s_add_u32 s4, s11, s2
	s_addc_u32 s10, s19, s3
	v_add_co_u32 v72, s2, s4, v16
	v_add_co_u32 v73, s3, s4, v18
	v_cvt_f32_f16_e32 v65, v65
	v_add_f32_e32 v48, v48, v65
	v_cndmask_b32_e32 v2, v22, v29, vcc_lo
	v_cmp_gt_i32_e32 vcc_lo, 32, v28
	s_delay_alu instid0(VALU_DEP_2) | instskip(SKIP_4) | instid1(VALU_DEP_2)
	v_dual_add_f32 v65, 0x40051340, v48 :: v_dual_lshlrev_b32 v2, 2, v2
	v_cndmask_b32_e32 v66, v22, v28, vcc_lo
	v_cmp_gt_i32_e32 vcc_lo, 32, v27
	v_cndmask_b32_e32 v67, v22, v27, vcc_lo
	v_cmp_gt_i32_e32 vcc_lo, 32, v26
	v_dual_max_f32 v70, v104, v104 :: v_dual_lshlrev_b32 v67, 2, v67
	v_cndmask_b32_e32 v68, v22, v26, vcc_lo
	v_cmp_gt_i32_e32 vcc_lo, 32, v25
	s_delay_alu instid0(VALU_DEP_3)
	v_max_f32_e32 v65, v70, v65
	v_cndmask_b32_e32 v69, v22, v25, vcc_lo
	v_add_co_u32 v71, vcc_lo, s4, v14
	ds_bpermute_b32 v2, v2, v65
	v_add_co_ci_u32_e32 v76, vcc_lo, s10, v15, vcc_lo
	v_lshlrev_b32_e32 v69, 2, v69
	v_lshlrev_b32_e32 v66, 2, v66
	v_add_co_ci_u32_e64 v77, vcc_lo, s10, v17, s2
	v_add_co_ci_u32_e64 v78, vcc_lo, s10, v19, s3
	v_add_co_u32 v92, vcc_lo, v71, v46
	v_add_co_u32 v96, s2, v72, v46
	v_add_co_u32 v100, s3, v73, v46
	v_add_co_ci_u32_e32 v93, vcc_lo, 0, v76, vcc_lo
	v_add_co_ci_u32_e64 v97, vcc_lo, 0, v77, s2
	v_add_co_ci_u32_e64 v101, vcc_lo, 0, v78, s3
	s_waitcnt lgkmcnt(0)
	v_max_f32_e32 v2, v2, v2
	v_add_co_u32 v74, s4, s4, v12
	s_delay_alu instid0(VALU_DEP_1) | instskip(NEXT) | instid1(VALU_DEP_3)
	v_add_co_ci_u32_e64 v75, s4, s10, v13, s4
	v_max_f32_e32 v2, v65, v2
	s_delay_alu instid0(VALU_DEP_3) | instskip(NEXT) | instid1(VALU_DEP_1)
	v_add_co_u32 v88, s4, v74, v46
	v_add_co_ci_u32_e64 v89, s4, 0, v75, s4
	ds_bpermute_b32 v65, v66, v2
	s_waitcnt lgkmcnt(0)
	v_max_f32_e32 v65, v65, v65
	s_delay_alu instid0(VALU_DEP_1) | instskip(SKIP_3) | instid1(VALU_DEP_1)
	v_max_f32_e32 v2, v2, v65
	ds_bpermute_b32 v65, v67, v2
	s_waitcnt lgkmcnt(0)
	v_dual_max_f32 v65, v65, v65 :: v_dual_lshlrev_b32 v68, 2, v68
	v_max_f32_e32 v2, v2, v65
	ds_bpermute_b32 v65, v68, v2
	s_waitcnt lgkmcnt(0)
	v_max_f32_e32 v65, v65, v65
	s_delay_alu instid0(VALU_DEP_1) | instskip(SKIP_3) | instid1(VALU_DEP_1)
	v_max_f32_e32 v2, v2, v65
	ds_bpermute_b32 v65, v69, v2
	s_waitcnt lgkmcnt(0)
	v_max_f32_e32 v65, v65, v65
	v_max_f32_e32 v2, v2, v65
	s_delay_alu instid0(VALU_DEP_1) | instskip(NEXT) | instid1(VALU_DEP_1)
	v_sub_f32_e32 v48, v48, v2
	v_dual_sub_f32 v104, v104, v2 :: v_dual_mul_f32 v65, 0x3fb8aa3b, v48
	v_cmp_ngt_f32_e32 vcc_lo, 0xc2ce8ed0, v48
	s_delay_alu instid0(VALU_DEP_2) | instskip(NEXT) | instid1(VALU_DEP_3)
	v_mul_f32_e32 v106, 0x3fb8aa3b, v104
	v_fma_f32 v66, 0x3fb8aa3b, v48, -v65
	v_rndne_f32_e32 v67, v65
	s_delay_alu instid0(VALU_DEP_3) | instskip(SKIP_1) | instid1(VALU_DEP_3)
	v_fma_f32 v107, 0x3fb8aa3b, v104, -v106
	v_rndne_f32_e32 v108, v106
	v_dual_fmac_f32 v66, 0x32a5705f, v48 :: v_dual_sub_f32 v65, v65, v67
	v_cvt_i32_f32_e32 v67, v67
	s_delay_alu instid0(VALU_DEP_4) | instskip(NEXT) | instid1(VALU_DEP_4)
	v_fmac_f32_e32 v107, 0x32a5705f, v104
	v_sub_f32_e32 v106, v106, v108
	v_cvt_i32_f32_e32 v108, v108
	s_delay_alu instid0(VALU_DEP_2) | instskip(NEXT) | instid1(VALU_DEP_1)
	v_dual_add_f32 v65, v65, v66 :: v_dual_add_f32 v106, v106, v107
	v_exp_f32_e32 v65, v65
	s_delay_alu instid0(VALU_DEP_1) | instskip(SKIP_3) | instid1(VALU_DEP_2)
	v_exp_f32_e32 v106, v106
	s_waitcnt_depctr 0xfff
	v_ldexp_f32 v65, v65, v67
	v_ldexp_f32 v106, v106, v108
	v_cndmask_b32_e32 v65, 0, v65, vcc_lo
	v_cmp_nlt_f32_e32 vcc_lo, 0x42b17218, v48
	s_delay_alu instid0(VALU_DEP_2) | instskip(SKIP_1) | instid1(VALU_DEP_2)
	v_cndmask_b32_e32 v105, 0x7f800000, v65, vcc_lo
	v_cmp_ngt_f32_e32 vcc_lo, 0xc2ce8ed0, v104
	v_cvt_f16_f32_e32 v48, v105
	ds_store_b16 v40, v48
	s_waitcnt vmcnt(3)
	ds_store_b128 v39, v[49:52]
	s_waitcnt vmcnt(2)
	ds_store_b128 v41, v[53:56]
	;; [unrolled: 2-line block ×4, first 2 shown]
	s_waitcnt lgkmcnt(0)
	s_barrier
	buffer_gl0_inv
	ds_load_2addr_b64 v[48:51], v44 offset1:32
	ds_load_b128 v[52:55], v38
	ds_load_b128 v[56:59], v38 offset:16
	ds_load_2addr_b64 v[60:63], v44 offset0:64 offset1:96
	ds_load_2addr_b64 v[64:67], v44 offset0:128 offset1:160
	;; [unrolled: 1-line block ×3, first 2 shown]
	ds_load_2addr_b64 v[72:75], v47 offset1:32
	ds_load_2addr_b64 v[76:79], v47 offset0:64 offset1:96
	ds_load_2addr_b64 v[80:83], v47 offset0:128 offset1:160
	;; [unrolled: 1-line block ×3, first 2 shown]
	s_waitcnt lgkmcnt(0)
	s_barrier
	buffer_gl0_inv
	s_clause 0x3
	global_load_b128 v[88:91], v[88:89], off
	global_load_b128 v[92:95], v[92:93], off
	;; [unrolled: 1-line block ×4, first 2 shown]
	v_cndmask_b32_e32 v106, 0, v106, vcc_lo
	v_cmp_nlt_f32_e32 vcc_lo, 0x42b17218, v104
	s_waitcnt vmcnt(3)
	ds_store_b128 v39, v[88:91]
	s_waitcnt vmcnt(2)
	ds_store_b128 v41, v[92:95]
	s_waitcnt vmcnt(1)
	ds_store_b128 v42, v[96:99]
	s_waitcnt vmcnt(0)
	ds_store_b128 v43, v[100:103]
	v_cndmask_b32_e32 v104, 0x7f800000, v106, vcc_lo
	v_pk_mul_f16 v48, v48, v52 op_sel_hi:[1,0]
	v_pk_mul_f16 v49, v49, v52 op_sel_hi:[1,0]
	s_waitcnt lgkmcnt(0)
	s_barrier
	v_cvt_f16_f32_e32 v106, v104
	buffer_gl0_inv
	v_fma_f32 v35, v35, v104, v105
	v_pk_fma_f16 v23, v23, v106, v48 op_sel_hi:[1,0,1]
	v_pk_fma_f16 v30, v30, v106, v49 op_sel_hi:[1,0,1]
	s_delay_alu instid0(VALU_DEP_2) | instskip(NEXT) | instid1(VALU_DEP_2)
	v_pk_fma_f16 v23, v50, v52, v23 op_sel:[0,1,0]
	v_pk_fma_f16 v30, v51, v52, v30 op_sel:[0,1,0]
	s_delay_alu instid0(VALU_DEP_2) | instskip(NEXT) | instid1(VALU_DEP_2)
	v_pk_fma_f16 v23, v60, v53, v23 op_sel_hi:[1,0,1]
	v_pk_fma_f16 v30, v61, v53, v30 op_sel_hi:[1,0,1]
	s_delay_alu instid0(VALU_DEP_2) | instskip(NEXT) | instid1(VALU_DEP_2)
	v_pk_fma_f16 v23, v62, v53, v23 op_sel:[0,1,0]
	v_pk_fma_f16 v30, v63, v53, v30 op_sel:[0,1,0]
	s_delay_alu instid0(VALU_DEP_2) | instskip(NEXT) | instid1(VALU_DEP_2)
	;; [unrolled: 6-line block ×3, first 2 shown]
	v_pk_fma_f16 v23, v68, v55, v23 op_sel_hi:[1,0,1]
	v_pk_fma_f16 v30, v69, v55, v30 op_sel_hi:[1,0,1]
	s_delay_alu instid0(VALU_DEP_2) | instskip(NEXT) | instid1(VALU_DEP_2)
	v_pk_fma_f16 v23, v70, v55, v23 op_sel:[0,1,0]
	v_pk_fma_f16 v30, v71, v55, v30 op_sel:[0,1,0]
	ds_load_2addr_b64 v[48:51], v44 offset1:32
	ds_load_b128 v[52:55], v38 offset:32
	ds_load_2addr_b64 v[60:63], v44 offset0:64 offset1:96
	v_pk_fma_f16 v23, v72, v56, v23 op_sel_hi:[1,0,1]
	v_pk_fma_f16 v30, v73, v56, v30 op_sel_hi:[1,0,1]
	s_delay_alu instid0(VALU_DEP_2) | instskip(NEXT) | instid1(VALU_DEP_2)
	v_pk_fma_f16 v23, v74, v56, v23 op_sel:[0,1,0]
	v_pk_fma_f16 v30, v75, v56, v30 op_sel:[0,1,0]
	s_delay_alu instid0(VALU_DEP_2) | instskip(NEXT) | instid1(VALU_DEP_2)
	v_pk_fma_f16 v23, v76, v57, v23 op_sel_hi:[1,0,1]
	v_pk_fma_f16 v30, v77, v57, v30 op_sel_hi:[1,0,1]
	s_delay_alu instid0(VALU_DEP_2) | instskip(NEXT) | instid1(VALU_DEP_2)
	v_pk_fma_f16 v23, v78, v57, v23 op_sel:[0,1,0]
	v_pk_fma_f16 v30, v79, v57, v30 op_sel:[0,1,0]
	s_delay_alu instid0(VALU_DEP_2) | instskip(NEXT) | instid1(VALU_DEP_2)
	;; [unrolled: 6-line block ×3, first 2 shown]
	v_pk_fma_f16 v23, v84, v59, v23 op_sel_hi:[1,0,1]
	v_pk_fma_f16 v30, v85, v59, v30 op_sel_hi:[1,0,1]
	s_delay_alu instid0(VALU_DEP_2) | instskip(NEXT) | instid1(VALU_DEP_2)
	v_pk_fma_f16 v23, v86, v59, v23 op_sel:[0,1,0]
	v_pk_fma_f16 v30, v87, v59, v30 op_sel:[0,1,0]
	ds_load_b128 v[56:59], v38 offset:48
	ds_load_2addr_b64 v[64:67], v44 offset0:128 offset1:160
	s_waitcnt lgkmcnt(3)
	v_pk_fma_f16 v23, v48, v52, v23 op_sel_hi:[1,0,1]
	v_pk_fma_f16 v30, v49, v52, v30 op_sel_hi:[1,0,1]
	s_delay_alu instid0(VALU_DEP_2) | instskip(NEXT) | instid1(VALU_DEP_2)
	v_pk_fma_f16 v23, v50, v52, v23 op_sel:[0,1,0]
	v_pk_fma_f16 v30, v51, v52, v30 op_sel:[0,1,0]
	ds_load_2addr_b64 v[48:51], v44 offset0:192 offset1:224
	s_waitcnt lgkmcnt(3)
	v_pk_fma_f16 v23, v60, v53, v23 op_sel_hi:[1,0,1]
	v_pk_fma_f16 v30, v61, v53, v30 op_sel_hi:[1,0,1]
	s_delay_alu instid0(VALU_DEP_2) | instskip(NEXT) | instid1(VALU_DEP_2)
	v_pk_fma_f16 v23, v62, v53, v23 op_sel:[0,1,0]
	v_pk_fma_f16 v30, v63, v53, v30 op_sel:[0,1,0]
	ds_load_2addr_b64 v[60:63], v47 offset1:32
	s_waitcnt lgkmcnt(2)
	v_pk_fma_f16 v23, v64, v54, v23 op_sel_hi:[1,0,1]
	v_pk_fma_f16 v30, v65, v54, v30 op_sel_hi:[1,0,1]
	s_delay_alu instid0(VALU_DEP_2) | instskip(NEXT) | instid1(VALU_DEP_2)
	v_pk_fma_f16 v23, v66, v54, v23 op_sel:[0,1,0]
	v_pk_fma_f16 v30, v67, v54, v30 op_sel:[0,1,0]
	ds_load_2addr_b64 v[64:67], v47 offset0:64 offset1:96
	s_waitcnt lgkmcnt(2)
	v_pk_fma_f16 v23, v48, v55, v23 op_sel_hi:[1,0,1]
	v_pk_fma_f16 v30, v49, v55, v30 op_sel_hi:[1,0,1]
	s_delay_alu instid0(VALU_DEP_2) | instskip(NEXT) | instid1(VALU_DEP_2)
	v_pk_fma_f16 v23, v50, v55, v23 op_sel:[0,1,0]
	v_pk_fma_f16 v30, v51, v55, v30 op_sel:[0,1,0]
	ds_load_2addr_b64 v[48:51], v47 offset0:128 offset1:160
	ds_load_2addr_b64 v[52:55], v47 offset0:192 offset1:224
	s_waitcnt lgkmcnt(0)
	v_pk_fma_f16 v23, v60, v56, v23 op_sel_hi:[1,0,1]
	v_pk_fma_f16 v30, v61, v56, v30 op_sel_hi:[1,0,1]
	s_barrier
	buffer_gl0_inv
	s_load_b32 s2, s[8:9], 0x4
	v_pk_fma_f16 v23, v62, v56, v23 op_sel:[0,1,0]
	v_pk_fma_f16 v30, v63, v56, v30 op_sel:[0,1,0]
	s_delay_alu instid0(VALU_DEP_2) | instskip(NEXT) | instid1(VALU_DEP_2)
	v_pk_fma_f16 v23, v64, v57, v23 op_sel_hi:[1,0,1]
	v_pk_fma_f16 v30, v65, v57, v30 op_sel_hi:[1,0,1]
	s_delay_alu instid0(VALU_DEP_2) | instskip(NEXT) | instid1(VALU_DEP_2)
	v_pk_fma_f16 v23, v66, v57, v23 op_sel:[0,1,0]
	v_pk_fma_f16 v30, v67, v57, v30 op_sel:[0,1,0]
	s_delay_alu instid0(VALU_DEP_2) | instskip(NEXT) | instid1(VALU_DEP_2)
	v_pk_fma_f16 v23, v48, v58, v23 op_sel_hi:[1,0,1]
	v_pk_fma_f16 v30, v49, v58, v30 op_sel_hi:[1,0,1]
	s_waitcnt lgkmcnt(0)
	s_lshl_b32 s2, s2, 5
	s_delay_alu instid0(VALU_DEP_2) | instskip(NEXT) | instid1(VALU_DEP_2)
	v_pk_fma_f16 v23, v50, v58, v23 op_sel:[0,1,0]
	v_pk_fma_f16 v30, v51, v58, v30 op_sel:[0,1,0]
	s_add_i32 s5, s2, s5
	s_delay_alu instid0(SALU_CYCLE_1) | instskip(NEXT) | instid1(VALU_DEP_2)
	s_cmp_lt_i32 s5, s34
	v_pk_fma_f16 v23, v52, v59, v23 op_sel_hi:[1,0,1]
	s_delay_alu instid0(VALU_DEP_2) | instskip(NEXT) | instid1(VALU_DEP_2)
	v_pk_fma_f16 v30, v53, v59, v30 op_sel_hi:[1,0,1]
	v_pk_fma_f16 v23, v54, v59, v23 op_sel:[0,1,0]
	s_delay_alu instid0(VALU_DEP_2)
	v_pk_fma_f16 v30, v55, v59, v30 op_sel:[0,1,0]
	s_cbranch_scc1 .LBB49_9
; %bb.10:
	v_mov_b32_e32 v6, v22
.LBB49_11:
	v_cmp_lt_i32_e32 vcc_lo, v29, v24
	s_cmp_eq_u64 s[24:25], 0
	s_cselect_b32 s2, -1, 0
	s_cmp_lg_u32 s14, 0
	v_cndmask_b32_e32 v3, v6, v29, vcc_lo
	v_cmp_lt_i32_e32 vcc_lo, v28, v24
	s_cselect_b32 s3, -1, 0
	s_delay_alu instid0(SALU_CYCLE_1) | instskip(SKIP_2) | instid1(VALU_DEP_2)
	s_or_b32 s2, s3, s2
	v_cndmask_b32_e32 v4, v6, v28, vcc_lo
	v_cmp_lt_i32_e32 vcc_lo, v27, v24
	v_lshlrev_b32_e32 v4, 2, v4
	v_lshlrev_b32_e32 v3, 2, v3
	v_cndmask_b32_e32 v5, v6, v27, vcc_lo
	v_cmp_lt_i32_e32 vcc_lo, v26, v24
	ds_bpermute_b32 v3, v3, v35
	v_lshlrev_b32_e32 v5, 2, v5
	s_waitcnt lgkmcnt(0)
	v_add_f32_e32 v3, v35, v3
	ds_bpermute_b32 v4, v4, v3
	s_waitcnt lgkmcnt(0)
	v_add_f32_e32 v3, v3, v4
	ds_bpermute_b32 v4, v5, v3
	v_cndmask_b32_e32 v5, v6, v26, vcc_lo
	v_cmp_lt_i32_e32 vcc_lo, v25, v24
	s_delay_alu instid0(VALU_DEP_2)
	v_lshlrev_b32_e32 v5, 2, v5
	s_waitcnt lgkmcnt(0)
	v_add_f32_e32 v3, v3, v4
	ds_bpermute_b32 v4, v5, v3
	v_cndmask_b32_e32 v5, v6, v25, vcc_lo
	s_and_b32 vcc_lo, exec_lo, s2
	s_delay_alu instid0(VALU_DEP_1)
	v_lshlrev_b32_e32 v5, 2, v5
	s_waitcnt lgkmcnt(0)
	v_dual_add_f32 v3, v3, v4 :: v_dual_add_nc_u32 v4, s15, v21
	ds_bpermute_b32 v5, v5, v3
	s_waitcnt lgkmcnt(0)
	v_add_f32_e32 v3, v3, v5
	s_cbranch_vccnz .LBB49_13
; %bb.12:
	v_ashrrev_i32_e32 v5, 31, v4
	s_delay_alu instid0(VALU_DEP_1) | instskip(NEXT) | instid1(VALU_DEP_1)
	v_lshlrev_b64 v[5:6], 2, v[4:5]
	v_add_co_u32 v5, vcc_lo, s24, v5
	s_delay_alu instid0(VALU_DEP_2) | instskip(SKIP_3) | instid1(VALU_DEP_1)
	v_add_co_ci_u32_e32 v6, vcc_lo, s25, v6, vcc_lo
	global_load_b32 v5, v[5:6], off
	s_waitcnt vmcnt(0)
	v_dual_max_f32 v6, v2, v2 :: v_dual_max_f32 v7, v5, v5
	v_max_f32_e32 v6, v6, v7
	s_delay_alu instid0(VALU_DEP_1) | instskip(NEXT) | instid1(VALU_DEP_1)
	v_sub_f32_e32 v2, v2, v6
	v_mul_f32_e32 v7, 0x3fb8aa3b, v2
	v_sub_f32_e32 v5, v5, v6
	s_delay_alu instid0(VALU_DEP_2) | instskip(NEXT) | instid1(VALU_DEP_2)
	v_rndne_f32_e32 v10, v7
	v_mul_f32_e32 v8, 0x3fb8aa3b, v5
	s_delay_alu instid0(VALU_DEP_1) | instskip(SKIP_1) | instid1(VALU_DEP_1)
	v_fma_f32 v11, 0x3fb8aa3b, v5, -v8
	v_rndne_f32_e32 v12, v8
	v_dual_sub_f32 v8, v8, v12 :: v_dual_fmac_f32 v11, 0x32a5705f, v5
	v_fma_f32 v9, 0x3fb8aa3b, v2, -v7
	v_sub_f32_e32 v7, v7, v10
	v_cmp_ngt_f32_e32 vcc_lo, 0xc2ce8ed0, v2
	s_delay_alu instid0(VALU_DEP_3) | instskip(NEXT) | instid1(VALU_DEP_1)
	v_dual_add_f32 v8, v8, v11 :: v_dual_fmac_f32 v9, 0x32a5705f, v2
	v_exp_f32_e32 v8, v8
	s_delay_alu instid0(VALU_DEP_1) | instskip(SKIP_2) | instid1(VALU_DEP_3)
	v_add_f32_e32 v7, v7, v9
	v_cvt_i32_f32_e32 v9, v10
	v_cvt_i32_f32_e32 v10, v12
	v_exp_f32_e32 v7, v7
	s_waitcnt_depctr 0xfff
	v_ldexp_f32 v8, v8, v10
	v_ldexp_f32 v7, v7, v9
	s_delay_alu instid0(VALU_DEP_1) | instskip(SKIP_1) | instid1(VALU_DEP_4)
	v_cndmask_b32_e32 v7, 0, v7, vcc_lo
	v_cmp_ngt_f32_e32 vcc_lo, 0xc2ce8ed0, v5
	v_cndmask_b32_e32 v8, 0, v8, vcc_lo
	v_cmp_nlt_f32_e32 vcc_lo, 0x42b17218, v2
	s_delay_alu instid0(VALU_DEP_4) | instskip(SKIP_1) | instid1(VALU_DEP_4)
	v_cndmask_b32_e32 v2, 0x7f800000, v7, vcc_lo
	v_cmp_nlt_f32_e32 vcc_lo, 0x42b17218, v5
	v_cndmask_b32_e32 v5, 0x7f800000, v8, vcc_lo
	s_delay_alu instid0(VALU_DEP_1) | instskip(NEXT) | instid1(VALU_DEP_1)
	v_fmac_f32_e32 v5, v3, v2
	v_mov_b32_e32 v3, v5
	v_cvt_f16_f32_e32 v7, v2
	v_mov_b32_e32 v2, v6
	s_delay_alu instid0(VALU_DEP_2)
	v_pk_mul_f16 v23, v7, v23 op_sel_hi:[0,1]
	v_pk_mul_f16 v30, v7, v30 op_sel_hi:[0,1]
.LBB49_13:
	s_delay_alu instid0(VALU_DEP_1) | instskip(SKIP_2) | instid1(VALU_DEP_2)
	v_div_scale_f32 v8, null, v3, v3, 1.0
	s_load_b32 s0, s[0:1], 0xd4
	v_div_scale_f32 v10, vcc_lo, 1.0, v3, 1.0
	v_rcp_f32_e32 v9, v8
	s_waitcnt_depctr 0xfff
	v_fma_f32 v5, -v8, v9, 1.0
	s_delay_alu instid0(VALU_DEP_1) | instskip(SKIP_4) | instid1(VALU_DEP_1)
	v_fmac_f32_e32 v9, v5, v9
	v_mad_u64_u32 v[5:6], null, s12, s6, v[1:2]
	s_waitcnt lgkmcnt(0)
	s_cmp_lg_u32 s0, 1
	s_cselect_b32 s1, -1, 0
	v_mad_u64_u32 v[6:7], null, v5, s7, v[4:5]
	v_cvt_f32_f16_e32 v7, v23
	s_delay_alu instid0(VALU_DEP_2) | instskip(SKIP_1) | instid1(VALU_DEP_1)
	v_mad_u64_u32 v[4:5], null, s0, v6, s[14:15]
	v_dual_mov_b32 v6, 0 :: v_dual_mul_f32 v11, v10, v9
	v_fma_f32 v1, -v8, v11, v10
	s_delay_alu instid0(VALU_DEP_3) | instskip(NEXT) | instid1(VALU_DEP_2)
	v_lshl_add_u32 v5, v4, 7, v20
	v_fmac_f32_e32 v11, v1, v9
	s_delay_alu instid0(VALU_DEP_1) | instskip(SKIP_2) | instid1(VALU_DEP_3)
	v_fma_f32 v1, -v8, v11, v10
	v_lshrrev_b32_e32 v8, 16, v23
	v_lshrrev_b32_e32 v10, 16, v30
	v_div_fmas_f32 v1, v1, v9, v11
	v_cmp_eq_u32_e32 vcc_lo, 0, v0
	v_cvt_f32_f16_e32 v9, v30
	v_cvt_f32_f16_e32 v8, v8
	;; [unrolled: 1-line block ×3, first 2 shown]
	v_div_fixup_f32 v1, v1, v3, 1.0
	s_delay_alu instid0(VALU_DEP_1) | instskip(SKIP_1) | instid1(VALU_DEP_2)
	v_cndmask_b32_e64 v11, v1, 1.0, s1
	v_lshlrev_b64 v[0:1], 2, v[5:6]
	v_mul_f32_e32 v5, v11, v7
	v_mul_f32_e32 v6, v11, v8
	s_delay_alu instid0(VALU_DEP_3)
	v_add_co_u32 v0, s0, s28, v0
	v_mul_f32_e32 v7, v11, v9
	v_mul_f32_e32 v8, v11, v10
	v_add_co_ci_u32_e64 v1, s0, s29, v1, s0
	s_and_b32 s0, vcc_lo, s1
	global_store_b128 v[0:1], v[5:8], off
	s_and_saveexec_b32 s1, s0
	s_cbranch_execz .LBB49_15
; %bb.14:
	v_ashrrev_i32_e32 v5, 31, v4
	s_delay_alu instid0(VALU_DEP_1) | instskip(NEXT) | instid1(VALU_DEP_1)
	v_lshlrev_b64 v[0:1], 3, v[4:5]
	v_add_co_u32 v0, vcc_lo, s30, v0
	s_delay_alu instid0(VALU_DEP_2)
	v_add_co_ci_u32_e32 v1, vcc_lo, s31, v1, vcc_lo
	global_store_b64 v[0:1], v[2:3], off
.LBB49_15:
	s_nop 0
	s_sendmsg sendmsg(MSG_DEALLOC_VGPRS)
	s_endpgm
	.section	.rodata,"a",@progbits
	.p2align	6, 0x0
	.amdhsa_kernel _ZL15flash_attn_tileILi128ELi128ELi1ELi2ELb0EEvPKcS1_S1_S1_S1_PKiPfP15HIP_vector_typeIfLj2EEffffjfiS5_IjLj3EEiiiiiiiiiiiliiliiiiil
		.amdhsa_group_segment_fixed_size 5248
		.amdhsa_private_segment_fixed_size 0
		.amdhsa_kernarg_size 464
		.amdhsa_user_sgpr_count 13
		.amdhsa_user_sgpr_dispatch_ptr 0
		.amdhsa_user_sgpr_queue_ptr 0
		.amdhsa_user_sgpr_kernarg_segment_ptr 1
		.amdhsa_user_sgpr_dispatch_id 0
		.amdhsa_user_sgpr_private_segment_size 0
		.amdhsa_wavefront_size32 1
		.amdhsa_uses_dynamic_stack 0
		.amdhsa_enable_private_segment 0
		.amdhsa_system_sgpr_workgroup_id_x 1
		.amdhsa_system_sgpr_workgroup_id_y 1
		.amdhsa_system_sgpr_workgroup_id_z 1
		.amdhsa_system_sgpr_workgroup_info 0
		.amdhsa_system_vgpr_workitem_id 1
		.amdhsa_next_free_vgpr 109
		.amdhsa_next_free_sgpr 41
		.amdhsa_reserve_vcc 1
		.amdhsa_float_round_mode_32 0
		.amdhsa_float_round_mode_16_64 0
		.amdhsa_float_denorm_mode_32 3
		.amdhsa_float_denorm_mode_16_64 3
		.amdhsa_dx10_clamp 1
		.amdhsa_ieee_mode 1
		.amdhsa_fp16_overflow 0
		.amdhsa_workgroup_processor_mode 1
		.amdhsa_memory_ordered 1
		.amdhsa_forward_progress 0
		.amdhsa_shared_vgpr_count 0
		.amdhsa_exception_fp_ieee_invalid_op 0
		.amdhsa_exception_fp_denorm_src 0
		.amdhsa_exception_fp_ieee_div_zero 0
		.amdhsa_exception_fp_ieee_overflow 0
		.amdhsa_exception_fp_ieee_underflow 0
		.amdhsa_exception_fp_ieee_inexact 0
		.amdhsa_exception_int_div_zero 0
	.end_amdhsa_kernel
	.section	.text._ZL15flash_attn_tileILi128ELi128ELi1ELi2ELb0EEvPKcS1_S1_S1_S1_PKiPfP15HIP_vector_typeIfLj2EEffffjfiS5_IjLj3EEiiiiiiiiiiiliiliiiiil,"axG",@progbits,_ZL15flash_attn_tileILi128ELi128ELi1ELi2ELb0EEvPKcS1_S1_S1_S1_PKiPfP15HIP_vector_typeIfLj2EEffffjfiS5_IjLj3EEiiiiiiiiiiiliiliiiiil,comdat
.Lfunc_end49:
	.size	_ZL15flash_attn_tileILi128ELi128ELi1ELi2ELb0EEvPKcS1_S1_S1_S1_PKiPfP15HIP_vector_typeIfLj2EEffffjfiS5_IjLj3EEiiiiiiiiiiiliiliiiiil, .Lfunc_end49-_ZL15flash_attn_tileILi128ELi128ELi1ELi2ELb0EEvPKcS1_S1_S1_S1_PKiPfP15HIP_vector_typeIfLj2EEffffjfiS5_IjLj3EEiiiiiiiiiiiliiliiiiil
                                        ; -- End function
	.section	.AMDGPU.csdata,"",@progbits
; Kernel info:
; codeLenInByte = 6316
; NumSgprs: 43
; NumVgprs: 109
; ScratchSize: 0
; MemoryBound: 0
; FloatMode: 240
; IeeeMode: 1
; LDSByteSize: 5248 bytes/workgroup (compile time only)
; SGPRBlocks: 5
; VGPRBlocks: 13
; NumSGPRsForWavesPerEU: 43
; NumVGPRsForWavesPerEU: 109
; Occupancy: 12
; WaveLimiterHint : 1
; COMPUTE_PGM_RSRC2:SCRATCH_EN: 0
; COMPUTE_PGM_RSRC2:USER_SGPR: 13
; COMPUTE_PGM_RSRC2:TRAP_HANDLER: 0
; COMPUTE_PGM_RSRC2:TGID_X_EN: 1
; COMPUTE_PGM_RSRC2:TGID_Y_EN: 1
; COMPUTE_PGM_RSRC2:TGID_Z_EN: 1
; COMPUTE_PGM_RSRC2:TIDIG_COMP_CNT: 1
	.section	.text._ZL33flash_attn_stream_k_fixup_uniformILi128ELi1ELi2EEvPfPK15HIP_vector_typeIfLj2EEiiiiiiS1_IjLj3EES5_S5_,"axG",@progbits,_ZL33flash_attn_stream_k_fixup_uniformILi128ELi1ELi2EEvPfPK15HIP_vector_typeIfLj2EEiiiiiiS1_IjLj3EES5_S5_,comdat
	.globl	_ZL33flash_attn_stream_k_fixup_uniformILi128ELi1ELi2EEvPfPK15HIP_vector_typeIfLj2EEiiiiiiS1_IjLj3EES5_S5_ ; -- Begin function _ZL33flash_attn_stream_k_fixup_uniformILi128ELi1ELi2EEvPfPK15HIP_vector_typeIfLj2EEiiiiiiS1_IjLj3EES5_S5_
	.p2align	8
	.type	_ZL33flash_attn_stream_k_fixup_uniformILi128ELi1ELi2EEvPfPK15HIP_vector_typeIfLj2EEiiiiiiS1_IjLj3EES5_S5_,@function
_ZL33flash_attn_stream_k_fixup_uniformILi128ELi1ELi2EEvPfPK15HIP_vector_typeIfLj2EEiiiiiiS1_IjLj3EES5_S5_: ; @_ZL33flash_attn_stream_k_fixup_uniformILi128ELi1ELi2EEvPfPK15HIP_vector_typeIfLj2EEiiiiiiS1_IjLj3EES5_S5_
; %bb.0:
	s_clause 0x1
	s_load_b256 s[4:11], s[0:1], 0x1c
	s_load_b128 s[16:19], s[0:1], 0x3c
	s_waitcnt lgkmcnt(0)
	s_mul_hi_u32 s2, s7, s13
	s_delay_alu instid0(SALU_CYCLE_1) | instskip(NEXT) | instid1(SALU_CYCLE_1)
	s_add_i32 s2, s13, s2
	s_lshr_b32 s7, s2, s8
	s_delay_alu instid0(SALU_CYCLE_1) | instskip(SKIP_2) | instid1(SALU_CYCLE_1)
	s_mul_i32 s2, s7, s9
	s_load_b64 s[8:9], s[0:1], 0x10
	s_sub_i32 s2, s13, s2
	s_mul_hi_u32 s3, s2, s10
	s_delay_alu instid0(SALU_CYCLE_1) | instskip(NEXT) | instid1(SALU_CYCLE_1)
	s_add_i32 s3, s2, s3
	s_lshr_b32 s10, s3, s11
	s_delay_alu instid0(SALU_CYCLE_1) | instskip(NEXT) | instid1(SALU_CYCLE_1)
	s_mul_i32 s3, s10, s16
	s_sub_i32 s2, s2, s3
	s_delay_alu instid0(SALU_CYCLE_1) | instskip(NEXT) | instid1(SALU_CYCLE_1)
	s_mul_hi_u32 s3, s2, s17
	s_add_i32 s3, s2, s3
	s_delay_alu instid0(SALU_CYCLE_1) | instskip(NEXT) | instid1(SALU_CYCLE_1)
	s_lshr_b32 s3, s3, s18
	s_mul_i32 s11, s3, s19
	s_lshl_b32 s12, s3, 1
	s_sub_i32 s11, s2, s11
	s_delay_alu instid0(SALU_CYCLE_1) | instskip(SKIP_4) | instid1(SALU_CYCLE_1)
	s_add_i32 s11, s11, s14
	s_waitcnt lgkmcnt(0)
	s_cmp_lt_i32 s11, s8
	s_cselect_b32 s2, -1, 0
	s_add_i32 s12, s12, s15
	s_cmp_lt_i32 s12, s5
	s_cselect_b32 s3, -1, 0
	s_delay_alu instid0(SALU_CYCLE_1) | instskip(NEXT) | instid1(SALU_CYCLE_1)
	s_and_b32 s2, s2, s3
	s_and_not1_b32 vcc_lo, exec_lo, s2
	s_cbranch_vccnz .LBB50_6
; %bb.1:
	s_mul_i32 s7, s7, s8
	s_mul_i32 s10, s10, s5
	s_add_i32 s5, s11, s7
	s_load_b128 s[0:3], s[0:1], 0x0
	s_add_i32 s7, s12, s10
	s_mul_i32 s5, s5, s9
	s_delay_alu instid0(SALU_CYCLE_1) | instskip(SKIP_3) | instid1(VALU_DEP_1)
	s_add_i32 s7, s7, s5
	s_mul_i32 s5, s13, s6
	v_lshl_or_b32 v1, s7, 7, v0
	s_add_i32 s9, s5, s6
	v_ashrrev_i32_e32 v2, 31, v1
	s_delay_alu instid0(VALU_DEP_1) | instskip(SKIP_1) | instid1(VALU_DEP_1)
	v_lshlrev_b64 v[1:2], 2, v[1:2]
	s_waitcnt lgkmcnt(0)
	v_add_co_u32 v1, vcc_lo, s0, v1
	s_delay_alu instid0(VALU_DEP_2) | instskip(SKIP_1) | instid1(SALU_CYCLE_1)
	v_add_co_ci_u32_e32 v2, vcc_lo, s1, v2, vcc_lo
	s_add_i32 s0, s14, s9
	s_lshl_b32 s0, s0, 1
	global_load_b32 v5, v[1:2], off
	s_add_i32 s0, s0, s15
	s_delay_alu instid0(SALU_CYCLE_1) | instskip(NEXT) | instid1(SALU_CYCLE_1)
	s_add_i32 s0, s0, -2
	s_ashr_i32 s1, s0, 31
	s_delay_alu instid0(SALU_CYCLE_1) | instskip(NEXT) | instid1(SALU_CYCLE_1)
	s_lshl_b64 s[0:1], s[0:1], 3
	s_add_u32 s0, s2, s0
	s_addc_u32 s1, s3, s1
	s_add_i32 s7, s9, -2
	s_load_b32 s10, s[0:1], 0x4
	s_cmp_lt_i32 s7, s5
	s_cbranch_scc1 .LBB50_4
; %bb.2:
	s_lshl_b32 s16, s4, 3
	s_load_b32 s11, s[0:1], 0x0
	s_ashr_i32 s17, s16, 31
	s_delay_alu instid0(SALU_CYCLE_1) | instskip(NEXT) | instid1(SALU_CYCLE_1)
	s_lshl_b64 s[0:1], s[16:17], 2
	s_add_u32 s7, s2, s0
	s_addc_u32 s8, s3, s1
	s_add_i32 s13, s13, 1
	s_lshl_b32 s0, s15, 7
	s_lshl_b32 s1, s14, 8
	s_mul_i32 s6, s6, s13
	s_add_i32 s0, s0, s1
	s_lshl_b32 s1, s6, 8
	s_delay_alu instid0(SALU_CYCLE_1)
	s_add_i32 s0, s0, s1
	s_add_i32 s1, s14, s4
	v_or_b32_e32 v0, s0, v0
	s_add_i32 s1, s1, s9
	s_waitcnt lgkmcnt(0)
	v_mov_b32_e32 v6, s10
	s_lshl_b32 s0, s1, 1
	s_add_i32 s4, s9, -1
	v_dual_mov_b32 v0, s11 :: v_dual_add_nc_u32 v3, 0xfffffe00, v0
	s_add_i32 s0, s15, s0
	s_delay_alu instid0(SALU_CYCLE_1)
	s_add_i32 s0, s0, -4
.LBB50_3:                               ; =>This Inner Loop Header: Depth=1
	s_delay_alu instid0(VALU_DEP_1) | instskip(SKIP_1) | instid1(SALU_CYCLE_1)
	v_ashrrev_i32_e32 v4, 31, v3
	s_ashr_i32 s1, s0, 31
	s_lshl_b64 s[10:11], s[0:1], 3
	s_delay_alu instid0(SALU_CYCLE_1) | instskip(NEXT) | instid1(VALU_DEP_1)
	s_add_u32 s10, s2, s10
	v_lshlrev_b64 v[7:8], 2, v[3:4]
	s_addc_u32 s11, s3, s11
	s_add_i32 s4, s4, -1
	s_add_i32 s0, s0, -2
	s_cmp_le_i32 s4, s5
	s_load_b64 s[10:11], s[10:11], 0x0
	v_add_co_u32 v7, vcc_lo, s7, v7
	v_add_co_ci_u32_e32 v8, vcc_lo, s8, v8, vcc_lo
	global_load_b32 v4, v[7:8], off
	v_max_f32_e32 v7, v0, v0
	s_waitcnt lgkmcnt(0)
	v_max_f32_e64 v8, s10, s10
	s_delay_alu instid0(VALU_DEP_1) | instskip(NEXT) | instid1(VALU_DEP_1)
	v_max_f32_e32 v7, v7, v8
	v_sub_f32_e32 v8, s10, v7
	s_delay_alu instid0(VALU_DEP_1) | instskip(NEXT) | instid1(VALU_DEP_1)
	v_dual_sub_f32 v0, v0, v7 :: v_dual_mul_f32 v9, 0x3fb8aa3b, v8
	v_fma_f32 v10, 0x3fb8aa3b, v8, -v9
	v_rndne_f32_e32 v11, v9
	s_delay_alu instid0(VALU_DEP_3) | instskip(NEXT) | instid1(VALU_DEP_2)
	v_mul_f32_e32 v12, 0x3fb8aa3b, v0
	v_dual_fmac_f32 v10, 0x32a5705f, v8 :: v_dual_sub_f32 v9, v9, v11
	v_cvt_i32_f32_e32 v11, v11
	s_delay_alu instid0(VALU_DEP_3) | instskip(SKIP_1) | instid1(VALU_DEP_4)
	v_fma_f32 v13, 0x3fb8aa3b, v0, -v12
	v_rndne_f32_e32 v14, v12
	v_add_f32_e32 v9, v9, v10
	v_cmp_ngt_f32_e32 vcc_lo, 0xc2ce8ed0, v8
	s_delay_alu instid0(VALU_DEP_3) | instskip(NEXT) | instid1(VALU_DEP_3)
	v_sub_f32_e32 v10, v12, v14
	v_exp_f32_e32 v9, v9
	s_waitcnt_depctr 0xfff
	v_ldexp_f32 v9, v9, v11
	v_cvt_i32_f32_e32 v11, v14
	s_delay_alu instid0(VALU_DEP_2) | instskip(SKIP_1) | instid1(VALU_DEP_2)
	v_cndmask_b32_e32 v9, 0, v9, vcc_lo
	v_cmp_nlt_f32_e32 vcc_lo, 0x42b17218, v8
	v_cndmask_b32_e32 v9, 0x7f800000, v9, vcc_lo
	v_cmp_ngt_f32_e32 vcc_lo, 0xc2ce8ed0, v0
	v_fmac_f32_e32 v13, 0x32a5705f, v0
	s_delay_alu instid0(VALU_DEP_1) | instskip(NEXT) | instid1(VALU_DEP_1)
	v_add_f32_e32 v10, v10, v13
	v_exp_f32_e32 v10, v10
	s_waitcnt_depctr 0xfff
	v_ldexp_f32 v10, v10, v11
	s_delay_alu instid0(VALU_DEP_1)
	v_dual_mov_b32 v11, v6 :: v_dual_cndmask_b32 v10, 0, v10
	v_cmp_le_f32_e32 vcc_lo, 0xc1a00000, v8
	s_waitcnt vmcnt(1)
	v_dual_cndmask_b32 v8, 0, v9 :: v_dual_mov_b32 v9, v5
	v_cmp_nlt_f32_e32 vcc_lo, 0x42b17218, v0
	v_cndmask_b32_e32 v5, 0x7f800000, v10, vcc_lo
	s_delay_alu instid0(VALU_DEP_3) | instskip(SKIP_2) | instid1(VALU_DEP_3)
	v_mul_f32_e32 v10, s11, v8
	v_cmp_le_f32_e32 vcc_lo, 0xc1a00000, v0
	v_mov_b32_e32 v0, v7
	v_mov_b32_e32 v6, v10
	s_waitcnt vmcnt(0)
	v_dual_cndmask_b32 v12, 0, v5 :: v_dual_mul_f32 v5, v4, v8
	s_delay_alu instid0(VALU_DEP_1) | instskip(NEXT) | instid1(VALU_DEP_2)
	v_dual_fmac_f32 v6, v11, v12 :: v_dual_add_nc_u32 v3, 0xffffff00, v3
	v_fmac_f32_e32 v5, v9, v12
	s_cbranch_scc0 .LBB50_3
	s_branch .LBB50_5
.LBB50_4:
	s_waitcnt lgkmcnt(0)
	v_mov_b32_e32 v6, s10
.LBB50_5:
	s_waitcnt vmcnt(0)
	s_delay_alu instid0(VALU_DEP_1) | instskip(NEXT) | instid1(VALU_DEP_1)
	v_div_scale_f32 v0, null, v6, v6, v5
	v_rcp_f32_e32 v3, v0
	s_waitcnt_depctr 0xfff
	v_fma_f32 v4, -v0, v3, 1.0
	s_delay_alu instid0(VALU_DEP_1) | instskip(SKIP_1) | instid1(VALU_DEP_1)
	v_fmac_f32_e32 v3, v4, v3
	v_div_scale_f32 v4, vcc_lo, v5, v6, v5
	v_mul_f32_e32 v7, v4, v3
	s_delay_alu instid0(VALU_DEP_1) | instskip(NEXT) | instid1(VALU_DEP_1)
	v_fma_f32 v8, -v0, v7, v4
	v_fmac_f32_e32 v7, v8, v3
	s_delay_alu instid0(VALU_DEP_1) | instskip(NEXT) | instid1(VALU_DEP_1)
	v_fma_f32 v0, -v0, v7, v4
	v_div_fmas_f32 v0, v0, v3, v7
	s_delay_alu instid0(VALU_DEP_1)
	v_div_fixup_f32 v0, v0, v6, v5
	global_store_b32 v[1:2], v0, off
.LBB50_6:
	s_nop 0
	s_sendmsg sendmsg(MSG_DEALLOC_VGPRS)
	s_endpgm
	.section	.rodata,"a",@progbits
	.p2align	6, 0x0
	.amdhsa_kernel _ZL33flash_attn_stream_k_fixup_uniformILi128ELi1ELi2EEvPfPK15HIP_vector_typeIfLj2EEiiiiiiS1_IjLj3EES5_S5_
		.amdhsa_group_segment_fixed_size 0
		.amdhsa_private_segment_fixed_size 0
		.amdhsa_kernarg_size 76
		.amdhsa_user_sgpr_count 13
		.amdhsa_user_sgpr_dispatch_ptr 0
		.amdhsa_user_sgpr_queue_ptr 0
		.amdhsa_user_sgpr_kernarg_segment_ptr 1
		.amdhsa_user_sgpr_dispatch_id 0
		.amdhsa_user_sgpr_private_segment_size 0
		.amdhsa_wavefront_size32 1
		.amdhsa_uses_dynamic_stack 0
		.amdhsa_enable_private_segment 0
		.amdhsa_system_sgpr_workgroup_id_x 1
		.amdhsa_system_sgpr_workgroup_id_y 1
		.amdhsa_system_sgpr_workgroup_id_z 1
		.amdhsa_system_sgpr_workgroup_info 0
		.amdhsa_system_vgpr_workitem_id 0
		.amdhsa_next_free_vgpr 15
		.amdhsa_next_free_sgpr 20
		.amdhsa_reserve_vcc 1
		.amdhsa_float_round_mode_32 0
		.amdhsa_float_round_mode_16_64 0
		.amdhsa_float_denorm_mode_32 3
		.amdhsa_float_denorm_mode_16_64 3
		.amdhsa_dx10_clamp 1
		.amdhsa_ieee_mode 1
		.amdhsa_fp16_overflow 0
		.amdhsa_workgroup_processor_mode 1
		.amdhsa_memory_ordered 1
		.amdhsa_forward_progress 0
		.amdhsa_shared_vgpr_count 0
		.amdhsa_exception_fp_ieee_invalid_op 0
		.amdhsa_exception_fp_denorm_src 0
		.amdhsa_exception_fp_ieee_div_zero 0
		.amdhsa_exception_fp_ieee_overflow 0
		.amdhsa_exception_fp_ieee_underflow 0
		.amdhsa_exception_fp_ieee_inexact 0
		.amdhsa_exception_int_div_zero 0
	.end_amdhsa_kernel
	.section	.text._ZL33flash_attn_stream_k_fixup_uniformILi128ELi1ELi2EEvPfPK15HIP_vector_typeIfLj2EEiiiiiiS1_IjLj3EES5_S5_,"axG",@progbits,_ZL33flash_attn_stream_k_fixup_uniformILi128ELi1ELi2EEvPfPK15HIP_vector_typeIfLj2EEiiiiiiS1_IjLj3EES5_S5_,comdat
.Lfunc_end50:
	.size	_ZL33flash_attn_stream_k_fixup_uniformILi128ELi1ELi2EEvPfPK15HIP_vector_typeIfLj2EEiiiiiiS1_IjLj3EES5_S5_, .Lfunc_end50-_ZL33flash_attn_stream_k_fixup_uniformILi128ELi1ELi2EEvPfPK15HIP_vector_typeIfLj2EEiiiiiiS1_IjLj3EES5_S5_
                                        ; -- End function
	.section	.AMDGPU.csdata,"",@progbits
; Kernel info:
; codeLenInByte = 968
; NumSgprs: 22
; NumVgprs: 15
; ScratchSize: 0
; MemoryBound: 0
; FloatMode: 240
; IeeeMode: 1
; LDSByteSize: 0 bytes/workgroup (compile time only)
; SGPRBlocks: 2
; VGPRBlocks: 1
; NumSGPRsForWavesPerEU: 22
; NumVGPRsForWavesPerEU: 15
; Occupancy: 16
; WaveLimiterHint : 0
; COMPUTE_PGM_RSRC2:SCRATCH_EN: 0
; COMPUTE_PGM_RSRC2:USER_SGPR: 13
; COMPUTE_PGM_RSRC2:TRAP_HANDLER: 0
; COMPUTE_PGM_RSRC2:TGID_X_EN: 1
; COMPUTE_PGM_RSRC2:TGID_Y_EN: 1
; COMPUTE_PGM_RSRC2:TGID_Z_EN: 1
; COMPUTE_PGM_RSRC2:TIDIG_COMP_CNT: 0
	.section	.text._ZL33flash_attn_stream_k_fixup_generalILi128ELi1ELi2EEvPfPK15HIP_vector_typeIfLj2EEiiiiS1_IjLj3EES5_S5_S5_,"axG",@progbits,_ZL33flash_attn_stream_k_fixup_generalILi128ELi1ELi2EEvPfPK15HIP_vector_typeIfLj2EEiiiiS1_IjLj3EES5_S5_S5_,comdat
	.globl	_ZL33flash_attn_stream_k_fixup_generalILi128ELi1ELi2EEvPfPK15HIP_vector_typeIfLj2EEiiiiS1_IjLj3EES5_S5_S5_ ; -- Begin function _ZL33flash_attn_stream_k_fixup_generalILi128ELi1ELi2EEvPfPK15HIP_vector_typeIfLj2EEiiiiS1_IjLj3EES5_S5_S5_
	.p2align	8
	.type	_ZL33flash_attn_stream_k_fixup_generalILi128ELi1ELi2EEvPfPK15HIP_vector_typeIfLj2EEiiiiS1_IjLj3EES5_S5_S5_,@function
_ZL33flash_attn_stream_k_fixup_generalILi128ELi1ELi2EEvPfPK15HIP_vector_typeIfLj2EEiiiiS1_IjLj3EES5_S5_S5_: ; @_ZL33flash_attn_stream_k_fixup_generalILi128ELi1ELi2EEvPfPK15HIP_vector_typeIfLj2EEiiiiS1_IjLj3EES5_S5_S5_
; %bb.0:
	s_clause 0x1
	s_load_b128 s[4:7], s[0:1], 0x10
	s_load_b32 s20, s[0:1], 0x50
	s_mov_b32 s2, 0
	s_waitcnt lgkmcnt(0)
	s_mul_hi_i32 s3, s7, s13
	s_mul_i32 s12, s7, s13
	s_cmp_lg_u64 s[2:3], 0
	s_cbranch_scc0 .LBB51_21
; %bb.1:
	v_cvt_f32_ubyte0_e32 v1, 0
	v_cvt_f32_u32_e32 v2, s20
	s_sub_u32 s10, 0, s20
	s_subb_u32 s11, 0, 0
	s_delay_alu instid0(VALU_DEP_1) | instskip(NEXT) | instid1(VALU_DEP_1)
	v_fmamk_f32 v1, v1, 0x4f800000, v2
	v_rcp_f32_e32 v1, v1
	s_waitcnt_depctr 0xfff
	v_mul_f32_e32 v1, 0x5f7ffffc, v1
	s_delay_alu instid0(VALU_DEP_1) | instskip(NEXT) | instid1(VALU_DEP_1)
	v_mul_f32_e32 v2, 0x2f800000, v1
	v_trunc_f32_e32 v2, v2
	s_delay_alu instid0(VALU_DEP_1) | instskip(SKIP_1) | instid1(VALU_DEP_2)
	v_fmamk_f32 v1, v2, 0xcf800000, v1
	v_cvt_u32_f32_e32 v2, v2
	v_cvt_u32_f32_e32 v1, v1
	s_delay_alu instid0(VALU_DEP_2) | instskip(NEXT) | instid1(VALU_DEP_2)
	v_readfirstlane_b32 s8, v2
	v_readfirstlane_b32 s9, v1
	s_delay_alu instid0(VALU_DEP_2) | instskip(NEXT) | instid1(VALU_DEP_1)
	s_mul_i32 s16, s10, s8
	s_mul_hi_u32 s18, s10, s9
	s_mul_i32 s17, s11, s9
	s_add_i32 s16, s18, s16
	s_mul_i32 s19, s10, s9
	s_add_i32 s16, s16, s17
	s_mul_hi_u32 s18, s9, s19
	s_mul_hi_u32 s21, s8, s19
	s_mul_i32 s17, s8, s19
	s_mul_hi_u32 s19, s9, s16
	s_mul_i32 s9, s9, s16
	s_mul_hi_u32 s22, s8, s16
	s_add_u32 s9, s18, s9
	s_addc_u32 s18, 0, s19
	s_add_u32 s9, s9, s17
	s_mul_i32 s16, s8, s16
	s_addc_u32 s9, s18, s21
	s_addc_u32 s17, s22, 0
	s_add_u32 s9, s9, s16
	s_addc_u32 s16, 0, s17
	v_add_co_u32 v1, s9, v1, s9
	s_delay_alu instid0(VALU_DEP_1) | instskip(SKIP_1) | instid1(VALU_DEP_1)
	s_cmp_lg_u32 s9, 0
	s_addc_u32 s8, s8, s16
	v_readfirstlane_b32 s9, v1
	s_mul_i32 s16, s10, s8
	s_delay_alu instid0(VALU_DEP_1)
	s_mul_hi_u32 s17, s10, s9
	s_mul_i32 s11, s11, s9
	s_add_i32 s16, s17, s16
	s_mul_i32 s10, s10, s9
	s_add_i32 s16, s16, s11
	s_mul_hi_u32 s17, s8, s10
	s_mul_i32 s18, s8, s10
	s_mul_hi_u32 s10, s9, s10
	s_mul_hi_u32 s19, s9, s16
	s_mul_i32 s9, s9, s16
	s_mul_hi_u32 s11, s8, s16
	s_add_u32 s9, s10, s9
	s_addc_u32 s10, 0, s19
	s_add_u32 s9, s9, s18
	s_mul_i32 s16, s8, s16
	s_addc_u32 s9, s10, s17
	s_addc_u32 s10, s11, 0
	s_add_u32 s9, s9, s16
	s_addc_u32 s10, 0, s10
	v_add_co_u32 v1, s9, v1, s9
	s_delay_alu instid0(VALU_DEP_1) | instskip(SKIP_2) | instid1(SALU_CYCLE_1)
	s_cmp_lg_u32 s9, 0
	s_addc_u32 s16, s8, s10
	s_ashr_i32 s8, s3, 31
	s_add_u32 s10, s12, s8
	s_addc_u32 s11, s3, s8
	v_readfirstlane_b32 s3, v1
	s_mov_b32 s9, s8
	s_delay_alu instid0(SALU_CYCLE_1) | instskip(NEXT) | instid1(SALU_CYCLE_1)
	s_xor_b64 s[10:11], s[10:11], s[8:9]
	s_mul_i32 s18, s10, s16
	s_delay_alu instid0(VALU_DEP_1)
	s_mul_hi_u32 s19, s10, s3
	s_mul_hi_u32 s17, s10, s16
	;; [unrolled: 1-line block ×3, first 2 shown]
	s_mul_i32 s3, s11, s3
	s_add_u32 s18, s19, s18
	s_addc_u32 s17, 0, s17
	s_mul_hi_u32 s21, s11, s16
	s_add_u32 s3, s18, s3
	s_mul_i32 s16, s11, s16
	s_addc_u32 s3, s17, s22
	s_addc_u32 s17, s21, 0
	s_add_u32 s3, s3, s16
	s_addc_u32 s16, 0, s17
	s_mul_i32 s18, s20, s3
	s_add_u32 s17, s3, 1
	v_sub_co_u32 v1, s10, s10, s18
	s_mul_hi_u32 s18, s20, s3
	s_addc_u32 s19, s16, 0
	s_mul_i32 s21, s20, s16
	s_delay_alu instid0(VALU_DEP_1)
	v_sub_co_u32 v2, s22, v1, s20
	s_add_u32 s23, s3, 2
	s_addc_u32 s24, s16, 0
	s_add_i32 s18, s18, s21
	s_cmp_lg_u32 s10, 0
	v_readfirstlane_b32 s10, v2
	s_subb_u32 s11, s11, s18
	s_cmp_lg_u32 s22, 0
	s_subb_u32 s18, s11, 0
	s_delay_alu instid0(VALU_DEP_1) | instskip(SKIP_4) | instid1(SALU_CYCLE_1)
	s_cmp_ge_u32 s10, s20
	s_cselect_b32 s10, -1, 0
	s_cmp_eq_u32 s18, 0
	v_readfirstlane_b32 s18, v1
	s_cselect_b32 s10, s10, -1
	s_cmp_lg_u32 s10, 0
	s_cselect_b32 s10, s23, s17
	s_cselect_b32 s17, s24, s19
	s_cmp_ge_u32 s18, s20
	s_cselect_b32 s18, -1, 0
	s_cmp_eq_u32 s11, 0
	s_cselect_b32 s11, s18, -1
	s_delay_alu instid0(SALU_CYCLE_1) | instskip(SKIP_2) | instid1(SALU_CYCLE_1)
	s_cmp_lg_u32 s11, 0
	s_cselect_b32 s11, s17, s16
	s_cselect_b32 s10, s10, s3
	s_xor_b64 s[10:11], s[10:11], s[8:9]
	s_delay_alu instid0(SALU_CYCLE_1)
	s_sub_u32 s16, s10, s8
	s_load_b128 s[8:11], s[0:1], 0x44
	s_and_not1_b32 vcc_lo, exec_lo, s2
	s_cbranch_vccnz .LBB51_3
.LBB51_2:
	v_cvt_f32_u32_e32 v1, s20
	s_sub_i32 s3, 0, s20
	s_delay_alu instid0(VALU_DEP_1) | instskip(SKIP_2) | instid1(VALU_DEP_1)
	v_rcp_iflag_f32_e32 v1, v1
	s_waitcnt_depctr 0xfff
	v_mul_f32_e32 v1, 0x4f7ffffe, v1
	v_cvt_u32_f32_e32 v1, v1
	s_delay_alu instid0(VALU_DEP_1) | instskip(NEXT) | instid1(VALU_DEP_1)
	v_readfirstlane_b32 s2, v1
	s_mul_i32 s3, s3, s2
	s_delay_alu instid0(SALU_CYCLE_1) | instskip(NEXT) | instid1(SALU_CYCLE_1)
	s_mul_hi_u32 s3, s2, s3
	s_add_i32 s2, s2, s3
	s_delay_alu instid0(SALU_CYCLE_1) | instskip(NEXT) | instid1(SALU_CYCLE_1)
	s_mul_hi_u32 s2, s12, s2
	s_mul_i32 s3, s2, s20
	s_waitcnt lgkmcnt(0)
	s_add_i32 s11, s2, 1
	s_sub_i32 s3, s12, s3
	s_delay_alu instid0(SALU_CYCLE_1)
	s_sub_i32 s12, s3, s20
	s_cmp_ge_u32 s3, s20
	s_cselect_b32 s2, s11, s2
	s_cselect_b32 s3, s12, s3
	s_add_i32 s11, s2, 1
	s_cmp_ge_u32 s3, s20
	s_cselect_b32 s16, s11, s2
.LBB51_3:
	s_waitcnt lgkmcnt(0)
	s_add_i32 s11, s13, 1
	s_mov_b32 s2, 0
	s_mul_hi_i32 s3, s7, s11
	s_mul_i32 s11, s7, s11
	s_cmp_lg_u64 s[2:3], 0
	s_cbranch_scc0 .LBB51_22
; %bb.4:
	v_cvt_f32_ubyte0_e32 v1, 0
	v_cvt_f32_u32_e32 v2, s20
	s_sub_u32 s18, 0, s20
	s_subb_u32 s19, 0, 0
	s_delay_alu instid0(VALU_DEP_1) | instskip(NEXT) | instid1(VALU_DEP_1)
	v_fmamk_f32 v1, v1, 0x4f800000, v2
	v_rcp_f32_e32 v1, v1
	s_waitcnt_depctr 0xfff
	v_mul_f32_e32 v1, 0x5f7ffffc, v1
	s_delay_alu instid0(VALU_DEP_1) | instskip(NEXT) | instid1(VALU_DEP_1)
	v_mul_f32_e32 v2, 0x2f800000, v1
	v_trunc_f32_e32 v2, v2
	s_delay_alu instid0(VALU_DEP_1) | instskip(SKIP_1) | instid1(VALU_DEP_2)
	v_fmamk_f32 v1, v2, 0xcf800000, v1
	v_cvt_u32_f32_e32 v2, v2
	v_cvt_u32_f32_e32 v1, v1
	s_delay_alu instid0(VALU_DEP_2) | instskip(NEXT) | instid1(VALU_DEP_2)
	v_readfirstlane_b32 s12, v2
	v_readfirstlane_b32 s17, v1
	s_delay_alu instid0(VALU_DEP_2) | instskip(NEXT) | instid1(VALU_DEP_1)
	s_mul_i32 s21, s18, s12
	s_mul_hi_u32 s23, s18, s17
	s_mul_i32 s22, s19, s17
	s_add_i32 s21, s23, s21
	s_mul_i32 s24, s18, s17
	s_add_i32 s21, s21, s22
	s_mul_hi_u32 s23, s17, s24
	s_mul_hi_u32 s25, s12, s24
	s_mul_i32 s22, s12, s24
	s_mul_hi_u32 s24, s17, s21
	s_mul_i32 s17, s17, s21
	s_mul_hi_u32 s26, s12, s21
	s_add_u32 s17, s23, s17
	s_addc_u32 s23, 0, s24
	s_add_u32 s17, s17, s22
	s_mul_i32 s21, s12, s21
	s_addc_u32 s17, s23, s25
	s_addc_u32 s22, s26, 0
	s_add_u32 s17, s17, s21
	s_addc_u32 s21, 0, s22
	v_add_co_u32 v1, s17, v1, s17
	s_delay_alu instid0(VALU_DEP_1) | instskip(SKIP_1) | instid1(VALU_DEP_1)
	s_cmp_lg_u32 s17, 0
	s_addc_u32 s12, s12, s21
	v_readfirstlane_b32 s17, v1
	s_mul_i32 s21, s18, s12
	s_delay_alu instid0(VALU_DEP_1)
	s_mul_hi_u32 s22, s18, s17
	s_mul_i32 s19, s19, s17
	s_add_i32 s21, s22, s21
	s_mul_i32 s18, s18, s17
	s_add_i32 s21, s21, s19
	s_mul_hi_u32 s22, s12, s18
	s_mul_i32 s23, s12, s18
	s_mul_hi_u32 s18, s17, s18
	s_mul_hi_u32 s24, s17, s21
	s_mul_i32 s17, s17, s21
	s_mul_hi_u32 s19, s12, s21
	s_add_u32 s17, s18, s17
	s_addc_u32 s18, 0, s24
	s_add_u32 s17, s17, s23
	s_mul_i32 s21, s12, s21
	s_addc_u32 s17, s18, s22
	s_addc_u32 s18, s19, 0
	s_add_u32 s17, s17, s21
	s_addc_u32 s18, 0, s18
	v_add_co_u32 v1, s17, v1, s17
	s_delay_alu instid0(VALU_DEP_1) | instskip(SKIP_2) | instid1(SALU_CYCLE_1)
	s_cmp_lg_u32 s17, 0
	s_addc_u32 s12, s12, s18
	s_ashr_i32 s18, s3, 31
	s_add_u32 s22, s11, s18
	s_addc_u32 s23, s3, s18
	v_readfirstlane_b32 s3, v1
	s_mov_b32 s19, s18
	s_delay_alu instid0(SALU_CYCLE_1) | instskip(NEXT) | instid1(SALU_CYCLE_1)
	s_xor_b64 s[22:23], s[22:23], s[18:19]
	s_mul_i32 s21, s22, s12
	s_delay_alu instid0(VALU_DEP_1)
	s_mul_hi_u32 s24, s22, s3
	s_mul_hi_u32 s17, s22, s12
	;; [unrolled: 1-line block ×3, first 2 shown]
	s_mul_i32 s3, s23, s3
	s_add_u32 s21, s24, s21
	s_addc_u32 s17, 0, s17
	s_mul_hi_u32 s25, s23, s12
	s_add_u32 s3, s21, s3
	s_mul_i32 s12, s23, s12
	s_addc_u32 s3, s17, s26
	s_addc_u32 s17, s25, 0
	s_add_u32 s3, s3, s12
	s_addc_u32 s12, 0, s17
	s_mul_i32 s21, s20, s3
	s_add_u32 s17, s3, 1
	v_sub_co_u32 v1, s21, s22, s21
	s_mul_hi_u32 s22, s20, s3
	s_addc_u32 s24, s12, 0
	s_mul_i32 s25, s20, s12
	s_delay_alu instid0(VALU_DEP_1)
	v_sub_co_u32 v2, s26, v1, s20
	s_add_u32 s27, s3, 2
	s_addc_u32 s28, s12, 0
	s_add_i32 s22, s22, s25
	s_cmp_lg_u32 s21, 0
	v_readfirstlane_b32 s21, v2
	s_subb_u32 s22, s23, s22
	s_cmp_lg_u32 s26, 0
	s_subb_u32 s23, s22, 0
	s_delay_alu instid0(VALU_DEP_1) | instskip(SKIP_4) | instid1(SALU_CYCLE_1)
	s_cmp_ge_u32 s21, s20
	s_cselect_b32 s21, -1, 0
	s_cmp_eq_u32 s23, 0
	v_readfirstlane_b32 s23, v1
	s_cselect_b32 s21, s21, -1
	s_cmp_lg_u32 s21, 0
	s_cselect_b32 s17, s27, s17
	s_cselect_b32 s21, s28, s24
	s_cmp_ge_u32 s23, s20
	s_cselect_b32 s23, -1, 0
	s_cmp_eq_u32 s22, 0
	s_cselect_b32 s22, s23, -1
	s_delay_alu instid0(SALU_CYCLE_1) | instskip(SKIP_2) | instid1(SALU_CYCLE_1)
	s_cmp_lg_u32 s22, 0
	s_cselect_b32 s23, s21, s12
	s_cselect_b32 s22, s17, s3
	s_xor_b64 s[22:23], s[22:23], s[18:19]
	s_delay_alu instid0(SALU_CYCLE_1)
	s_sub_u32 s18, s22, s18
	s_and_not1_b32 vcc_lo, exec_lo, s2
	s_cbranch_vccnz .LBB51_6
.LBB51_5:
	v_cvt_f32_u32_e32 v1, s20
	s_sub_i32 s3, 0, s20
	s_delay_alu instid0(VALU_DEP_1) | instskip(SKIP_2) | instid1(VALU_DEP_1)
	v_rcp_iflag_f32_e32 v1, v1
	s_waitcnt_depctr 0xfff
	v_mul_f32_e32 v1, 0x4f7ffffe, v1
	v_cvt_u32_f32_e32 v1, v1
	s_delay_alu instid0(VALU_DEP_1) | instskip(NEXT) | instid1(VALU_DEP_1)
	v_readfirstlane_b32 s2, v1
	s_mul_i32 s3, s3, s2
	s_delay_alu instid0(SALU_CYCLE_1) | instskip(NEXT) | instid1(SALU_CYCLE_1)
	s_mul_hi_u32 s3, s2, s3
	s_add_i32 s2, s2, s3
	s_delay_alu instid0(SALU_CYCLE_1) | instskip(NEXT) | instid1(SALU_CYCLE_1)
	s_mul_hi_u32 s2, s11, s2
	s_mul_i32 s3, s2, s20
	s_delay_alu instid0(SALU_CYCLE_1)
	s_sub_i32 s3, s11, s3
	s_add_i32 s11, s2, 1
	s_sub_i32 s12, s3, s20
	s_cmp_ge_u32 s3, s20
	s_cselect_b32 s2, s11, s2
	s_cselect_b32 s3, s12, s3
	s_add_i32 s11, s2, 1
	s_cmp_ge_u32 s3, s20
	s_cselect_b32 s18, s11, s2
.LBB51_6:
	s_delay_alu instid0(SALU_CYCLE_1) | instskip(SKIP_3) | instid1(SALU_CYCLE_1)
	s_cmp_eq_u32 s16, s18
	s_mul_hi_u32 s2, s16, s8
	s_cselect_b32 s3, -1, 0
	s_add_i32 s2, s2, s16
	s_lshr_b32 s11, s2, s9
	s_delay_alu instid0(SALU_CYCLE_1) | instskip(NEXT) | instid1(SALU_CYCLE_1)
	s_mul_i32 s2, s11, s10
	s_cmp_eq_u32 s2, s16
	s_mul_hi_u32 s2, s18, s8
	s_cselect_b32 s12, -1, 0
	s_add_i32 s2, s2, s18
	s_delay_alu instid0(SALU_CYCLE_1) | instskip(NEXT) | instid1(SALU_CYCLE_1)
	s_lshr_b32 s2, s2, s9
	s_cmp_eq_u32 s11, s2
	s_mul_i32 s2, s2, s10
	s_cselect_b32 s17, -1, 0
	s_cmp_lg_u32 s2, s18
	s_cselect_b32 s2, -1, 0
	s_or_b32 s3, s3, s12
	s_and_b32 s2, s17, s2
	s_delay_alu instid0(SALU_CYCLE_1) | instskip(NEXT) | instid1(SALU_CYCLE_1)
	s_or_b32 s2, s3, s2
	s_and_b32 vcc_lo, exec_lo, s2
	s_cbranch_vccnz .LBB51_24
; %bb.7:
	s_load_b256 s[24:31], s[0:1], 0x20
	s_waitcnt lgkmcnt(0)
	s_mul_hi_u32 s2, s16, s24
	s_delay_alu instid0(SALU_CYCLE_1) | instskip(NEXT) | instid1(SALU_CYCLE_1)
	s_add_i32 s2, s2, s16
	s_lshr_b32 s17, s2, s25
	s_load_b32 s2, s[0:1], 0x40
	s_mul_i32 s3, s17, s26
	s_delay_alu instid0(SALU_CYCLE_1) | instskip(NEXT) | instid1(SALU_CYCLE_1)
	s_sub_i32 s3, s16, s3
	s_mul_hi_u32 s12, s3, s27
	s_delay_alu instid0(SALU_CYCLE_1) | instskip(NEXT) | instid1(SALU_CYCLE_1)
	s_add_i32 s12, s3, s12
	s_lshr_b32 s18, s12, s28
	s_delay_alu instid0(SALU_CYCLE_1) | instskip(NEXT) | instid1(SALU_CYCLE_1)
	s_mul_i32 s12, s18, s29
	s_sub_i32 s3, s3, s12
	s_delay_alu instid0(SALU_CYCLE_1) | instskip(NEXT) | instid1(SALU_CYCLE_1)
	s_mul_hi_u32 s12, s3, s30
	s_add_i32 s12, s3, s12
	s_delay_alu instid0(SALU_CYCLE_1)
	s_lshr_b32 s12, s12, s31
	s_waitcnt lgkmcnt(0)
	s_mul_i32 s2, s12, s2
	s_lshl_b32 s21, s12, 1
	s_sub_i32 s2, s3, s2
	s_mov_b32 s12, 0
	s_mul_hi_u32 s3, s2, s8
	s_delay_alu instid0(SALU_CYCLE_1) | instskip(NEXT) | instid1(SALU_CYCLE_1)
	s_add_i32 s2, s2, s3
	s_lshr_b32 s19, s2, s9
	s_delay_alu instid0(SALU_CYCLE_1) | instskip(NEXT) | instid1(SALU_CYCLE_1)
	s_add_i32 s19, s19, s14
	s_cmp_lt_i32 s19, s4
	s_cselect_b32 s2, -1, 0
	s_add_i32 s21, s21, s15
	s_delay_alu instid0(SALU_CYCLE_1) | instskip(SKIP_1) | instid1(SALU_CYCLE_1)
	s_cmp_lt_i32 s21, s6
	s_cselect_b32 s3, -1, 0
	s_and_b32 s2, s2, s3
	s_delay_alu instid0(SALU_CYCLE_1)
	s_and_not1_b32 vcc_lo, exec_lo, s2
	s_cbranch_vccnz .LBB51_24
; %bb.8:
	s_load_b128 s[0:3], s[0:1], 0x0
	s_lshl_b32 s22, s20, 3
	s_mov_b32 s23, s12
	s_mul_i32 s4, s17, s4
	s_lshl_b64 s[22:23], s[22:23], 2
	s_mul_i32 s18, s18, s6
	v_cvt_f32_ubyte0_e32 v4, 0
	v_cvt_f32_u32_e32 v5, s20
	s_waitcnt lgkmcnt(0)
	s_add_u32 s6, s2, s22
	s_addc_u32 s17, s3, s23
	s_add_i32 s4, s19, s4
	s_add_i32 s18, s21, s18
	s_mul_i32 s4, s4, s5
	s_delay_alu instid0(SALU_CYCLE_1) | instskip(NEXT) | instid1(SALU_CYCLE_1)
	s_add_i32 s18, s18, s4
	v_lshl_or_b32 v1, s18, 7, v0
	v_lshl_or_b32 v0, s15, 7, v0
	s_delay_alu instid0(VALU_DEP_2) | instskip(NEXT) | instid1(VALU_DEP_1)
	v_ashrrev_i32_e32 v2, 31, v1
	v_lshlrev_b64 v[1:2], 2, v[1:2]
	s_delay_alu instid0(VALU_DEP_1) | instskip(NEXT) | instid1(VALU_DEP_2)
	v_add_co_u32 v1, vcc_lo, s0, v1
	v_add_co_ci_u32_e32 v2, vcc_lo, s1, v2, vcc_lo
	s_add_i32 s0, s14, s13
	s_delay_alu instid0(SALU_CYCLE_1) | instskip(SKIP_2) | instid1(SALU_CYCLE_1)
	s_lshl_b32 s0, s0, 1
	global_load_b32 v3, v[1:2], off
	s_add_i32 s0, s0, s15
	s_ashr_i32 s1, s0, 31
	s_delay_alu instid0(SALU_CYCLE_1) | instskip(NEXT) | instid1(SALU_CYCLE_1)
	s_lshl_b64 s[0:1], s[0:1], 3
	s_add_u32 s0, s2, s0
	s_addc_u32 s1, s3, s1
	s_add_i32 s19, s13, -1
	s_load_b64 s[0:1], s[0:1], 0x0
	v_fmac_f32_e32 v5, 0x4f800000, v4
	s_sub_i32 s18, 0, s20
	s_waitcnt lgkmcnt(0)
	v_mov_b32_e32 v8, s0
	s_delay_alu instid0(VALU_DEP_2) | instskip(SKIP_2) | instid1(VALU_DEP_2)
	v_rcp_f32_e32 v4, v5
	v_cvt_f32_u32_e32 v5, s20
	v_mov_b32_e32 v7, s1
	v_rcp_iflag_f32_e32 v5, v5
	s_waitcnt_depctr 0xfff
	v_mul_f32_e32 v4, 0x5f7ffffc, v4
	s_delay_alu instid0(VALU_DEP_1) | instskip(SKIP_1) | instid1(VALU_DEP_2)
	v_mul_f32_e32 v6, 0x2f800000, v4
	v_mul_f32_e32 v9, 0x4f7ffffe, v5
	v_trunc_f32_e32 v6, v6
	s_delay_alu instid0(VALU_DEP_1) | instskip(SKIP_1) | instid1(VALU_DEP_4)
	v_fmac_f32_e32 v4, 0xcf800000, v6
	v_cvt_u32_f32_e32 v5, v6
	v_cvt_u32_f32_e32 v6, v9
	s_delay_alu instid0(VALU_DEP_3)
	v_cvt_u32_f32_e32 v4, v4
.LBB51_9:                               ; =>This Inner Loop Header: Depth=1
	s_mul_hi_i32 s13, s19, s7
	s_mul_i32 s4, s19, s7
	s_cmp_lg_u64 s[12:13], 0
	s_mov_b32 s5, -1
                                        ; implicit-def: $sgpr0_sgpr1
	s_cbranch_scc0 .LBB51_11
; %bb.10:                               ;   in Loop: Header=BB51_9 Depth=1
	v_readfirstlane_b32 s0, v4
	v_readfirstlane_b32 s1, v5
	s_sub_u32 s5, 0, s20
	s_subb_u32 s21, 0, 0
	s_delay_alu instid0(VALU_DEP_2) | instskip(NEXT) | instid1(VALU_DEP_1)
	s_mul_hi_u32 s22, s5, s0
	s_mul_i32 s23, s5, s1
	s_mul_i32 s24, s21, s0
	s_add_i32 s22, s22, s23
	s_mul_i32 s23, s5, s0
	s_add_i32 s22, s22, s24
	s_mul_hi_u32 s24, s0, s23
	s_mul_i32 s25, s0, s22
	s_mul_hi_u32 s0, s0, s22
	s_add_u32 s24, s24, s25
	s_mul_i32 s26, s1, s23
	s_addc_u32 s0, 0, s0
	s_mul_hi_u32 s23, s1, s23
	s_mul_hi_u32 s25, s1, s22
	s_add_u32 s24, s24, s26
	s_addc_u32 s0, s0, s23
	s_mul_i32 s22, s1, s22
	s_addc_u32 s23, s25, 0
	s_add_u32 s0, s0, s22
	s_addc_u32 s22, 0, s23
	v_add_co_u32 v9, s0, v4, s0
	s_delay_alu instid0(VALU_DEP_1) | instskip(SKIP_1) | instid1(VALU_DEP_1)
	s_cmp_lg_u32 s0, 0
	s_addc_u32 s1, s1, s22
	v_readfirstlane_b32 s0, v9
	s_mul_i32 s22, s5, s1
	s_delay_alu instid0(VALU_DEP_1)
	s_mul_hi_u32 s23, s5, s0
	s_mul_i32 s21, s21, s0
	s_add_i32 s22, s23, s22
	s_mul_i32 s5, s5, s0
	s_add_i32 s22, s22, s21
	s_mul_hi_u32 s21, s1, s5
	s_mul_i32 s24, s1, s5
	s_mul_i32 s25, s0, s22
	s_mul_hi_u32 s5, s0, s5
	s_mul_hi_u32 s0, s0, s22
	s_add_u32 s5, s5, s25
	s_addc_u32 s0, 0, s0
	s_mul_hi_u32 s23, s1, s22
	s_add_u32 s5, s5, s24
	s_addc_u32 s0, s0, s21
	s_mul_i32 s5, s1, s22
	s_addc_u32 s21, s23, 0
	s_add_u32 s0, s0, s5
	s_addc_u32 s5, 0, s21
	v_add_co_u32 v9, s0, v9, s0
	s_delay_alu instid0(VALU_DEP_1) | instskip(SKIP_2) | instid1(SALU_CYCLE_1)
	s_cmp_lg_u32 s0, 0
	s_addc_u32 s5, s1, s5
	s_ashr_i32 s0, s13, 31
	s_add_u32 s22, s4, s0
	s_addc_u32 s23, s13, s0
	v_readfirstlane_b32 s13, v9
	s_mov_b32 s1, s0
	s_delay_alu instid0(SALU_CYCLE_1) | instskip(NEXT) | instid1(SALU_CYCLE_1)
	s_xor_b64 s[22:23], s[22:23], s[0:1]
	s_mul_i32 s21, s22, s5
	s_delay_alu instid0(VALU_DEP_1)
	s_mul_hi_u32 s24, s22, s13
	s_mul_hi_u32 s25, s22, s5
	s_add_u32 s21, s24, s21
	s_mul_i32 s26, s23, s13
	s_addc_u32 s24, 0, s25
	s_mul_hi_u32 s13, s23, s13
	s_mul_hi_u32 s25, s23, s5
	s_add_u32 s21, s21, s26
	s_addc_u32 s13, s24, s13
	s_mul_i32 s5, s23, s5
	s_addc_u32 s21, s25, 0
	s_add_u32 s5, s13, s5
	s_addc_u32 s13, 0, s21
	s_mul_i32 s24, s20, s5
	s_add_u32 s21, s5, 1
	v_sub_co_u32 v9, s22, s22, s24
	s_addc_u32 s24, s13, 0
	s_mul_i32 s26, s20, s13
	s_mul_hi_u32 s28, s20, s5
	s_delay_alu instid0(VALU_DEP_1)
	v_sub_co_u32 v10, s27, v9, s20
	s_add_u32 s25, s5, 2
	s_addc_u32 s29, s13, 0
	s_add_i32 s28, s28, s26
	s_cmp_lg_u32 s22, 0
	v_readfirstlane_b32 s22, v10
	s_subb_u32 s23, s23, s28
	s_cmp_lg_u32 s27, 0
	s_subb_u32 s26, s23, 0
	s_delay_alu instid0(VALU_DEP_1) | instskip(SKIP_4) | instid1(SALU_CYCLE_1)
	s_cmp_ge_u32 s22, s20
	s_cselect_b32 s22, -1, 0
	s_cmp_eq_u32 s26, 0
	v_readfirstlane_b32 s26, v9
	s_cselect_b32 s22, s22, -1
	s_cmp_lg_u32 s22, 0
	s_cselect_b32 s21, s25, s21
	s_cselect_b32 s22, s29, s24
	s_cmp_ge_u32 s26, s20
	s_cselect_b32 s24, -1, 0
	s_cmp_eq_u32 s23, 0
	s_cselect_b32 s23, s24, -1
	s_delay_alu instid0(SALU_CYCLE_1) | instskip(SKIP_4) | instid1(SALU_CYCLE_1)
	s_cmp_lg_u32 s23, 0
	s_cselect_b32 s23, s22, s13
	s_cselect_b32 s22, s21, s5
	s_mov_b32 s5, 0
	s_xor_b64 s[22:23], s[22:23], s[0:1]
	s_sub_u32 s0, s22, s0
.LBB51_11:                              ;   in Loop: Header=BB51_9 Depth=1
	s_and_not1_b32 vcc_lo, exec_lo, s5
	s_cbranch_vccnz .LBB51_13
; %bb.12:                               ;   in Loop: Header=BB51_9 Depth=1
	v_readfirstlane_b32 s0, v6
	s_delay_alu instid0(VALU_DEP_1) | instskip(NEXT) | instid1(SALU_CYCLE_1)
	s_mul_i32 s1, s18, s0
	s_mul_hi_u32 s1, s0, s1
	s_delay_alu instid0(SALU_CYCLE_1) | instskip(NEXT) | instid1(SALU_CYCLE_1)
	s_add_i32 s0, s0, s1
	s_mul_hi_u32 s0, s4, s0
	s_delay_alu instid0(SALU_CYCLE_1) | instskip(NEXT) | instid1(SALU_CYCLE_1)
	s_mul_i32 s1, s0, s20
	s_sub_i32 s1, s4, s1
	s_add_i32 s4, s0, 1
	s_sub_i32 s5, s1, s20
	s_cmp_ge_u32 s1, s20
	s_cselect_b32 s0, s4, s0
	s_cselect_b32 s1, s5, s1
	s_add_i32 s4, s0, 1
	s_cmp_ge_u32 s1, s20
	s_cselect_b32 s0, s4, s0
.LBB51_13:                              ;   in Loop: Header=BB51_9 Depth=1
	s_delay_alu instid0(SALU_CYCLE_1)
	s_cmp_lg_u32 s16, s0
	s_cbranch_scc0 .LBB51_17
; %bb.14:                               ;   in Loop: Header=BB51_9 Depth=1
	s_add_i32 s22, s19, s14
	s_mov_b32 s5, s12
	s_add_i32 s1, s22, s20
	s_mov_b32 s21, s16
	s_lshl_b32 s1, s1, 1
	s_delay_alu instid0(SALU_CYCLE_1) | instskip(SKIP_2) | instid1(SALU_CYCLE_1)
	s_add_i32 s4, s1, s15
	s_mul_hi_u32 s1, s0, s8
	s_lshl_b64 s[4:5], s[4:5], 3
	s_add_u32 s4, s2, s4
	s_addc_u32 s5, s3, s5
	s_add_i32 s1, s1, s0
	s_delay_alu instid0(SALU_CYCLE_1) | instskip(NEXT) | instid1(SALU_CYCLE_1)
	s_lshr_b32 s1, s1, s9
	s_mul_i32 s13, s1, s10
	s_delay_alu instid0(SALU_CYCLE_1) | instskip(SKIP_3) | instid1(SALU_CYCLE_1)
	s_cmp_eq_u32 s13, s0
	s_cselect_b32 s13, -1, 0
	s_cmp_lt_u32 s1, s11
	s_cselect_b32 s1, -1, 0
	s_or_b32 s1, s1, s13
	s_mov_b32 s13, -1
	s_and_b32 vcc_lo, exec_lo, s1
	s_mov_b32 s1, s19
	s_cbranch_vccnz .LBB51_16
; %bb.15:                               ;   in Loop: Header=BB51_9 Depth=1
	s_add_i32 s1, s19, -1
	s_mov_b32 s13, 0
	s_mov_b32 s21, s0
.LBB51_16:                              ;   in Loop: Header=BB51_9 Depth=1
	v_lshl_add_u32 v9, s22, 8, v0
	s_load_b64 s[4:5], s[4:5], 0x0
	s_delay_alu instid0(VALU_DEP_1) | instskip(NEXT) | instid1(VALU_DEP_1)
	v_ashrrev_i32_e32 v10, 31, v9
	v_lshlrev_b64 v[9:10], 2, v[9:10]
	s_delay_alu instid0(VALU_DEP_1) | instskip(NEXT) | instid1(VALU_DEP_2)
	v_add_co_u32 v9, vcc_lo, s6, v9
	v_add_co_ci_u32_e32 v10, vcc_lo, s17, v10, vcc_lo
	s_waitcnt lgkmcnt(0)
	v_max_f32_e64 v11, s4, s4
	global_load_b32 v10, v[9:10], off
	v_max_f32_e32 v9, v8, v8
	s_delay_alu instid0(VALU_DEP_1) | instskip(NEXT) | instid1(VALU_DEP_1)
	v_max_f32_e32 v9, v9, v11
	v_sub_f32_e32 v12, v8, v9
	s_delay_alu instid0(VALU_DEP_1) | instskip(NEXT) | instid1(VALU_DEP_1)
	v_dual_mul_f32 v14, 0x3fb8aa3b, v12 :: v_dual_sub_f32 v11, s4, v9
	v_rndne_f32_e32 v18, v14
	s_delay_alu instid0(VALU_DEP_2) | instskip(SKIP_2) | instid1(VALU_DEP_4)
	v_mul_f32_e32 v13, 0x3fb8aa3b, v11
	v_fma_f32 v17, 0x3fb8aa3b, v12, -v14
	v_cmp_ngt_f32_e32 vcc_lo, 0xc2ce8ed0, v11
	v_sub_f32_e32 v14, v14, v18
	s_delay_alu instid0(VALU_DEP_4) | instskip(SKIP_2) | instid1(VALU_DEP_3)
	v_fma_f32 v15, 0x3fb8aa3b, v11, -v13
	v_rndne_f32_e32 v16, v13
	v_fmac_f32_e32 v17, 0x32a5705f, v12
	v_fmac_f32_e32 v15, 0x32a5705f, v11
	s_delay_alu instid0(VALU_DEP_2) | instskip(NEXT) | instid1(VALU_DEP_1)
	v_dual_sub_f32 v13, v13, v16 :: v_dual_add_f32 v14, v14, v17
	v_add_f32_e32 v13, v13, v15
	s_delay_alu instid0(VALU_DEP_2) | instskip(SKIP_2) | instid1(VALU_DEP_3)
	v_exp_f32_e32 v14, v14
	v_cvt_i32_f32_e32 v15, v16
	v_cvt_i32_f32_e32 v16, v18
	v_exp_f32_e32 v13, v13
	s_waitcnt_depctr 0xfff
	v_ldexp_f32 v14, v14, v16
	v_ldexp_f32 v13, v13, v15
	s_delay_alu instid0(VALU_DEP_1) | instskip(SKIP_1) | instid1(VALU_DEP_4)
	v_cndmask_b32_e32 v13, 0, v13, vcc_lo
	v_cmp_ngt_f32_e32 vcc_lo, 0xc2ce8ed0, v12
	v_cndmask_b32_e32 v14, 0, v14, vcc_lo
	v_cmp_nlt_f32_e32 vcc_lo, 0x42b17218, v11
	s_delay_alu instid0(VALU_DEP_4) | instskip(SKIP_1) | instid1(VALU_DEP_4)
	v_cndmask_b32_e32 v13, 0x7f800000, v13, vcc_lo
	v_cmp_nlt_f32_e32 vcc_lo, 0x42b17218, v12
	v_cndmask_b32_e32 v14, 0x7f800000, v14, vcc_lo
	v_cmp_le_f32_e32 vcc_lo, 0xc1a00000, v11
	s_delay_alu instid0(VALU_DEP_4) | instskip(SKIP_1) | instid1(VALU_DEP_4)
	v_cndmask_b32_e32 v11, 0, v13, vcc_lo
	v_cmp_le_f32_e32 vcc_lo, 0xc1a00000, v12
	v_cndmask_b32_e32 v12, 0, v14, vcc_lo
	s_waitcnt vmcnt(0)
	s_delay_alu instid0(VALU_DEP_3) | instskip(NEXT) | instid1(VALU_DEP_1)
	v_mul_f32_e32 v10, v10, v11
	v_dual_mul_f32 v11, s5, v11 :: v_dual_fmac_f32 v10, v3, v12
	s_delay_alu instid0(VALU_DEP_1)
	v_fmac_f32_e32 v11, v7, v12
	s_cbranch_execz .LBB51_18
	s_branch .LBB51_19
.LBB51_17:                              ;   in Loop: Header=BB51_9 Depth=1
                                        ; implicit-def: $sgpr13
                                        ; implicit-def: $vgpr10
                                        ; implicit-def: $vgpr9
                                        ; implicit-def: $vgpr11
                                        ; implicit-def: $sgpr1
                                        ; implicit-def: $sgpr21
.LBB51_18:                              ;   in Loop: Header=BB51_9 Depth=1
	v_mov_b32_e32 v11, v7
	s_waitcnt vmcnt(0)
	v_dual_mov_b32 v9, v8 :: v_dual_mov_b32 v10, v3
	s_add_i32 s1, s19, -1
	s_mov_b32 s13, 0
	s_mov_b32 s21, s16
.LBB51_19:                              ;   in Loop: Header=BB51_9 Depth=1
	s_and_not1_b32 vcc_lo, exec_lo, s13
	s_cbranch_vccz .LBB51_23
; %bb.20:                               ;   in Loop: Header=BB51_9 Depth=1
	v_dual_mov_b32 v7, v11 :: v_dual_mov_b32 v8, v9
	s_waitcnt vmcnt(0)
	v_mov_b32_e32 v3, v10
	s_mov_b32 s16, s21
	s_mov_b32 s19, s1
	s_branch .LBB51_9
.LBB51_21:
                                        ; implicit-def: $sgpr16_sgpr17
	s_load_b128 s[8:11], s[0:1], 0x44
	s_branch .LBB51_2
.LBB51_22:
                                        ; implicit-def: $sgpr18_sgpr19
	s_branch .LBB51_5
.LBB51_23:
	v_div_scale_f32 v0, null, v11, v11, v10
	s_waitcnt vmcnt(0)
	s_delay_alu instid0(VALU_DEP_1) | instskip(SKIP_2) | instid1(VALU_DEP_1)
	v_rcp_f32_e32 v3, v0
	s_waitcnt_depctr 0xfff
	v_fma_f32 v4, -v0, v3, 1.0
	v_fmac_f32_e32 v3, v4, v3
	v_div_scale_f32 v4, vcc_lo, v10, v11, v10
	s_delay_alu instid0(VALU_DEP_1) | instskip(NEXT) | instid1(VALU_DEP_1)
	v_mul_f32_e32 v5, v4, v3
	v_fma_f32 v6, -v0, v5, v4
	s_delay_alu instid0(VALU_DEP_1) | instskip(NEXT) | instid1(VALU_DEP_1)
	v_fmac_f32_e32 v5, v6, v3
	v_fma_f32 v0, -v0, v5, v4
	s_delay_alu instid0(VALU_DEP_1) | instskip(NEXT) | instid1(VALU_DEP_1)
	v_div_fmas_f32 v0, v0, v3, v5
	v_div_fixup_f32 v0, v0, v11, v10
	global_store_b32 v[1:2], v0, off
.LBB51_24:
	s_nop 0
	s_sendmsg sendmsg(MSG_DEALLOC_VGPRS)
	s_endpgm
	.section	.rodata,"a",@progbits
	.p2align	6, 0x0
	.amdhsa_kernel _ZL33flash_attn_stream_k_fixup_generalILi128ELi1ELi2EEvPfPK15HIP_vector_typeIfLj2EEiiiiS1_IjLj3EES5_S5_S5_
		.amdhsa_group_segment_fixed_size 0
		.amdhsa_private_segment_fixed_size 0
		.amdhsa_kernarg_size 336
		.amdhsa_user_sgpr_count 13
		.amdhsa_user_sgpr_dispatch_ptr 0
		.amdhsa_user_sgpr_queue_ptr 0
		.amdhsa_user_sgpr_kernarg_segment_ptr 1
		.amdhsa_user_sgpr_dispatch_id 0
		.amdhsa_user_sgpr_private_segment_size 0
		.amdhsa_wavefront_size32 1
		.amdhsa_uses_dynamic_stack 0
		.amdhsa_enable_private_segment 0
		.amdhsa_system_sgpr_workgroup_id_x 1
		.amdhsa_system_sgpr_workgroup_id_y 1
		.amdhsa_system_sgpr_workgroup_id_z 1
		.amdhsa_system_sgpr_workgroup_info 0
		.amdhsa_system_vgpr_workitem_id 0
		.amdhsa_next_free_vgpr 19
		.amdhsa_next_free_sgpr 32
		.amdhsa_reserve_vcc 1
		.amdhsa_float_round_mode_32 0
		.amdhsa_float_round_mode_16_64 0
		.amdhsa_float_denorm_mode_32 3
		.amdhsa_float_denorm_mode_16_64 3
		.amdhsa_dx10_clamp 1
		.amdhsa_ieee_mode 1
		.amdhsa_fp16_overflow 0
		.amdhsa_workgroup_processor_mode 1
		.amdhsa_memory_ordered 1
		.amdhsa_forward_progress 0
		.amdhsa_shared_vgpr_count 0
		.amdhsa_exception_fp_ieee_invalid_op 0
		.amdhsa_exception_fp_denorm_src 0
		.amdhsa_exception_fp_ieee_div_zero 0
		.amdhsa_exception_fp_ieee_overflow 0
		.amdhsa_exception_fp_ieee_underflow 0
		.amdhsa_exception_fp_ieee_inexact 0
		.amdhsa_exception_int_div_zero 0
	.end_amdhsa_kernel
	.section	.text._ZL33flash_attn_stream_k_fixup_generalILi128ELi1ELi2EEvPfPK15HIP_vector_typeIfLj2EEiiiiS1_IjLj3EES5_S5_S5_,"axG",@progbits,_ZL33flash_attn_stream_k_fixup_generalILi128ELi1ELi2EEvPfPK15HIP_vector_typeIfLj2EEiiiiS1_IjLj3EES5_S5_S5_,comdat
.Lfunc_end51:
	.size	_ZL33flash_attn_stream_k_fixup_generalILi128ELi1ELi2EEvPfPK15HIP_vector_typeIfLj2EEiiiiS1_IjLj3EES5_S5_S5_, .Lfunc_end51-_ZL33flash_attn_stream_k_fixup_generalILi128ELi1ELi2EEvPfPK15HIP_vector_typeIfLj2EEiiiiS1_IjLj3EES5_S5_S5_
                                        ; -- End function
	.section	.AMDGPU.csdata,"",@progbits
; Kernel info:
; codeLenInByte = 3200
; NumSgprs: 34
; NumVgprs: 19
; ScratchSize: 0
; MemoryBound: 0
; FloatMode: 240
; IeeeMode: 1
; LDSByteSize: 0 bytes/workgroup (compile time only)
; SGPRBlocks: 4
; VGPRBlocks: 2
; NumSGPRsForWavesPerEU: 34
; NumVGPRsForWavesPerEU: 19
; Occupancy: 16
; WaveLimiterHint : 0
; COMPUTE_PGM_RSRC2:SCRATCH_EN: 0
; COMPUTE_PGM_RSRC2:USER_SGPR: 13
; COMPUTE_PGM_RSRC2:TRAP_HANDLER: 0
; COMPUTE_PGM_RSRC2:TGID_X_EN: 1
; COMPUTE_PGM_RSRC2:TGID_Y_EN: 1
; COMPUTE_PGM_RSRC2:TGID_Z_EN: 1
; COMPUTE_PGM_RSRC2:TIDIG_COMP_CNT: 0
	.section	.text._ZL15flash_attn_tileILi128ELi128ELi64ELi1ELb0EEvPKcS1_S1_S1_S1_PKiPfP15HIP_vector_typeIfLj2EEffffjfiS5_IjLj3EEiiiiiiiiiiiliiliiiiil,"axG",@progbits,_ZL15flash_attn_tileILi128ELi128ELi64ELi1ELb0EEvPKcS1_S1_S1_S1_PKiPfP15HIP_vector_typeIfLj2EEffffjfiS5_IjLj3EEiiiiiiiiiiiliiliiiiil,comdat
	.globl	_ZL15flash_attn_tileILi128ELi128ELi64ELi1ELb0EEvPKcS1_S1_S1_S1_PKiPfP15HIP_vector_typeIfLj2EEffffjfiS5_IjLj3EEiiiiiiiiiiiliiliiiiil ; -- Begin function _ZL15flash_attn_tileILi128ELi128ELi64ELi1ELb0EEvPKcS1_S1_S1_S1_PKiPfP15HIP_vector_typeIfLj2EEffffjfiS5_IjLj3EEiiiiiiiiiiiliiliiiiil
	.p2align	8
	.type	_ZL15flash_attn_tileILi128ELi128ELi64ELi1ELb0EEvPKcS1_S1_S1_S1_PKiPfP15HIP_vector_typeIfLj2EEffffjfiS5_IjLj3EEiiiiiiiiiiiliiliiiiil,@function
_ZL15flash_attn_tileILi128ELi128ELi64ELi1ELb0EEvPKcS1_S1_S1_S1_PKiPfP15HIP_vector_typeIfLj2EEffffjfiS5_IjLj3EEiiiiiiiiiiiliiliiiiil: ; @_ZL15flash_attn_tileILi128ELi128ELi64ELi1ELb0EEvPKcS1_S1_S1_S1_PKiPfP15HIP_vector_typeIfLj2EEffffjfiS5_IjLj3EEiiiiiiiiiiiliiliiiiil
; %bb.0:
	s_clause 0x3
	s_load_b128 s[36:39], s[2:3], 0x5c
	s_load_b64 s[42:43], s[2:3], 0x80
	s_load_b512 s[16:31], s[2:3], 0x0
	s_load_b64 s[44:45], s[2:3], 0xb8
	s_mov_b64 s[40:41], 0
	s_waitcnt lgkmcnt(0)
	v_cvt_f32_u32_e32 v1, s39
	s_sub_i32 s5, 0, s39
	s_delay_alu instid0(VALU_DEP_1) | instskip(SKIP_2) | instid1(VALU_DEP_1)
	v_rcp_iflag_f32_e32 v1, v1
	s_waitcnt_depctr 0xfff
	v_mul_f32_e32 v1, 0x4f7ffffe, v1
	v_cvt_u32_f32_e32 v1, v1
	s_delay_alu instid0(VALU_DEP_1) | instskip(NEXT) | instid1(VALU_DEP_1)
	v_readfirstlane_b32 s4, v1
	s_mul_i32 s5, s5, s4
	s_delay_alu instid0(SALU_CYCLE_1) | instskip(NEXT) | instid1(SALU_CYCLE_1)
	s_mul_hi_u32 s5, s4, s5
	s_add_i32 s4, s4, s5
	s_delay_alu instid0(SALU_CYCLE_1) | instskip(NEXT) | instid1(SALU_CYCLE_1)
	s_mul_hi_u32 s4, s15, s4
	s_mul_i32 s5, s4, s39
	s_add_i32 s6, s4, 1
	s_sub_i32 s5, s15, s5
	s_delay_alu instid0(SALU_CYCLE_1)
	s_sub_i32 s7, s5, s39
	s_cmp_ge_u32 s5, s39
	s_cselect_b32 s4, s6, s4
	s_cselect_b32 s5, s7, s5
	s_add_i32 s6, s4, 1
	s_cmp_ge_u32 s5, s39
	s_cselect_b32 s33, s6, s4
	s_abs_i32 s4, s43
	s_abs_i32 s8, s39
	v_cvt_f32_u32_e32 v1, s4
	s_sub_i32 s6, 0, s4
	s_mul_i32 s7, s33, s39
	s_delay_alu instid0(SALU_CYCLE_1) | instskip(NEXT) | instid1(VALU_DEP_1)
	s_sub_i32 s34, s15, s7
	v_rcp_iflag_f32_e32 v1, v1
	s_waitcnt_depctr 0xfff
	v_mul_f32_e32 v1, 0x4f7ffffe, v1
	s_delay_alu instid0(VALU_DEP_1) | instskip(NEXT) | instid1(VALU_DEP_1)
	v_cvt_u32_f32_e32 v1, v1
	v_readfirstlane_b32 s5, v1
	s_delay_alu instid0(VALU_DEP_1) | instskip(NEXT) | instid1(SALU_CYCLE_1)
	s_mul_i32 s6, s6, s5
	s_mul_hi_u32 s6, s5, s6
	s_delay_alu instid0(SALU_CYCLE_1) | instskip(SKIP_4) | instid1(SALU_CYCLE_1)
	s_add_i32 s5, s5, s6
	s_xor_b32 s6, s39, s43
	s_mul_hi_u32 s5, s8, s5
	s_ashr_i32 s6, s6, 31
	s_mul_i32 s7, s5, s4
	s_sub_i32 s7, s8, s7
	s_add_i32 s8, s5, 1
	s_sub_i32 s9, s7, s4
	s_cmp_ge_u32 s7, s4
	s_cselect_b32 s5, s8, s5
	s_cselect_b32 s7, s9, s7
	s_add_i32 s8, s5, 1
	s_cmp_ge_u32 s7, s4
	s_cselect_b32 s4, s8, s5
	s_abs_i32 s43, s34
	s_xor_b32 s4, s4, s6
	s_delay_alu instid0(SALU_CYCLE_1) | instskip(NEXT) | instid1(SALU_CYCLE_1)
	s_sub_i32 s15, s4, s6
	s_abs_i32 s12, s15
	s_delay_alu instid0(SALU_CYCLE_1) | instskip(SKIP_1) | instid1(VALU_DEP_1)
	v_cvt_f32_u32_e32 v1, s12
	s_sub_i32 s5, 0, s12
	v_rcp_iflag_f32_e32 v1, v1
	s_waitcnt_depctr 0xfff
	v_mul_f32_e32 v1, 0x4f7ffffe, v1
	s_delay_alu instid0(VALU_DEP_1) | instskip(NEXT) | instid1(VALU_DEP_1)
	v_cvt_u32_f32_e32 v1, v1
	v_readfirstlane_b32 s4, v1
	s_delay_alu instid0(VALU_DEP_1) | instskip(NEXT) | instid1(SALU_CYCLE_1)
	s_mul_i32 s5, s5, s4
	s_mul_hi_u32 s5, s4, s5
	s_delay_alu instid0(SALU_CYCLE_1)
	s_add_i32 s4, s4, s5
	s_cmp_eq_u64 s[22:23], 0
	s_cbranch_scc1 .LBB52_2
; %bb.1:
	s_abs_i32 s5, s44
	s_abs_i32 s8, s33
	v_cvt_f32_u32_e32 v1, s5
	s_sub_i32 s7, 0, s5
	s_delay_alu instid0(VALU_DEP_1) | instskip(SKIP_2) | instid1(VALU_DEP_1)
	v_rcp_iflag_f32_e32 v1, v1
	s_waitcnt_depctr 0xfff
	v_mul_f32_e32 v1, 0x4f7ffffe, v1
	v_cvt_u32_f32_e32 v1, v1
	s_delay_alu instid0(VALU_DEP_1) | instskip(NEXT) | instid1(VALU_DEP_1)
	v_readfirstlane_b32 s6, v1
	s_mul_i32 s7, s7, s6
	s_delay_alu instid0(SALU_CYCLE_1) | instskip(NEXT) | instid1(SALU_CYCLE_1)
	s_mul_hi_u32 s7, s6, s7
	s_add_i32 s9, s6, s7
	s_load_b64 s[6:7], s[2:3], 0xc8
	s_mul_hi_u32 s9, s8, s9
	s_delay_alu instid0(SALU_CYCLE_1) | instskip(NEXT) | instid1(SALU_CYCLE_1)
	s_mul_i32 s9, s9, s5
	s_sub_i32 s8, s8, s9
	s_ashr_i32 s9, s33, 31
	s_sub_i32 s10, s8, s5
	s_cmp_ge_u32 s8, s5
	s_cselect_b32 s8, s10, s8
	s_delay_alu instid0(SALU_CYCLE_1) | instskip(SKIP_2) | instid1(SALU_CYCLE_1)
	s_sub_i32 s10, s8, s5
	s_cmp_ge_u32 s8, s5
	s_cselect_b32 s5, s10, s8
	s_xor_b32 s5, s5, s9
	s_delay_alu instid0(SALU_CYCLE_1)
	s_sub_i32 s5, s5, s9
	s_waitcnt lgkmcnt(0)
	s_mul_i32 s7, s5, s7
	s_mul_hi_u32 s8, s5, s6
	s_ashr_i32 s9, s5, 31
	s_add_i32 s7, s8, s7
	s_mul_i32 s9, s9, s6
	s_mul_i32 s5, s5, s6
	s_add_i32 s7, s7, s9
	s_add_u32 s40, s22, s5
	s_addc_u32 s41, s23, s7
.LBB52_2:
	s_clause 0x1
	s_load_b128 s[8:11], s[2:3], 0x40
	s_load_b32 s5, s[2:3], 0x50
	v_mov_b32_e32 v24, 1.0
	s_mul_hi_u32 s44, s43, s4
	s_waitcnt lgkmcnt(0)
	v_cmp_le_f32_e64 s6, s9, 0
	s_delay_alu instid0(VALU_DEP_1)
	s_and_b32 vcc_lo, exec_lo, s6
	s_cbranch_vccnz .LBB52_4
; %bb.3:
	s_sub_i32 s4, s34, s5
	s_add_i32 s6, s34, 1
	s_lshl_b32 s4, s4, 1
	v_mov_b32_e32 v1, s10
	s_or_b32 s4, s4, 1
	s_cmp_lt_u32 s34, s5
	s_cselect_b32 vcc_lo, -1, 0
	s_delay_alu instid0(VALU_DEP_1)
	v_cndmask_b32_e32 v3, s11, v1, vcc_lo
	s_and_b32 s5, vcc_lo, exec_lo
	s_cselect_b32 s4, s6, s4
	s_mov_b32 s5, 0x3e76c4e1
	v_cvt_f32_i32_e32 v1, s4
	v_cmp_neq_f32_e32 vcc_lo, 1.0, v3
	s_delay_alu instid0(VALU_DEP_2) | instskip(NEXT) | instid1(VALU_DEP_1)
	v_cndmask_b32_e32 v4, 1.0, v1, vcc_lo
	v_cmp_eq_f32_e32 vcc_lo, 0, v4
	v_cndmask_b32_e64 v5, |v3|, 1.0, vcc_lo
	s_delay_alu instid0(VALU_DEP_1) | instskip(NEXT) | instid1(VALU_DEP_1)
	v_frexp_mant_f32_e32 v1, v5
	v_cmp_gt_f32_e64 s4, 0x3f2aaaab, v1
	s_delay_alu instid0(VALU_DEP_1) | instskip(NEXT) | instid1(VALU_DEP_1)
	v_cndmask_b32_e64 v2, 1.0, 2.0, s4
	v_mul_f32_e32 v1, v1, v2
	s_delay_alu instid0(VALU_DEP_1) | instskip(SKIP_1) | instid1(VALU_DEP_2)
	v_add_f32_e32 v2, 1.0, v1
	v_add_f32_e32 v7, -1.0, v1
	v_rcp_f32_e32 v6, v2
	s_waitcnt_depctr 0xfff
	v_mul_f32_e32 v8, v7, v6
	s_delay_alu instid0(VALU_DEP_1) | instskip(NEXT) | instid1(VALU_DEP_1)
	v_dual_add_f32 v9, -1.0, v2 :: v_dual_mul_f32 v10, v2, v8
	v_sub_f32_e32 v1, v1, v9
	v_cndmask_b32_e64 v3, v3, 1.0, vcc_lo
	s_delay_alu instid0(VALU_DEP_3) | instskip(NEXT) | instid1(VALU_DEP_2)
	v_fma_f32 v2, v8, v2, -v10
	v_cmp_eq_f32_e64 s6, 0, v3
	s_delay_alu instid0(VALU_DEP_2) | instskip(NEXT) | instid1(VALU_DEP_1)
	v_fmac_f32_e32 v2, v8, v1
	v_add_f32_e32 v1, v10, v2
	s_delay_alu instid0(VALU_DEP_1) | instskip(NEXT) | instid1(VALU_DEP_1)
	v_dual_sub_f32 v10, v1, v10 :: v_dual_sub_f32 v9, v7, v1
	v_dual_sub_f32 v2, v10, v2 :: v_dual_sub_f32 v7, v7, v9
	s_delay_alu instid0(VALU_DEP_1) | instskip(NEXT) | instid1(VALU_DEP_1)
	v_sub_f32_e32 v1, v7, v1
	v_add_f32_e32 v1, v2, v1
	s_delay_alu instid0(VALU_DEP_1) | instskip(NEXT) | instid1(VALU_DEP_1)
	v_add_f32_e32 v1, v9, v1
	v_mul_f32_e32 v1, v6, v1
	s_delay_alu instid0(VALU_DEP_1) | instskip(NEXT) | instid1(VALU_DEP_1)
	v_add_f32_e32 v6, v8, v1
	v_sub_f32_e32 v2, v6, v8
	v_mul_f32_e32 v7, v6, v6
	s_delay_alu instid0(VALU_DEP_2) | instskip(NEXT) | instid1(VALU_DEP_2)
	v_sub_f32_e32 v8, v1, v2
	v_fma_f32 v9, v6, v6, -v7
	s_delay_alu instid0(VALU_DEP_2) | instskip(NEXT) | instid1(VALU_DEP_1)
	v_add_f32_e32 v1, v8, v8
	v_fmac_f32_e32 v9, v6, v1
	v_cvt_f64_f32_e32 v[1:2], v5
	s_delay_alu instid0(VALU_DEP_2) | instskip(NEXT) | instid1(VALU_DEP_1)
	v_add_f32_e32 v10, v7, v9
	v_fmaak_f32 v11, s5, v10, 0x3e91f4c4
	v_sub_f32_e32 v7, v10, v7
	v_mul_f32_e32 v14, v6, v10
	s_delay_alu instid0(VALU_DEP_3) | instskip(NEXT) | instid1(VALU_DEP_3)
	v_fmaak_f32 v11, v10, v11, 0x3ecccdef
	v_sub_f32_e32 v7, v9, v7
	s_delay_alu instid0(VALU_DEP_2) | instskip(NEXT) | instid1(VALU_DEP_1)
	v_mul_f32_e32 v12, v10, v11
	v_fma_f32 v9, v10, v11, -v12
	s_delay_alu instid0(VALU_DEP_1) | instskip(NEXT) | instid1(VALU_DEP_1)
	v_fmac_f32_e32 v9, v7, v11
	v_add_f32_e32 v11, v12, v9
	v_frexp_exp_i32_f64_e32 v1, v[1:2]
	s_delay_alu instid0(VALU_DEP_2) | instskip(NEXT) | instid1(VALU_DEP_1)
	v_sub_f32_e32 v12, v11, v12
	v_sub_f32_e32 v2, v9, v12
	v_fma_f32 v12, v10, v6, -v14
	s_delay_alu instid0(VALU_DEP_2) | instskip(NEXT) | instid1(VALU_DEP_2)
	v_add_f32_e32 v2, 0x31739010, v2
	v_dual_add_f32 v13, 0x3f2aaaaa, v11 :: v_dual_fmac_f32 v12, v10, v8
	v_ldexp_f32 v8, v8, 1
	s_delay_alu instid0(VALU_DEP_2) | instskip(NEXT) | instid1(VALU_DEP_1)
	v_dual_add_f32 v9, 0xbf2aaaaa, v13 :: v_dual_fmac_f32 v12, v7, v6
	v_sub_f32_e32 v9, v11, v9
	s_delay_alu instid0(VALU_DEP_1) | instskip(NEXT) | instid1(VALU_DEP_3)
	v_add_f32_e32 v2, v2, v9
	v_add_f32_e32 v9, v14, v12
	s_delay_alu instid0(VALU_DEP_2) | instskip(NEXT) | instid1(VALU_DEP_1)
	v_add_f32_e32 v7, v13, v2
	v_sub_f32_e32 v10, v13, v7
	s_delay_alu instid0(VALU_DEP_3) | instskip(SKIP_2) | instid1(VALU_DEP_4)
	v_mul_f32_e32 v11, v9, v7
	v_sub_f32_e32 v13, v9, v14
	v_subrev_co_ci_u32_e64 v1, s4, 0, v1, s4
	v_add_f32_e32 v2, v2, v10
	s_delay_alu instid0(VALU_DEP_4) | instskip(NEXT) | instid1(VALU_DEP_4)
	v_fma_f32 v10, v9, v7, -v11
	v_sub_f32_e32 v12, v12, v13
	s_delay_alu instid0(VALU_DEP_4) | instskip(NEXT) | instid1(VALU_DEP_3)
	v_cvt_f32_i32_e32 v1, v1
	v_fmac_f32_e32 v10, v9, v2
	v_ldexp_f32 v2, v6, 1
	s_delay_alu instid0(VALU_DEP_2) | instskip(NEXT) | instid1(VALU_DEP_1)
	v_fmac_f32_e32 v10, v12, v7
	v_add_f32_e32 v6, v11, v10
	s_delay_alu instid0(VALU_DEP_1) | instskip(NEXT) | instid1(VALU_DEP_1)
	v_add_f32_e32 v7, v2, v6
	v_dual_sub_f32 v2, v7, v2 :: v_dual_sub_f32 v9, v6, v11
	s_delay_alu instid0(VALU_DEP_1) | instskip(NEXT) | instid1(VALU_DEP_2)
	v_sub_f32_e32 v2, v6, v2
	v_sub_f32_e32 v9, v10, v9
	s_delay_alu instid0(VALU_DEP_1) | instskip(NEXT) | instid1(VALU_DEP_1)
	v_add_f32_e32 v6, v8, v9
	v_dual_mul_f32 v11, 0x3f317218, v1 :: v_dual_add_f32 v2, v6, v2
	s_delay_alu instid0(VALU_DEP_1) | instskip(NEXT) | instid1(VALU_DEP_2)
	v_fma_f32 v10, 0x3f317218, v1, -v11
	v_add_f32_e32 v8, v7, v2
	s_delay_alu instid0(VALU_DEP_1) | instskip(NEXT) | instid1(VALU_DEP_1)
	v_sub_f32_e32 v7, v8, v7
	v_dual_fmamk_f32 v1, v1, 0xb102e308, v10 :: v_dual_sub_f32 v2, v2, v7
	s_delay_alu instid0(VALU_DEP_1) | instskip(NEXT) | instid1(VALU_DEP_1)
	v_add_f32_e32 v6, v11, v1
	v_add_f32_e32 v9, v6, v8
	s_delay_alu instid0(VALU_DEP_1) | instskip(NEXT) | instid1(VALU_DEP_1)
	v_dual_sub_f32 v11, v6, v11 :: v_dual_sub_f32 v10, v9, v6
	v_sub_f32_e32 v12, v9, v10
	s_delay_alu instid0(VALU_DEP_2) | instskip(NEXT) | instid1(VALU_DEP_2)
	v_sub_f32_e32 v1, v1, v11
	v_dual_sub_f32 v7, v8, v10 :: v_dual_sub_f32 v6, v6, v12
	s_delay_alu instid0(VALU_DEP_2) | instskip(NEXT) | instid1(VALU_DEP_2)
	v_add_f32_e32 v8, v1, v2
	v_add_f32_e32 v6, v7, v6
	s_delay_alu instid0(VALU_DEP_1) | instskip(NEXT) | instid1(VALU_DEP_1)
	v_add_f32_e32 v6, v8, v6
	v_dual_sub_f32 v7, v8, v1 :: v_dual_add_f32 v10, v9, v6
	s_delay_alu instid0(VALU_DEP_1) | instskip(SKIP_1) | instid1(VALU_DEP_3)
	v_sub_f32_e32 v8, v8, v7
	v_sub_f32_e32 v2, v2, v7
	;; [unrolled: 1-line block ×3, first 2 shown]
	s_delay_alu instid0(VALU_DEP_3) | instskip(NEXT) | instid1(VALU_DEP_1)
	v_sub_f32_e32 v1, v1, v8
	v_add_f32_e32 v1, v2, v1
	s_delay_alu instid0(VALU_DEP_3) | instskip(NEXT) | instid1(VALU_DEP_1)
	v_sub_f32_e32 v2, v6, v7
	v_add_f32_e32 v1, v1, v2
	s_delay_alu instid0(VALU_DEP_1) | instskip(NEXT) | instid1(VALU_DEP_1)
	v_add_f32_e32 v2, v10, v1
	v_mul_f32_e32 v7, v4, v2
	v_sub_f32_e32 v6, v2, v10
	s_delay_alu instid0(VALU_DEP_2) | instskip(NEXT) | instid1(VALU_DEP_2)
	v_fma_f32 v2, v4, v2, -v7
	v_sub_f32_e32 v1, v1, v6
	v_cmp_class_f32_e64 s4, v7, 0x204
	s_delay_alu instid0(VALU_DEP_2) | instskip(NEXT) | instid1(VALU_DEP_1)
	v_fmac_f32_e32 v2, v4, v1
	v_add_f32_e32 v1, v7, v2
	s_delay_alu instid0(VALU_DEP_1) | instskip(NEXT) | instid1(VALU_DEP_1)
	v_cndmask_b32_e64 v6, v1, v7, s4
	v_cmp_eq_f32_e64 s4, 0x42b17218, v6
	s_delay_alu instid0(VALU_DEP_1) | instskip(SKIP_1) | instid1(VALU_DEP_2)
	v_cndmask_b32_e64 v8, 0, 0x37000000, s4
	v_cmp_neq_f32_e64 s4, 0x7f800000, |v6|
	v_sub_f32_e32 v9, v6, v8
	v_trunc_f32_e32 v6, v4
	s_delay_alu instid0(VALU_DEP_2) | instskip(NEXT) | instid1(VALU_DEP_1)
	v_mul_f32_e32 v10, 0x3fb8aa3b, v9
	v_fma_f32 v11, 0x3fb8aa3b, v9, -v10
	v_rndne_f32_e32 v12, v10
	s_delay_alu instid0(VALU_DEP_1) | instskip(NEXT) | instid1(VALU_DEP_1)
	v_dual_fmamk_f32 v11, v9, 0x32a5705f, v11 :: v_dual_sub_f32 v10, v10, v12
	v_add_f32_e32 v10, v10, v11
	v_sub_f32_e32 v1, v1, v7
	v_cvt_i32_f32_e32 v7, v12
	s_delay_alu instid0(VALU_DEP_3) | instskip(NEXT) | instid1(VALU_DEP_2)
	v_exp_f32_e32 v10, v10
	v_sub_f32_e32 v1, v2, v1
	s_delay_alu instid0(VALU_DEP_1)
	v_cndmask_b32_e64 v1, 0, v1, s4
	v_cmp_ngt_f32_e64 s4, 0xc2ce8ed0, v9
	s_waitcnt_depctr 0xfff
	v_ldexp_f32 v2, v10, v7
	v_mul_f32_e32 v7, 0.5, v4
	v_add_f32_e32 v1, v8, v1
	s_delay_alu instid0(VALU_DEP_3) | instskip(NEXT) | instid1(VALU_DEP_3)
	v_cndmask_b32_e64 v2, 0, v2, s4
	v_trunc_f32_e32 v10, v7
	v_cmp_nlt_f32_e64 s4, 0x42b17218, v9
	s_delay_alu instid0(VALU_DEP_2) | instskip(NEXT) | instid1(VALU_DEP_2)
	v_cmp_neq_f32_e64 s5, v10, v7
	v_cndmask_b32_e64 v2, 0x7f800000, v2, s4
	v_cmp_eq_f32_e64 s4, v6, v4
	s_delay_alu instid0(VALU_DEP_2) | instskip(NEXT) | instid1(VALU_DEP_2)
	v_fma_f32 v1, v2, v1, v2
	s_and_b32 vcc_lo, s4, s5
	v_cmp_class_f32_e64 s5, v2, 0x204
	v_cndmask_b32_e32 v6, 1.0, v3, vcc_lo
	s_delay_alu instid0(VALU_DEP_2) | instskip(SKIP_1) | instid1(VALU_DEP_2)
	v_cndmask_b32_e64 v1, v1, v2, s5
	v_cmp_gt_f32_e64 s5, 0, v4
	v_bfi_b32 v1, 0x7fffffff, v1, v6
	s_delay_alu instid0(VALU_DEP_2)
	s_xor_b32 s5, s5, s6
	v_cndmask_b32_e32 v6, 0, v3, vcc_lo
	v_cndmask_b32_e64 v2, 0x7f800000, 0, s5
	v_cmp_eq_f32_e32 vcc_lo, 0x7f800000, v5
	v_cndmask_b32_e64 v4, 0x7fc00000, v1, s4
	v_cmp_gt_f32_e64 s4, 0, v3
	s_delay_alu instid0(VALU_DEP_4) | instskip(SKIP_1) | instid1(VALU_DEP_2)
	v_bfi_b32 v2, 0x7fffffff, v2, v6
	s_or_b32 vcc_lo, vcc_lo, s6
	v_cndmask_b32_e64 v1, v1, v4, s4
	s_delay_alu instid0(VALU_DEP_1) | instskip(SKIP_1) | instid1(VALU_DEP_2)
	v_cndmask_b32_e32 v1, v1, v2, vcc_lo
	v_cmp_o_f32_e32 vcc_lo, v3, v3
	v_cndmask_b32_e32 v24, 0x7fc00000, v1, vcc_lo
.LBB52_4:
	v_bfe_u32 v21, v0, 10, 10
	s_lshl_b32 s22, s13, 6
	s_load_b128 s[4:7], s[2:3], 0x70
	s_ashr_i32 s35, s34, 31
	s_ashr_i32 s46, s15, 31
	v_lshlrev_b32_e32 v25, 3, v21
	s_delay_alu instid0(VALU_DEP_1) | instskip(SKIP_2) | instid1(VALU_DEP_3)
	v_or_b32_e32 v37, 2, v25
	v_or_b32_e32 v39, 1, v25
	;; [unrolled: 1-line block ×3, first 2 shown]
	v_add_nc_u32_e32 v40, s22, v37
	s_delay_alu instid0(VALU_DEP_3) | instskip(NEXT) | instid1(VALU_DEP_3)
	v_add_nc_u32_e32 v42, s22, v39
	v_add_nc_u32_e32 v38, s22, v35
	s_delay_alu instid0(VALU_DEP_3) | instskip(NEXT) | instid1(VALU_DEP_3)
	v_mul_hi_u32 v3, v40, s36
	v_mul_hi_u32 v2, v42, s36
	s_waitcnt lgkmcnt(0)
	s_mul_i32 s6, s33, s6
	s_mul_i32 s5, s34, s5
	s_ashr_i32 s7, s6, 31
	s_add_u32 s6, s16, s6
	s_addc_u32 s7, s17, s7
	s_ashr_i32 s9, s5, 31
	v_add_nc_u32_e32 v3, v40, v3
	s_add_u32 s5, s6, s5
	s_addc_u32 s6, s7, s9
	s_ashr_i32 s7, s4, 31
	v_add_nc_u32_e32 v2, v42, v2
	v_lshrrev_b32_e32 v3, s37, v3
	v_alignbit_b32 v34, s7, s4, 2
	v_mul_hi_u32 v5, v38, s36
	s_lshr_b32 s4, s7, 2
	v_lshrrev_b32_e32 v2, s37, v2
	v_mul_lo_u32 v6, v3, s38
	s_cmp_eq_u64 s[26:27], 0
	s_delay_alu instid0(VALU_DEP_2) | instskip(NEXT) | instid1(VALU_DEP_4)
	v_mul_lo_u32 v4, v2, s38
	v_add_nc_u32_e32 v5, v38, v5
	s_delay_alu instid0(VALU_DEP_3) | instskip(NEXT) | instid1(VALU_DEP_2)
	v_sub_nc_u32_e32 v11, v40, v6
	v_lshrrev_b32_e32 v7, s37, v5
	s_delay_alu instid0(VALU_DEP_4) | instskip(NEXT) | instid1(VALU_DEP_3)
	v_sub_nc_u32_e32 v8, v42, v4
	v_mad_u64_u32 v[9:10], null, v34, v11, 0
	v_add_nc_u32_e32 v26, s22, v25
	s_delay_alu instid0(VALU_DEP_4) | instskip(NEXT) | instid1(VALU_DEP_4)
	v_mul_lo_u32 v14, v7, s38
	v_mad_u64_u32 v[3:4], null, v34, v8, 0
	s_delay_alu instid0(VALU_DEP_3) | instskip(NEXT) | instid1(VALU_DEP_3)
	v_mul_hi_u32 v1, v26, s36
	v_sub_nc_u32_e32 v16, v38, v14
	s_delay_alu instid0(VALU_DEP_2) | instskip(NEXT) | instid1(VALU_DEP_1)
	v_add_nc_u32_e32 v1, v26, v1
	v_lshrrev_b32_e32 v1, s37, v1
	s_delay_alu instid0(VALU_DEP_1) | instskip(NEXT) | instid1(VALU_DEP_1)
	v_mul_lo_u32 v1, v1, s38
	v_sub_nc_u32_e32 v70, v26, v1
	s_delay_alu instid0(VALU_DEP_1) | instskip(NEXT) | instid1(VALU_DEP_1)
	v_mad_u64_u32 v[1:2], null, v34, v70, 0
	v_mad_u64_u32 v[5:6], null, s4, v70, v[2:3]
	v_mov_b32_e32 v2, v4
	v_or_b32_e32 v33, 4, v25
	v_and_b32_e32 v41, 0x3ff, v0
	v_or_b32_e32 v30, 5, v25
	v_or_b32_e32 v29, 6, v25
	v_mad_u64_u32 v[6:7], null, s4, v8, v[2:3]
	v_mov_b32_e32 v2, v5
	v_add_nc_u32_e32 v36, s22, v33
	v_lshlrev_b32_e32 v13, 4, v41
	v_dual_mov_b32 v5, v10 :: v_dual_add_nc_u32 v32, s22, v30
	s_delay_alu instid0(VALU_DEP_4) | instskip(SKIP_3) | instid1(VALU_DEP_1)
	v_lshlrev_b64 v[1:2], 2, v[1:2]
	v_mov_b32_e32 v4, v6
	v_mul_hi_u32 v12, v36, s36
	v_add_co_u32 v52, s5, s5, v13
	v_add_co_ci_u32_e64 v53, null, s6, 0, s5
	s_delay_alu instid0(VALU_DEP_4) | instskip(SKIP_4) | instid1(VALU_DEP_3)
	v_lshlrev_b64 v[3:4], 2, v[3:4]
	v_mad_u64_u32 v[6:7], null, s4, v11, v[5:6]
	v_add_nc_u32_e32 v8, v36, v12
	v_add_co_u32 v1, vcc_lo, v52, v1
	v_mad_u64_u32 v[11:12], null, v34, v16, 0
	v_lshrrev_b32_e32 v5, s37, v8
	v_add_co_ci_u32_e32 v2, vcc_lo, v53, v2, vcc_lo
	v_add_co_u32 v7, vcc_lo, v52, v3
	v_mul_hi_u32 v14, v32, s36
	v_add_co_ci_u32_e32 v8, vcc_lo, v53, v4, vcc_lo
	v_mul_lo_u32 v4, v5, s38
	v_or_b32_e32 v27, 7, v25
	v_dual_mov_b32 v3, v12 :: v_dual_mov_b32 v10, v6
	v_lshlrev_b32_e32 v59, 6, v33
	v_add_nc_u32_e32 v6, v32, v14
	s_delay_alu instid0(VALU_DEP_4)
	v_add_nc_u32_e32 v28, s22, v27
	v_lshlrev_b32_e32 v60, 6, v30
	v_mad_u64_u32 v[14:15], null, s4, v16, v[3:4]
	v_add_nc_u32_e32 v31, s22, v29
	v_sub_nc_u32_e32 v18, v36, v4
	v_lshrrev_b32_e32 v3, s37, v6
	v_mul_hi_u32 v17, v28, s36
	v_lshlrev_b64 v[9:10], 2, v[9:10]
	v_mul_hi_u32 v5, v31, s36
	v_mad_u64_u32 v[15:16], null, v34, v18, 0
	v_mul_lo_u32 v19, v3, s38
	v_lshlrev_b32_e32 v61, 6, v29
	v_add_co_u32 v9, vcc_lo, v52, v9
	v_add_nc_u32_e32 v17, v28, v17
	v_add_nc_u32_e32 v12, v31, v5
	v_add_co_ci_u32_e32 v10, vcc_lo, v53, v10, vcc_lo
	v_sub_nc_u32_e32 v45, v32, v19
	s_delay_alu instid0(VALU_DEP_4) | instskip(NEXT) | instid1(VALU_DEP_4)
	v_lshrrev_b32_e32 v19, s37, v17
	v_lshrrev_b32_e32 v20, s37, v12
	v_mov_b32_e32 v12, v14
	v_mov_b32_e32 v14, v16
	s_clause 0x1
	global_load_b128 v[1:4], v[1:2], off
	global_load_b128 v[5:8], v[7:8], off
	v_lshlrev_b32_e32 v62, 6, v27
	v_mul_lo_u32 v20, v20, s38
	v_lshlrev_b64 v[11:12], 2, v[11:12]
	v_mad_u64_u32 v[16:17], null, s4, v18, v[14:15]
	v_mul_lo_u32 v14, v19, s38
	v_mad_u64_u32 v[17:18], null, v34, v45, 0
	s_mov_b32 s5, 0
	v_sub_nc_u32_e32 v48, v31, v20
	s_delay_alu instid0(VALU_DEP_3) | instskip(NEXT) | instid1(VALU_DEP_3)
	v_sub_nc_u32_e32 v49, v28, v14
	v_mov_b32_e32 v14, v18
	s_delay_alu instid0(VALU_DEP_3) | instskip(NEXT) | instid1(VALU_DEP_3)
	v_mad_u64_u32 v[19:20], null, v34, v48, 0
	v_mad_u64_u32 v[22:23], null, v34, v49, 0
	s_delay_alu instid0(VALU_DEP_3) | instskip(SKIP_1) | instid1(VALU_DEP_4)
	v_mad_u64_u32 v[43:44], null, s4, v45, v[14:15]
	v_add_co_u32 v44, vcc_lo, v52, v11
	v_mov_b32_e32 v14, v20
	v_add_co_ci_u32_e32 v45, vcc_lo, v53, v12, vcc_lo
	v_lshlrev_b64 v[11:12], 2, v[15:16]
	v_mov_b32_e32 v15, v23
	v_mov_b32_e32 v18, v43
	s_delay_alu instid0(VALU_DEP_2) | instskip(SKIP_1) | instid1(VALU_DEP_3)
	v_mad_u64_u32 v[46:47], null, s4, v48, v[14:15]
	v_mad_u64_u32 v[47:48], null, s4, v49, v[15:16]
	v_lshlrev_b64 v[50:51], 2, v[17:18]
	v_add_co_u32 v48, vcc_lo, v52, v11
	v_add_co_ci_u32_e32 v49, vcc_lo, v53, v12, vcc_lo
	s_delay_alu instid0(VALU_DEP_4) | instskip(NEXT) | instid1(VALU_DEP_4)
	v_dual_mov_b32 v20, v46 :: v_dual_mov_b32 v23, v47
	v_add_co_u32 v47, vcc_lo, v52, v50
	s_clause 0x2
	global_load_b128 v[9:12], v[9:10], off
	global_load_b128 v[14:17], v[44:45], off
	global_load_b128 v[43:46], v[48:49], off
	v_lshlrev_b64 v[18:19], 2, v[19:20]
	v_lshlrev_b64 v[22:23], 2, v[22:23]
	v_add_co_ci_u32_e32 v48, vcc_lo, v53, v51, vcc_lo
	v_lshlrev_b32_e32 v20, 3, v41
	s_delay_alu instid0(VALU_DEP_4)
	v_add_co_u32 v18, vcc_lo, v52, v18
	v_add_co_ci_u32_e32 v19, vcc_lo, v53, v19, vcc_lo
	v_add_co_u32 v22, vcc_lo, v52, v22
	v_add_co_ci_u32_e32 v23, vcc_lo, v53, v23, vcc_lo
	s_clause 0x2
	global_load_b128 v[47:50], v[47:48], off
	global_load_b128 v[51:54], v[18:19], off
	;; [unrolled: 1-line block ×3, first 2 shown]
	v_lshlrev_b32_e32 v23, 6, v35
	v_lshlrev_b32_e32 v22, 1, v41
	v_lshlrev_b32_e32 v18, 6, v39
	v_lshlrev_b32_e32 v19, 6, v37
	v_lshl_or_b32 v34, v21, 11, v20
	s_delay_alu instid0(VALU_DEP_4) | instskip(NEXT) | instid1(VALU_DEP_4)
	v_add_lshl_u32 v69, v23, v22, 2
	v_add_lshl_u32 v67, v18, v22, 2
	s_delay_alu instid0(VALU_DEP_4)
	v_add_lshl_u32 v68, v19, v22, 2
	v_add_lshl_u32 v71, v59, v22, 2
	v_add_lshl_u32 v72, v60, v22, 2
	v_add_lshl_u32 v73, v61, v22, 2
	v_add_lshl_u32 v74, v62, v22, 2
	s_waitcnt vmcnt(7)
	v_fma_mixlo_f16 v18, v1, s8, 0
	v_fma_mixlo_f16 v19, v3, s8, 0
	s_waitcnt vmcnt(6)
	v_fma_mixlo_f16 v1, v5, s8, 0
	s_delay_alu instid0(VALU_DEP_3) | instskip(SKIP_2) | instid1(VALU_DEP_4)
	v_fma_mixhi_f16 v18, v2, s8, 0
	v_fma_mixlo_f16 v2, v7, s8, 0
	v_fma_mixhi_f16 v19, v4, s8, 0
	v_fma_mixhi_f16 v1, v6, s8, 0
	s_delay_alu instid0(VALU_DEP_3)
	v_fma_mixhi_f16 v2, v8, s8, 0
	ds_store_b64 v34, v[18:19]
	s_waitcnt vmcnt(5)
	v_fma_mixlo_f16 v3, v9, s8, 0
	v_fma_mixlo_f16 v4, v11, s8, 0
	s_waitcnt vmcnt(4)
	v_fma_mixlo_f16 v22, v14, s8, 0
	v_fma_mixlo_f16 v23, v16, s8, 0
	;; [unrolled: 3-line block ×3, first 2 shown]
	v_fma_mixhi_f16 v4, v12, s8, 0
	v_fma_mixhi_f16 v3, v10, s8, 0
	;; [unrolled: 1-line block ×6, first 2 shown]
	s_waitcnt vmcnt(2)
	v_fma_mixlo_f16 v61, v47, s8, 0
	v_fma_mixlo_f16 v62, v49, s8, 0
	s_waitcnt vmcnt(1)
	v_fma_mixlo_f16 v63, v51, s8, 0
	v_fma_mixlo_f16 v64, v53, s8, 0
	;; [unrolled: 3-line block ×3, first 2 shown]
	v_fma_mixhi_f16 v62, v50, s8, 0
	v_fma_mixhi_f16 v61, v48, s8, 0
	;; [unrolled: 1-line block ×6, first 2 shown]
	ds_store_b64 v67, v[1:2]
	ds_store_b64 v68, v[3:4]
	;; [unrolled: 1-line block ×7, first 2 shown]
	s_waitcnt lgkmcnt(0)
	s_barrier
	buffer_gl0_inv
	s_cbranch_scc1 .LBB52_6
; %bb.5:
	s_load_b32 s4, s[2:3], 0xd0
	s_waitcnt lgkmcnt(0)
	s_mul_i32 s4, s4, s33
	s_delay_alu instid0(SALU_CYCLE_1) | instskip(NEXT) | instid1(SALU_CYCLE_1)
	s_add_i32 s4, s4, s13
	s_lshl_b64 s[4:5], s[4:5], 2
	s_delay_alu instid0(SALU_CYCLE_1)
	s_add_u32 s4, s26, s4
	s_addc_u32 s5, s27, s5
	s_load_b32 s42, s[4:5], 0x0
.LBB52_6:
	s_clause 0x1
	s_load_b64 s[26:27], s[2:3], 0x8c
	s_load_b128 s[8:11], s[2:3], 0x98
	s_ashr_i32 s13, s33, 31
	s_load_b64 s[48:49], s[2:3], 0xa8
	s_ashr_i32 s15, s45, 1
	s_mul_i32 s16, s44, s12
	v_dual_mov_b32 v57, 0 :: v_dual_lshlrev_b32 v34, 2, v41
	v_mov_b32_e32 v72, 0
	v_lshrrev_b32_e32 v18, 3, v41
	v_mul_u32_u24_e32 v76, 0x90, v41
	s_delay_alu instid0(VALU_DEP_4)
	v_and_b32_e32 v17, 28, v34
	v_lshlrev_b32_e32 v75, 11, v21
	v_or_b32_e32 v74, 1, v26
	v_or_b32_e32 v71, 2, v26
	;; [unrolled: 1-line block ×7, first 2 shown]
	s_waitcnt lgkmcnt(0)
	s_ashr_i32 s23, s26, 2
	s_ashr_i32 s17, s10, 2
	s_mul_i32 s9, s33, s9
	s_mul_hi_u32 s10, s33, s8
	s_mul_i32 s26, s13, s8
	s_add_i32 s9, s10, s9
	s_mul_i32 s8, s33, s8
	s_add_i32 s9, s9, s26
	s_add_u32 s10, s18, s8
	s_addc_u32 s19, s19, s9
	s_sub_i32 s9, s43, s16
	s_xor_b32 s18, s35, s46
	s_add_i32 s16, s44, 1
	s_sub_i32 s26, s9, s12
	s_cmp_ge_u32 s9, s12
	s_mul_i32 s13, s13, s48
	s_cselect_b32 s16, s16, s44
	s_cselect_b32 s9, s26, s9
	s_add_i32 s26, s16, 1
	s_cmp_ge_u32 s9, s12
	v_lshrrev_b32_e32 v23, 4, v41
	s_cselect_b32 s12, s26, s16
	s_mul_i32 s16, s33, s49
	s_xor_b32 s12, s12, s18
	s_mul_hi_u32 s26, s33, s48
	s_sub_i32 s12, s12, s18
	v_and_b32_e32 v22, 60, v34
	s_mul_i32 s18, s12, s27
	s_mul_i32 s27, s33, s48
	s_ashr_i32 s43, s18, 31
	s_add_u32 s18, s10, s18
	s_addc_u32 s19, s19, s43
	s_add_i32 s10, s26, s16
	s_mul_i32 s12, s12, s11
	s_add_i32 s10, s10, s13
	s_add_u32 s11, s20, s27
	s_addc_u32 s10, s21, s10
	s_ashr_i32 s13, s12, 31
	s_add_u32 s20, s11, s12
	v_mbcnt_lo_u32_b32 v19, -1, 0
	s_addc_u32 s21, s10, s13
	s_lshl_b32 s16, s14, 6
	s_sub_i32 s26, s42, 64
	s_mov_b32 s4, 0xfeffffff
	s_cmp_ge_i32 s16, s26
	s_cbranch_scc1 .LBB52_43
; %bb.7:
	v_mul_hi_u32 v1, s36, v74
	v_mul_hi_u32 v4, s36, v71
	;; [unrolled: 1-line block ×3, first 2 shown]
	v_lshl_add_u32 v2, v21, 2, v18
	v_dual_mov_b32 v44, 0 :: v_dual_lshlrev_b32 v3, 2, v17
	v_mov_b32_e32 v43, 0
	v_mul_hi_u32 v6, s36, v64
	v_dual_mov_b32 v46, 0 :: v_dual_add_nc_u32 v1, v74, v1
	s_delay_alu instid0(VALU_DEP_4) | instskip(SKIP_2) | instid1(VALU_DEP_4)
	v_mad_u32_u24 v3, 0x90, v2, v3
	v_mul_hi_u32 v7, s36, v61
	v_mul_hi_u32 v8, s36, v60
	v_lshrrev_b32_e32 v10, s37, v1
	v_mul_lo_u32 v1, s23, v2
	v_add_nc_u32_e32 v2, v71, v4
	v_dual_mov_b32 v105, 0xfeffffff :: v_dual_add_nc_u32 v4, v67, v5
	s_delay_alu instid0(VALU_DEP_4) | instskip(SKIP_1) | instid1(VALU_DEP_4)
	v_mul_lo_u32 v5, v10, s38
	v_mul_hi_u32 v9, s36, v59
	v_lshrrev_b32_e32 v10, s37, v2
	v_dual_mov_b32 v45, 0 :: v_dual_add_nc_u32 v6, v64, v6
	v_lshrrev_b32_e32 v11, s37, v4
	v_dual_mov_b32 v48, 0 :: v_dual_add_nc_u32 v7, v61, v7
	v_sub_nc_u32_e32 v5, v74, v5
	v_mul_lo_u32 v10, v10, s38
	s_delay_alu instid0(VALU_DEP_4) | instskip(NEXT) | instid1(VALU_DEP_4)
	v_mul_lo_u32 v11, v11, s38
	v_lshrrev_b32_e32 v7, s37, v7
	v_dual_mov_b32 v47, 0 :: v_dual_add_nc_u32 v78, 0x4000, v3
	v_mul_lo_u32 v80, v5, s15
	v_lshrrev_b32_e32 v5, s37, v6
	v_dual_mov_b32 v49, 0 :: v_dual_add_nc_u32 v6, v60, v8
	v_dual_mov_b32 v51, 0 :: v_dual_add_nc_u32 v8, v59, v9
	v_sub_nc_u32_e32 v9, v71, v10
	s_delay_alu instid0(VALU_DEP_4) | instskip(NEXT) | instid1(VALU_DEP_4)
	v_mul_lo_u32 v5, v5, s38
	v_lshrrev_b32_e32 v6, s37, v6
	s_delay_alu instid0(VALU_DEP_4)
	v_lshrrev_b32_e32 v8, s37, v8
	v_mul_lo_u32 v7, v7, s38
	v_sub_nc_u32_e32 v10, v67, v11
	v_mul_lo_u32 v81, v9, s15
	v_lshl_add_u32 v9, v21, 1, v23
	v_mul_lo_u32 v6, v6, s38
	v_mul_lo_u32 v8, v8, s38
	;; [unrolled: 1-line block ×3, first 2 shown]
	v_sub_nc_u32_e32 v10, v64, v5
	v_mul_lo_u32 v5, s17, v9
	v_sub_nc_u32_e32 v7, v61, v7
	v_dual_mov_b32 v50, 0 :: v_dual_add_nc_u32 v79, 0x5200, v3
	v_lshl_add_u32 v3, s23, 5, v1
	v_dual_mov_b32 v52, 0 :: v_dual_lshlrev_b32 v11, 2, v22
	v_sub_nc_u32_e32 v6, v60, v6
	v_sub_nc_u32_e32 v8, v59, v8
	v_mul_lo_u32 v84, v7, s15
	v_lshl_add_u32 v7, s17, 4, v5
	v_ashrrev_i32_e32 v2, 31, v1
	v_ashrrev_i32_e32 v4, 31, v3
	v_lshl_or_b32 v9, v9, 8, v11
	v_mul_lo_u32 v85, v6, s15
	v_mul_lo_u32 v86, v8, s15
	v_lshl_add_u32 v87, v21, 10, 0x6400
	v_ashrrev_i32_e32 v6, 31, v5
	v_ashrrev_i32_e32 v8, 31, v7
	v_mul_lo_u32 v77, v70, s15
	v_mul_lo_u32 v83, v10, s15
	s_cmp_lg_u64 s[40:41], 0
	v_dual_mov_b32 v53, 0 :: v_dual_add_nc_u32 v88, 0x4000, v9
	v_dual_mov_b32 v54, 0 :: v_dual_add_nc_u32 v89, 0x5000, v9
	v_lshlrev_b64 v[9:10], 2, v[1:2]
	v_lshlrev_b64 v[11:12], 2, v[3:4]
	v_dual_mov_b32 v55, 0 :: v_dual_add_nc_u32 v92, v87, v13
	v_lshlrev_b64 v[13:14], 2, v[5:6]
	v_lshlrev_b64 v[15:16], 2, v[7:8]
	v_lshl_or_b32 v90, v41, 3, 0x4000
	s_cselect_b32 s27, -1, 0
	s_add_u32 s12, s2, 0xd0
	v_dual_mov_b32 v56, 0 :: v_dual_lshlrev_b32 v91, 2, v17
	v_dual_mov_b32 v58, 0 :: v_dual_lshlrev_b32 v93, 2, v22
	v_mbcnt_lo_u32_b32 v94, -1, 0
	v_dual_mov_b32 v57, 0 :: v_dual_mov_b32 v106, 0xfeffffff
	v_dual_mov_b32 v103, 0xfeffffff :: v_dual_mov_b32 v102, 0xfeffffff
	;; [unrolled: 1-line block ×8, first 2 shown]
	s_addc_u32 s13, s3, 0
	s_add_u32 s43, s40, 64
	s_addc_u32 s44, s41, 0
.LBB52_8:                               ; =>This Inner Loop Header: Depth=1
	s_mul_hi_i32 s5, s16, s23
	s_mul_i32 s4, s16, s23
	v_dual_mov_b32 v112, 0 :: v_dual_mov_b32 v73, 0
	s_lshl_b64 s[4:5], s[4:5], 2
	v_dual_mov_b32 v110, 0 :: v_dual_mov_b32 v69, 0
	s_add_u32 s4, s18, s4
	s_addc_u32 s5, s19, s5
	v_add_co_u32 v1, vcc_lo, s4, v9
	v_add_co_ci_u32_e32 v2, vcc_lo, s5, v10, vcc_lo
	v_add_co_u32 v3, vcc_lo, s4, v11
	v_add_co_ci_u32_e32 v4, vcc_lo, s5, v12, vcc_lo
	s_delay_alu instid0(VALU_DEP_4) | instskip(NEXT) | instid1(VALU_DEP_4)
	v_add_co_u32 v1, vcc_lo, v1, v91
	v_add_co_ci_u32_e32 v2, vcc_lo, 0, v2, vcc_lo
	s_delay_alu instid0(VALU_DEP_4) | instskip(NEXT) | instid1(VALU_DEP_4)
	v_add_co_u32 v3, vcc_lo, v3, v91
	v_add_co_ci_u32_e32 v4, vcc_lo, 0, v4, vcc_lo
	s_clause 0x1
	global_load_b128 v[113:116], v[1:2], off
	global_load_b128 v[117:120], v[3:4], off
	v_dual_mov_b32 v108, 0 :: v_dual_mov_b32 v63, 0
	v_mov_b32_e32 v66, 0
	v_dual_mov_b32 v62, 0 :: v_dual_mov_b32 v111, 0
	v_dual_mov_b32 v107, 0 :: v_dual_mov_b32 v72, 0
	;; [unrolled: 1-line block ×3, first 2 shown]
	s_and_not1_b32 vcc_lo, exec_lo, s27
	s_waitcnt vmcnt(1)
	ds_store_b128 v78, v[113:116]
	s_waitcnt vmcnt(0)
	ds_store_b128 v79, v[117:120]
	s_waitcnt lgkmcnt(0)
	s_barrier
	buffer_gl0_inv
	ds_load_b128 v[115:118], v76 offset:16384
	ds_load_b128 v[119:122], v75
	ds_load_b128 v[123:126], v75 offset:256
	ds_load_b128 v[127:130], v75 offset:512
	;; [unrolled: 1-line block ×8, first 2 shown]
	v_dual_mov_b32 v113, 0 :: v_dual_mov_b32 v114, 0
	v_mov_b32_e32 v109, 0
	s_waitcnt lgkmcnt(8)
	;;#ASMSTART
	v_dot2_f32_f16 v112, v115, v119, v112
	;;#ASMEND
	;;#ASMSTART
	v_dot2_f32_f16 v112, v116, v120, v112
	;;#ASMEND
	;;#ASMSTART
	v_dot2_f32_f16 v112, v117, v121, v112
	;;#ASMEND
	;;#ASMSTART
	v_dot2_f32_f16 v112, v118, v122, v112
	;;#ASMEND
	s_waitcnt lgkmcnt(7)
	;;#ASMSTART
	v_dot2_f32_f16 v110, v115, v123, v110
	;;#ASMEND
	;;#ASMSTART
	v_dot2_f32_f16 v110, v116, v124, v110
	;;#ASMEND
	;;#ASMSTART
	v_dot2_f32_f16 v110, v117, v125, v110
	;;#ASMEND
	;;#ASMSTART
	v_dot2_f32_f16 v110, v118, v126, v110
	;;#ASMEND
	;; [unrolled: 13-line block ×8, first 2 shown]
	;;#ASMSTART
	v_dot2_f32_f16 v114, v135, v119, v114
	;;#ASMEND
	;;#ASMSTART
	v_dot2_f32_f16 v114, v136, v120, v114
	;;#ASMEND
	;; [unrolled: 3-line block ×32, first 2 shown]
	ds_load_b128 v[115:118], v76 offset:16400
	ds_load_b128 v[119:122], v75 offset:16
	;; [unrolled: 1-line block ×10, first 2 shown]
	s_waitcnt lgkmcnt(8)
	;;#ASMSTART
	v_dot2_f32_f16 v112, v115, v119, v112
	;;#ASMEND
	;;#ASMSTART
	v_dot2_f32_f16 v112, v116, v120, v112
	;;#ASMEND
	;;#ASMSTART
	v_dot2_f32_f16 v112, v117, v121, v112
	;;#ASMEND
	;;#ASMSTART
	v_dot2_f32_f16 v112, v118, v122, v112
	;;#ASMEND
	s_waitcnt lgkmcnt(7)
	;;#ASMSTART
	v_dot2_f32_f16 v110, v115, v123, v110
	;;#ASMEND
	;;#ASMSTART
	v_dot2_f32_f16 v110, v116, v124, v110
	;;#ASMEND
	;;#ASMSTART
	v_dot2_f32_f16 v110, v117, v125, v110
	;;#ASMEND
	;;#ASMSTART
	v_dot2_f32_f16 v110, v118, v126, v110
	;;#ASMEND
	s_waitcnt lgkmcnt(6)
	;;#ASMSTART
	v_dot2_f32_f16 v108, v115, v127, v108
	;;#ASMEND
	;;#ASMSTART
	v_dot2_f32_f16 v108, v116, v128, v108
	;;#ASMEND
	;;#ASMSTART
	v_dot2_f32_f16 v108, v117, v129, v108
	;;#ASMEND
	;;#ASMSTART
	v_dot2_f32_f16 v108, v118, v130, v108
	;;#ASMEND
	s_waitcnt lgkmcnt(5)
	;;#ASMSTART
	v_dot2_f32_f16 v73, v115, v131, v73
	;;#ASMEND
	;;#ASMSTART
	v_dot2_f32_f16 v73, v116, v132, v73
	;;#ASMEND
	;;#ASMSTART
	v_dot2_f32_f16 v73, v117, v133, v73
	;;#ASMEND
	;;#ASMSTART
	v_dot2_f32_f16 v73, v118, v134, v73
	;;#ASMEND
	s_waitcnt lgkmcnt(3)
	;;#ASMSTART
	v_dot2_f32_f16 v69, v115, v139, v69
	;;#ASMEND
	;;#ASMSTART
	v_dot2_f32_f16 v69, v116, v140, v69
	;;#ASMEND
	;;#ASMSTART
	v_dot2_f32_f16 v69, v117, v141, v69
	;;#ASMEND
	;;#ASMSTART
	v_dot2_f32_f16 v69, v118, v142, v69
	;;#ASMEND
	s_waitcnt lgkmcnt(2)
	;;#ASMSTART
	v_dot2_f32_f16 v66, v115, v143, v66
	;;#ASMEND
	;;#ASMSTART
	v_dot2_f32_f16 v66, v116, v144, v66
	;;#ASMEND
	;;#ASMSTART
	v_dot2_f32_f16 v66, v117, v145, v66
	;;#ASMEND
	;;#ASMSTART
	v_dot2_f32_f16 v66, v118, v146, v66
	;;#ASMEND
	s_waitcnt lgkmcnt(1)
	;;#ASMSTART
	v_dot2_f32_f16 v63, v115, v147, v63
	;;#ASMEND
	;;#ASMSTART
	v_dot2_f32_f16 v63, v116, v148, v63
	;;#ASMEND
	;;#ASMSTART
	v_dot2_f32_f16 v63, v117, v149, v63
	;;#ASMEND
	;;#ASMSTART
	v_dot2_f32_f16 v63, v118, v150, v63
	;;#ASMEND
	s_waitcnt lgkmcnt(0)
	;;#ASMSTART
	v_dot2_f32_f16 v62, v115, v151, v62
	;;#ASMEND
	;;#ASMSTART
	v_dot2_f32_f16 v62, v116, v152, v62
	;;#ASMEND
	;;#ASMSTART
	v_dot2_f32_f16 v62, v117, v153, v62
	;;#ASMEND
	;;#ASMSTART
	v_dot2_f32_f16 v62, v118, v154, v62
	;;#ASMEND
	;;#ASMSTART
	v_dot2_f32_f16 v114, v135, v119, v114
	;;#ASMEND
	;;#ASMSTART
	v_dot2_f32_f16 v114, v136, v120, v114
	;;#ASMEND
	;; [unrolled: 3-line block ×32, first 2 shown]
	ds_load_b128 v[115:118], v76 offset:16416
	ds_load_b128 v[119:122], v75 offset:32
	;; [unrolled: 1-line block ×10, first 2 shown]
	s_waitcnt lgkmcnt(8)
	;;#ASMSTART
	v_dot2_f32_f16 v112, v115, v119, v112
	;;#ASMEND
	;;#ASMSTART
	v_dot2_f32_f16 v112, v116, v120, v112
	;;#ASMEND
	;;#ASMSTART
	v_dot2_f32_f16 v112, v117, v121, v112
	;;#ASMEND
	;;#ASMSTART
	v_dot2_f32_f16 v112, v118, v122, v112
	;;#ASMEND
	s_waitcnt lgkmcnt(7)
	;;#ASMSTART
	v_dot2_f32_f16 v110, v115, v123, v110
	;;#ASMEND
	;;#ASMSTART
	v_dot2_f32_f16 v110, v116, v124, v110
	;;#ASMEND
	;;#ASMSTART
	v_dot2_f32_f16 v110, v117, v125, v110
	;;#ASMEND
	;;#ASMSTART
	v_dot2_f32_f16 v110, v118, v126, v110
	;;#ASMEND
	;; [unrolled: 13-line block ×8, first 2 shown]
	;;#ASMSTART
	v_dot2_f32_f16 v114, v135, v119, v114
	;;#ASMEND
	;;#ASMSTART
	v_dot2_f32_f16 v114, v136, v120, v114
	;;#ASMEND
	;; [unrolled: 3-line block ×32, first 2 shown]
	ds_load_b128 v[115:118], v76 offset:16432
	ds_load_b128 v[119:122], v75 offset:48
	ds_load_b128 v[123:126], v75 offset:304
	ds_load_b128 v[127:130], v75 offset:560
	ds_load_b128 v[131:134], v75 offset:816
	ds_load_b128 v[135:138], v76 offset:21040
	ds_load_b128 v[139:142], v75 offset:1072
	ds_load_b128 v[143:146], v75 offset:1328
	ds_load_b128 v[147:150], v75 offset:1584
	ds_load_b128 v[151:154], v75 offset:1840
	s_waitcnt lgkmcnt(8)
	;;#ASMSTART
	v_dot2_f32_f16 v112, v115, v119, v112
	;;#ASMEND
	;;#ASMSTART
	v_dot2_f32_f16 v112, v116, v120, v112
	;;#ASMEND
	;;#ASMSTART
	v_dot2_f32_f16 v112, v117, v121, v112
	;;#ASMEND
	;;#ASMSTART
	v_dot2_f32_f16 v112, v118, v122, v112
	;;#ASMEND
	s_waitcnt lgkmcnt(7)
	;;#ASMSTART
	v_dot2_f32_f16 v110, v115, v123, v110
	;;#ASMEND
	;;#ASMSTART
	v_dot2_f32_f16 v110, v116, v124, v110
	;;#ASMEND
	;;#ASMSTART
	v_dot2_f32_f16 v110, v117, v125, v110
	;;#ASMEND
	;;#ASMSTART
	v_dot2_f32_f16 v110, v118, v126, v110
	;;#ASMEND
	s_waitcnt lgkmcnt(6)
	;;#ASMSTART
	v_dot2_f32_f16 v108, v115, v127, v108
	;;#ASMEND
	;;#ASMSTART
	v_dot2_f32_f16 v108, v116, v128, v108
	;;#ASMEND
	;;#ASMSTART
	v_dot2_f32_f16 v108, v117, v129, v108
	;;#ASMEND
	;;#ASMSTART
	v_dot2_f32_f16 v108, v118, v130, v108
	;;#ASMEND
	s_waitcnt lgkmcnt(5)
	;;#ASMSTART
	v_dot2_f32_f16 v73, v115, v131, v73
	;;#ASMEND
	;;#ASMSTART
	v_dot2_f32_f16 v73, v116, v132, v73
	;;#ASMEND
	;;#ASMSTART
	v_dot2_f32_f16 v73, v117, v133, v73
	;;#ASMEND
	;;#ASMSTART
	v_dot2_f32_f16 v73, v118, v134, v73
	;;#ASMEND
	s_waitcnt lgkmcnt(3)
	;;#ASMSTART
	v_dot2_f32_f16 v69, v115, v139, v69
	;;#ASMEND
	;;#ASMSTART
	v_dot2_f32_f16 v69, v116, v140, v69
	;;#ASMEND
	;;#ASMSTART
	v_dot2_f32_f16 v69, v117, v141, v69
	;;#ASMEND
	;;#ASMSTART
	v_dot2_f32_f16 v69, v118, v142, v69
	;;#ASMEND
	s_waitcnt lgkmcnt(2)
	;;#ASMSTART
	v_dot2_f32_f16 v66, v115, v143, v66
	;;#ASMEND
	;;#ASMSTART
	v_dot2_f32_f16 v66, v116, v144, v66
	;;#ASMEND
	;;#ASMSTART
	v_dot2_f32_f16 v66, v117, v145, v66
	;;#ASMEND
	;;#ASMSTART
	v_dot2_f32_f16 v66, v118, v146, v66
	;;#ASMEND
	s_waitcnt lgkmcnt(1)
	;;#ASMSTART
	v_dot2_f32_f16 v63, v115, v147, v63
	;;#ASMEND
	;;#ASMSTART
	v_dot2_f32_f16 v63, v116, v148, v63
	;;#ASMEND
	;;#ASMSTART
	v_dot2_f32_f16 v63, v117, v149, v63
	;;#ASMEND
	;;#ASMSTART
	v_dot2_f32_f16 v63, v118, v150, v63
	;;#ASMEND
	s_waitcnt lgkmcnt(0)
	;;#ASMSTART
	v_dot2_f32_f16 v62, v115, v151, v62
	;;#ASMEND
	;;#ASMSTART
	v_dot2_f32_f16 v62, v116, v152, v62
	;;#ASMEND
	;;#ASMSTART
	v_dot2_f32_f16 v62, v117, v153, v62
	;;#ASMEND
	;;#ASMSTART
	v_dot2_f32_f16 v62, v118, v154, v62
	;;#ASMEND
	;;#ASMSTART
	v_dot2_f32_f16 v114, v135, v119, v114
	;;#ASMEND
	;;#ASMSTART
	v_dot2_f32_f16 v114, v136, v120, v114
	;;#ASMEND
	;;#ASMSTART
	v_dot2_f32_f16 v114, v137, v121, v114
	;;#ASMEND
	;;#ASMSTART
	v_dot2_f32_f16 v114, v138, v122, v114
	;;#ASMEND
	;;#ASMSTART
	v_dot2_f32_f16 v113, v135, v123, v113
	;;#ASMEND
	;;#ASMSTART
	v_dot2_f32_f16 v113, v136, v124, v113
	;;#ASMEND
	;;#ASMSTART
	v_dot2_f32_f16 v113, v137, v125, v113
	;;#ASMEND
	;;#ASMSTART
	v_dot2_f32_f16 v113, v138, v126, v113
	;;#ASMEND
	;;#ASMSTART
	v_dot2_f32_f16 v111, v135, v127, v111
	;;#ASMEND
	;;#ASMSTART
	v_dot2_f32_f16 v111, v136, v128, v111
	;;#ASMEND
	;;#ASMSTART
	v_dot2_f32_f16 v111, v137, v129, v111
	;;#ASMEND
	;;#ASMSTART
	v_dot2_f32_f16 v111, v138, v130, v111
	;;#ASMEND
	;;#ASMSTART
	v_dot2_f32_f16 v109, v135, v131, v109
	;;#ASMEND
	;;#ASMSTART
	v_dot2_f32_f16 v109, v136, v132, v109
	;;#ASMEND
	;;#ASMSTART
	v_dot2_f32_f16 v109, v137, v133, v109
	;;#ASMEND
	;;#ASMSTART
	v_dot2_f32_f16 v109, v138, v134, v109
	;;#ASMEND
	;;#ASMSTART
	v_dot2_f32_f16 v107, v135, v139, v107
	;;#ASMEND
	;;#ASMSTART
	v_dot2_f32_f16 v107, v136, v140, v107
	;;#ASMEND
	;;#ASMSTART
	v_dot2_f32_f16 v107, v137, v141, v107
	;;#ASMEND
	;;#ASMSTART
	v_dot2_f32_f16 v107, v138, v142, v107
	;;#ASMEND
	;;#ASMSTART
	v_dot2_f32_f16 v72, v135, v143, v72
	;;#ASMEND
	;;#ASMSTART
	v_dot2_f32_f16 v72, v136, v144, v72
	;;#ASMEND
	;;#ASMSTART
	v_dot2_f32_f16 v72, v137, v145, v72
	;;#ASMEND
	;;#ASMSTART
	v_dot2_f32_f16 v72, v138, v146, v72
	;;#ASMEND
	;;#ASMSTART
	v_dot2_f32_f16 v68, v135, v147, v68
	;;#ASMEND
	;;#ASMSTART
	v_dot2_f32_f16 v68, v136, v148, v68
	;;#ASMEND
	;;#ASMSTART
	v_dot2_f32_f16 v68, v137, v149, v68
	;;#ASMEND
	;;#ASMSTART
	v_dot2_f32_f16 v68, v138, v150, v68
	;;#ASMEND
	;;#ASMSTART
	v_dot2_f32_f16 v65, v135, v151, v65
	;;#ASMEND
	;;#ASMSTART
	v_dot2_f32_f16 v65, v136, v152, v65
	;;#ASMEND
	;;#ASMSTART
	v_dot2_f32_f16 v65, v137, v153, v65
	;;#ASMEND
	;;#ASMSTART
	v_dot2_f32_f16 v65, v138, v154, v65
	;;#ASMEND
	ds_load_b128 v[115:118], v76 offset:16448
	ds_load_b128 v[119:122], v75 offset:64
	;; [unrolled: 1-line block ×10, first 2 shown]
	s_waitcnt lgkmcnt(8)
	;;#ASMSTART
	v_dot2_f32_f16 v112, v115, v119, v112
	;;#ASMEND
	;;#ASMSTART
	v_dot2_f32_f16 v112, v116, v120, v112
	;;#ASMEND
	;;#ASMSTART
	v_dot2_f32_f16 v112, v117, v121, v112
	;;#ASMEND
	;;#ASMSTART
	v_dot2_f32_f16 v112, v118, v122, v112
	;;#ASMEND
	s_waitcnt lgkmcnt(7)
	;;#ASMSTART
	v_dot2_f32_f16 v110, v115, v123, v110
	;;#ASMEND
	;;#ASMSTART
	v_dot2_f32_f16 v110, v116, v124, v110
	;;#ASMEND
	;;#ASMSTART
	v_dot2_f32_f16 v110, v117, v125, v110
	;;#ASMEND
	;;#ASMSTART
	v_dot2_f32_f16 v110, v118, v126, v110
	;;#ASMEND
	;; [unrolled: 13-line block ×8, first 2 shown]
	;;#ASMSTART
	v_dot2_f32_f16 v114, v135, v119, v114
	;;#ASMEND
	;;#ASMSTART
	v_dot2_f32_f16 v114, v136, v120, v114
	;;#ASMEND
	;; [unrolled: 3-line block ×32, first 2 shown]
	ds_load_b128 v[115:118], v76 offset:16464
	ds_load_b128 v[119:122], v75 offset:80
	;; [unrolled: 1-line block ×10, first 2 shown]
	s_waitcnt lgkmcnt(8)
	;;#ASMSTART
	v_dot2_f32_f16 v112, v115, v119, v112
	;;#ASMEND
	;;#ASMSTART
	v_dot2_f32_f16 v112, v116, v120, v112
	;;#ASMEND
	;;#ASMSTART
	v_dot2_f32_f16 v112, v117, v121, v112
	;;#ASMEND
	;;#ASMSTART
	v_dot2_f32_f16 v112, v118, v122, v112
	;;#ASMEND
	s_waitcnt lgkmcnt(7)
	;;#ASMSTART
	v_dot2_f32_f16 v110, v115, v123, v110
	;;#ASMEND
	;;#ASMSTART
	v_dot2_f32_f16 v110, v116, v124, v110
	;;#ASMEND
	;;#ASMSTART
	v_dot2_f32_f16 v110, v117, v125, v110
	;;#ASMEND
	;;#ASMSTART
	v_dot2_f32_f16 v110, v118, v126, v110
	;;#ASMEND
	;; [unrolled: 13-line block ×8, first 2 shown]
	;;#ASMSTART
	v_dot2_f32_f16 v114, v135, v119, v114
	;;#ASMEND
	;;#ASMSTART
	v_dot2_f32_f16 v114, v136, v120, v114
	;;#ASMEND
	;; [unrolled: 3-line block ×32, first 2 shown]
	ds_load_b128 v[115:118], v76 offset:16480
	ds_load_b128 v[119:122], v75 offset:96
	;; [unrolled: 1-line block ×10, first 2 shown]
	s_waitcnt lgkmcnt(8)
	;;#ASMSTART
	v_dot2_f32_f16 v112, v115, v119, v112
	;;#ASMEND
	;;#ASMSTART
	v_dot2_f32_f16 v112, v116, v120, v112
	;;#ASMEND
	;;#ASMSTART
	v_dot2_f32_f16 v112, v117, v121, v112
	;;#ASMEND
	;;#ASMSTART
	v_dot2_f32_f16 v112, v118, v122, v112
	;;#ASMEND
	s_waitcnt lgkmcnt(7)
	;;#ASMSTART
	v_dot2_f32_f16 v110, v115, v123, v110
	;;#ASMEND
	;;#ASMSTART
	v_dot2_f32_f16 v110, v116, v124, v110
	;;#ASMEND
	;;#ASMSTART
	v_dot2_f32_f16 v110, v117, v125, v110
	;;#ASMEND
	;;#ASMSTART
	v_dot2_f32_f16 v110, v118, v126, v110
	;;#ASMEND
	;; [unrolled: 13-line block ×8, first 2 shown]
	;;#ASMSTART
	v_dot2_f32_f16 v114, v135, v119, v114
	;;#ASMEND
	;;#ASMSTART
	v_dot2_f32_f16 v114, v136, v120, v114
	;;#ASMEND
	;;#ASMSTART
	v_dot2_f32_f16 v114, v137, v121, v114
	;;#ASMEND
	;;#ASMSTART
	v_dot2_f32_f16 v114, v138, v122, v114
	;;#ASMEND
	;;#ASMSTART
	v_dot2_f32_f16 v113, v135, v123, v113
	;;#ASMEND
	;;#ASMSTART
	v_dot2_f32_f16 v113, v136, v124, v113
	;;#ASMEND
	;;#ASMSTART
	v_dot2_f32_f16 v113, v137, v125, v113
	;;#ASMEND
	;;#ASMSTART
	v_dot2_f32_f16 v113, v138, v126, v113
	;;#ASMEND
	;;#ASMSTART
	v_dot2_f32_f16 v111, v135, v127, v111
	;;#ASMEND
	;;#ASMSTART
	v_dot2_f32_f16 v111, v136, v128, v111
	;;#ASMEND
	;;#ASMSTART
	v_dot2_f32_f16 v111, v137, v129, v111
	;;#ASMEND
	;;#ASMSTART
	v_dot2_f32_f16 v111, v138, v130, v111
	;;#ASMEND
	;;#ASMSTART
	v_dot2_f32_f16 v109, v135, v131, v109
	;;#ASMEND
	;;#ASMSTART
	v_dot2_f32_f16 v109, v136, v132, v109
	;;#ASMEND
	;;#ASMSTART
	v_dot2_f32_f16 v109, v137, v133, v109
	;;#ASMEND
	;;#ASMSTART
	v_dot2_f32_f16 v109, v138, v134, v109
	;;#ASMEND
	;;#ASMSTART
	v_dot2_f32_f16 v107, v135, v139, v107
	;;#ASMEND
	;;#ASMSTART
	v_dot2_f32_f16 v107, v136, v140, v107
	;;#ASMEND
	;;#ASMSTART
	v_dot2_f32_f16 v107, v137, v141, v107
	;;#ASMEND
	;;#ASMSTART
	v_dot2_f32_f16 v107, v138, v142, v107
	;;#ASMEND
	;;#ASMSTART
	v_dot2_f32_f16 v72, v135, v143, v72
	;;#ASMEND
	;;#ASMSTART
	v_dot2_f32_f16 v72, v136, v144, v72
	;;#ASMEND
	;;#ASMSTART
	v_dot2_f32_f16 v72, v137, v145, v72
	;;#ASMEND
	;;#ASMSTART
	v_dot2_f32_f16 v72, v138, v146, v72
	;;#ASMEND
	;;#ASMSTART
	v_dot2_f32_f16 v68, v135, v147, v68
	;;#ASMEND
	;;#ASMSTART
	v_dot2_f32_f16 v68, v136, v148, v68
	;;#ASMEND
	;;#ASMSTART
	v_dot2_f32_f16 v68, v137, v149, v68
	;;#ASMEND
	;;#ASMSTART
	v_dot2_f32_f16 v68, v138, v150, v68
	;;#ASMEND
	;;#ASMSTART
	v_dot2_f32_f16 v65, v135, v151, v65
	;;#ASMEND
	;;#ASMSTART
	v_dot2_f32_f16 v65, v136, v152, v65
	;;#ASMEND
	;;#ASMSTART
	v_dot2_f32_f16 v65, v137, v153, v65
	;;#ASMEND
	;;#ASMSTART
	v_dot2_f32_f16 v65, v138, v154, v65
	;;#ASMEND
	ds_load_b128 v[115:118], v76 offset:16496
	ds_load_b128 v[119:122], v75 offset:112
	;; [unrolled: 1-line block ×10, first 2 shown]
	s_waitcnt lgkmcnt(8)
	;;#ASMSTART
	v_dot2_f32_f16 v112, v115, v119, v112
	;;#ASMEND
	;;#ASMSTART
	v_dot2_f32_f16 v112, v116, v120, v112
	;;#ASMEND
	;;#ASMSTART
	v_dot2_f32_f16 v112, v117, v121, v112
	;;#ASMEND
	;;#ASMSTART
	v_dot2_f32_f16 v112, v118, v122, v112
	;;#ASMEND
	s_waitcnt lgkmcnt(7)
	;;#ASMSTART
	v_dot2_f32_f16 v110, v115, v123, v110
	;;#ASMEND
	;;#ASMSTART
	v_dot2_f32_f16 v110, v116, v124, v110
	;;#ASMEND
	;;#ASMSTART
	v_dot2_f32_f16 v110, v117, v125, v110
	;;#ASMEND
	;;#ASMSTART
	v_dot2_f32_f16 v110, v118, v126, v110
	;;#ASMEND
	;; [unrolled: 13-line block ×8, first 2 shown]
	;;#ASMSTART
	v_dot2_f32_f16 v114, v135, v119, v114
	;;#ASMEND
	;;#ASMSTART
	v_dot2_f32_f16 v114, v136, v120, v114
	;;#ASMEND
	;; [unrolled: 3-line block ×32, first 2 shown]
	s_barrier
	buffer_gl0_inv
	s_clause 0x1
	global_load_b128 v[115:118], v[1:2], off offset:128
	global_load_b128 v[1:4], v[3:4], off offset:128
	s_waitcnt vmcnt(1)
	ds_store_b128 v78, v[115:118]
	s_waitcnt vmcnt(0)
	ds_store_b128 v79, v[1:4]
	s_waitcnt lgkmcnt(0)
	s_barrier
	buffer_gl0_inv
	ds_load_b128 v[1:4], v76 offset:16384
	ds_load_b128 v[115:118], v75 offset:128
	;; [unrolled: 1-line block ×10, first 2 shown]
	s_waitcnt lgkmcnt(8)
	;;#ASMSTART
	v_dot2_f32_f16 v112, v1, v115, v112
	;;#ASMEND
	;;#ASMSTART
	v_dot2_f32_f16 v112, v2, v116, v112
	;;#ASMEND
	;;#ASMSTART
	v_dot2_f32_f16 v112, v3, v117, v112
	;;#ASMEND
	;;#ASMSTART
	v_dot2_f32_f16 v112, v4, v118, v112
	;;#ASMEND
	s_waitcnt lgkmcnt(7)
	;;#ASMSTART
	v_dot2_f32_f16 v110, v1, v119, v110
	;;#ASMEND
	;;#ASMSTART
	v_dot2_f32_f16 v110, v2, v120, v110
	;;#ASMEND
	;;#ASMSTART
	v_dot2_f32_f16 v110, v3, v121, v110
	;;#ASMEND
	;;#ASMSTART
	v_dot2_f32_f16 v110, v4, v122, v110
	;;#ASMEND
	;; [unrolled: 13-line block ×8, first 2 shown]
	;;#ASMSTART
	v_dot2_f32_f16 v114, v131, v115, v114
	;;#ASMEND
	;;#ASMSTART
	v_dot2_f32_f16 v114, v132, v116, v114
	;;#ASMEND
	;; [unrolled: 3-line block ×32, first 2 shown]
	ds_load_b128 v[1:4], v76 offset:16400
	ds_load_b128 v[115:118], v75 offset:144
	;; [unrolled: 1-line block ×10, first 2 shown]
	s_waitcnt lgkmcnt(8)
	;;#ASMSTART
	v_dot2_f32_f16 v112, v1, v115, v112
	;;#ASMEND
	;;#ASMSTART
	v_dot2_f32_f16 v112, v2, v116, v112
	;;#ASMEND
	;;#ASMSTART
	v_dot2_f32_f16 v112, v3, v117, v112
	;;#ASMEND
	;;#ASMSTART
	v_dot2_f32_f16 v112, v4, v118, v112
	;;#ASMEND
	s_waitcnt lgkmcnt(7)
	;;#ASMSTART
	v_dot2_f32_f16 v110, v1, v119, v110
	;;#ASMEND
	;;#ASMSTART
	v_dot2_f32_f16 v110, v2, v120, v110
	;;#ASMEND
	;;#ASMSTART
	v_dot2_f32_f16 v110, v3, v121, v110
	;;#ASMEND
	;;#ASMSTART
	v_dot2_f32_f16 v110, v4, v122, v110
	;;#ASMEND
	;; [unrolled: 13-line block ×8, first 2 shown]
	;;#ASMSTART
	v_dot2_f32_f16 v114, v131, v115, v114
	;;#ASMEND
	;;#ASMSTART
	v_dot2_f32_f16 v114, v132, v116, v114
	;;#ASMEND
	;; [unrolled: 3-line block ×32, first 2 shown]
	ds_load_b128 v[1:4], v76 offset:16416
	ds_load_b128 v[115:118], v75 offset:160
	;; [unrolled: 1-line block ×10, first 2 shown]
	s_waitcnt lgkmcnt(8)
	;;#ASMSTART
	v_dot2_f32_f16 v112, v1, v115, v112
	;;#ASMEND
	;;#ASMSTART
	v_dot2_f32_f16 v112, v2, v116, v112
	;;#ASMEND
	;;#ASMSTART
	v_dot2_f32_f16 v112, v3, v117, v112
	;;#ASMEND
	;;#ASMSTART
	v_dot2_f32_f16 v112, v4, v118, v112
	;;#ASMEND
	s_waitcnt lgkmcnt(7)
	;;#ASMSTART
	v_dot2_f32_f16 v110, v1, v119, v110
	;;#ASMEND
	;;#ASMSTART
	v_dot2_f32_f16 v110, v2, v120, v110
	;;#ASMEND
	;;#ASMSTART
	v_dot2_f32_f16 v110, v3, v121, v110
	;;#ASMEND
	;;#ASMSTART
	v_dot2_f32_f16 v110, v4, v122, v110
	;;#ASMEND
	;; [unrolled: 13-line block ×8, first 2 shown]
	;;#ASMSTART
	v_dot2_f32_f16 v114, v131, v115, v114
	;;#ASMEND
	;;#ASMSTART
	v_dot2_f32_f16 v114, v132, v116, v114
	;;#ASMEND
	;; [unrolled: 3-line block ×32, first 2 shown]
	ds_load_b128 v[1:4], v76 offset:16432
	ds_load_b128 v[115:118], v75 offset:176
	;; [unrolled: 1-line block ×10, first 2 shown]
	s_waitcnt lgkmcnt(8)
	;;#ASMSTART
	v_dot2_f32_f16 v112, v1, v115, v112
	;;#ASMEND
	;;#ASMSTART
	v_dot2_f32_f16 v112, v2, v116, v112
	;;#ASMEND
	;;#ASMSTART
	v_dot2_f32_f16 v112, v3, v117, v112
	;;#ASMEND
	;;#ASMSTART
	v_dot2_f32_f16 v112, v4, v118, v112
	;;#ASMEND
	s_waitcnt lgkmcnt(7)
	;;#ASMSTART
	v_dot2_f32_f16 v110, v1, v119, v110
	;;#ASMEND
	;;#ASMSTART
	v_dot2_f32_f16 v110, v2, v120, v110
	;;#ASMEND
	;;#ASMSTART
	v_dot2_f32_f16 v110, v3, v121, v110
	;;#ASMEND
	;;#ASMSTART
	v_dot2_f32_f16 v110, v4, v122, v110
	;;#ASMEND
	;; [unrolled: 13-line block ×8, first 2 shown]
	;;#ASMSTART
	v_dot2_f32_f16 v114, v131, v115, v114
	;;#ASMEND
	;;#ASMSTART
	v_dot2_f32_f16 v114, v132, v116, v114
	;;#ASMEND
	;; [unrolled: 3-line block ×32, first 2 shown]
	ds_load_b128 v[1:4], v76 offset:16448
	ds_load_b128 v[115:118], v75 offset:192
	;; [unrolled: 1-line block ×10, first 2 shown]
	s_waitcnt lgkmcnt(8)
	;;#ASMSTART
	v_dot2_f32_f16 v112, v1, v115, v112
	;;#ASMEND
	;;#ASMSTART
	v_dot2_f32_f16 v112, v2, v116, v112
	;;#ASMEND
	;;#ASMSTART
	v_dot2_f32_f16 v112, v3, v117, v112
	;;#ASMEND
	;;#ASMSTART
	v_dot2_f32_f16 v112, v4, v118, v112
	;;#ASMEND
	s_waitcnt lgkmcnt(7)
	;;#ASMSTART
	v_dot2_f32_f16 v110, v1, v119, v110
	;;#ASMEND
	;;#ASMSTART
	v_dot2_f32_f16 v110, v2, v120, v110
	;;#ASMEND
	;;#ASMSTART
	v_dot2_f32_f16 v110, v3, v121, v110
	;;#ASMEND
	;;#ASMSTART
	v_dot2_f32_f16 v110, v4, v122, v110
	;;#ASMEND
	;; [unrolled: 13-line block ×8, first 2 shown]
	;;#ASMSTART
	v_dot2_f32_f16 v114, v131, v115, v114
	;;#ASMEND
	;;#ASMSTART
	v_dot2_f32_f16 v114, v132, v116, v114
	;;#ASMEND
	;; [unrolled: 3-line block ×32, first 2 shown]
	ds_load_b128 v[1:4], v76 offset:16464
	ds_load_b128 v[115:118], v75 offset:208
	;; [unrolled: 1-line block ×10, first 2 shown]
	s_waitcnt lgkmcnt(8)
	;;#ASMSTART
	v_dot2_f32_f16 v112, v1, v115, v112
	;;#ASMEND
	;;#ASMSTART
	v_dot2_f32_f16 v112, v2, v116, v112
	;;#ASMEND
	;;#ASMSTART
	v_dot2_f32_f16 v112, v3, v117, v112
	;;#ASMEND
	;;#ASMSTART
	v_dot2_f32_f16 v112, v4, v118, v112
	;;#ASMEND
	s_waitcnt lgkmcnt(7)
	;;#ASMSTART
	v_dot2_f32_f16 v110, v1, v119, v110
	;;#ASMEND
	;;#ASMSTART
	v_dot2_f32_f16 v110, v2, v120, v110
	;;#ASMEND
	;;#ASMSTART
	v_dot2_f32_f16 v110, v3, v121, v110
	;;#ASMEND
	;;#ASMSTART
	v_dot2_f32_f16 v110, v4, v122, v110
	;;#ASMEND
	s_waitcnt lgkmcnt(6)
	;;#ASMSTART
	v_dot2_f32_f16 v108, v1, v123, v108
	;;#ASMEND
	;;#ASMSTART
	v_dot2_f32_f16 v108, v2, v124, v108
	;;#ASMEND
	;;#ASMSTART
	v_dot2_f32_f16 v108, v3, v125, v108
	;;#ASMEND
	;;#ASMSTART
	v_dot2_f32_f16 v108, v4, v126, v108
	;;#ASMEND
	s_waitcnt lgkmcnt(5)
	;;#ASMSTART
	v_dot2_f32_f16 v73, v1, v127, v73
	;;#ASMEND
	;;#ASMSTART
	v_dot2_f32_f16 v73, v2, v128, v73
	;;#ASMEND
	;;#ASMSTART
	v_dot2_f32_f16 v73, v3, v129, v73
	;;#ASMEND
	;;#ASMSTART
	v_dot2_f32_f16 v73, v4, v130, v73
	;;#ASMEND
	s_waitcnt lgkmcnt(3)
	;;#ASMSTART
	v_dot2_f32_f16 v69, v1, v135, v69
	;;#ASMEND
	;;#ASMSTART
	v_dot2_f32_f16 v69, v2, v136, v69
	;;#ASMEND
	;;#ASMSTART
	v_dot2_f32_f16 v69, v3, v137, v69
	;;#ASMEND
	;;#ASMSTART
	v_dot2_f32_f16 v69, v4, v138, v69
	;;#ASMEND
	s_waitcnt lgkmcnt(2)
	;;#ASMSTART
	v_dot2_f32_f16 v66, v1, v139, v66
	;;#ASMEND
	;;#ASMSTART
	v_dot2_f32_f16 v66, v2, v140, v66
	;;#ASMEND
	;;#ASMSTART
	v_dot2_f32_f16 v66, v3, v141, v66
	;;#ASMEND
	;;#ASMSTART
	v_dot2_f32_f16 v66, v4, v142, v66
	;;#ASMEND
	s_waitcnt lgkmcnt(1)
	;;#ASMSTART
	v_dot2_f32_f16 v63, v1, v143, v63
	;;#ASMEND
	;;#ASMSTART
	v_dot2_f32_f16 v63, v2, v144, v63
	;;#ASMEND
	;;#ASMSTART
	v_dot2_f32_f16 v63, v3, v145, v63
	;;#ASMEND
	;;#ASMSTART
	v_dot2_f32_f16 v63, v4, v146, v63
	;;#ASMEND
	s_waitcnt lgkmcnt(0)
	;;#ASMSTART
	v_dot2_f32_f16 v62, v1, v147, v62
	;;#ASMEND
	;;#ASMSTART
	v_dot2_f32_f16 v62, v2, v148, v62
	;;#ASMEND
	;;#ASMSTART
	v_dot2_f32_f16 v62, v3, v149, v62
	;;#ASMEND
	;;#ASMSTART
	v_dot2_f32_f16 v62, v4, v150, v62
	;;#ASMEND
	;;#ASMSTART
	v_dot2_f32_f16 v114, v131, v115, v114
	;;#ASMEND
	;;#ASMSTART
	v_dot2_f32_f16 v114, v132, v116, v114
	;;#ASMEND
	;; [unrolled: 3-line block ×32, first 2 shown]
	ds_load_b128 v[1:4], v76 offset:16480
	ds_load_b128 v[115:118], v75 offset:224
	;; [unrolled: 1-line block ×10, first 2 shown]
	s_waitcnt lgkmcnt(8)
	;;#ASMSTART
	v_dot2_f32_f16 v112, v1, v115, v112
	;;#ASMEND
	;;#ASMSTART
	v_dot2_f32_f16 v112, v2, v116, v112
	;;#ASMEND
	;;#ASMSTART
	v_dot2_f32_f16 v112, v3, v117, v112
	;;#ASMEND
	;;#ASMSTART
	v_dot2_f32_f16 v112, v4, v118, v112
	;;#ASMEND
	s_waitcnt lgkmcnt(7)
	;;#ASMSTART
	v_dot2_f32_f16 v110, v1, v119, v110
	;;#ASMEND
	;;#ASMSTART
	v_dot2_f32_f16 v110, v2, v120, v110
	;;#ASMEND
	;;#ASMSTART
	v_dot2_f32_f16 v110, v3, v121, v110
	;;#ASMEND
	;;#ASMSTART
	v_dot2_f32_f16 v110, v4, v122, v110
	;;#ASMEND
	;; [unrolled: 13-line block ×8, first 2 shown]
	;;#ASMSTART
	v_dot2_f32_f16 v114, v131, v115, v114
	;;#ASMEND
	;;#ASMSTART
	v_dot2_f32_f16 v114, v132, v116, v114
	;;#ASMEND
	;; [unrolled: 3-line block ×32, first 2 shown]
	ds_load_b128 v[115:118], v76 offset:16496
	ds_load_b128 v[121:124], v75 offset:240
	;; [unrolled: 1-line block ×10, first 2 shown]
	s_waitcnt lgkmcnt(8)
	;;#ASMSTART
	v_dot2_f32_f16 v112, v115, v121, v112
	;;#ASMEND
	;;#ASMSTART
	v_dot2_f32_f16 v112, v116, v122, v112
	;;#ASMEND
	;;#ASMSTART
	v_dot2_f32_f16 v112, v117, v123, v112
	;;#ASMEND
	;;#ASMSTART
	v_dot2_f32_f16 v112, v118, v124, v112
	;;#ASMEND
	s_waitcnt lgkmcnt(7)
	;;#ASMSTART
	v_dot2_f32_f16 v110, v115, v125, v110
	;;#ASMEND
	;;#ASMSTART
	v_dot2_f32_f16 v110, v116, v126, v110
	;;#ASMEND
	;;#ASMSTART
	v_dot2_f32_f16 v110, v117, v127, v110
	;;#ASMEND
	;;#ASMSTART
	v_dot2_f32_f16 v110, v118, v128, v110
	;;#ASMEND
	;; [unrolled: 13-line block ×8, first 2 shown]
	;;#ASMSTART
	v_dot2_f32_f16 v114, v137, v121, v114
	;;#ASMEND
	;;#ASMSTART
	v_dot2_f32_f16 v114, v138, v122, v114
	;;#ASMEND
	;;#ASMSTART
	v_dot2_f32_f16 v114, v139, v123, v114
	;;#ASMEND
	;;#ASMSTART
	v_dot2_f32_f16 v114, v140, v124, v114
	;;#ASMEND
	;;#ASMSTART
	v_dot2_f32_f16 v113, v137, v125, v113
	;;#ASMEND
	;;#ASMSTART
	v_dot2_f32_f16 v113, v138, v126, v113
	;;#ASMEND
	;;#ASMSTART
	v_dot2_f32_f16 v113, v139, v127, v113
	;;#ASMEND
	;;#ASMSTART
	v_dot2_f32_f16 v113, v140, v128, v113
	;;#ASMEND
	;;#ASMSTART
	v_dot2_f32_f16 v111, v137, v129, v111
	;;#ASMEND
	;;#ASMSTART
	v_dot2_f32_f16 v111, v138, v130, v111
	;;#ASMEND
	;;#ASMSTART
	v_dot2_f32_f16 v111, v139, v131, v111
	;;#ASMEND
	v_dual_mov_b32 v3, 0 :: v_dual_add_nc_u32 v120, s16, v41
	;;#ASMSTART
	v_dot2_f32_f16 v111, v140, v132, v111
	;;#ASMEND
	;;#ASMSTART
	v_dot2_f32_f16 v109, v137, v133, v109
	;;#ASMEND
	;; [unrolled: 3-line block ×7, first 2 shown]
	v_add_nc_u32_e32 v1, v120, v77
	;;#ASMSTART
	v_dot2_f32_f16 v107, v139, v143, v107
	;;#ASMEND
	;;#ASMSTART
	v_dot2_f32_f16 v107, v140, v144, v107
	;;#ASMEND
	;; [unrolled: 3-line block ×7, first 2 shown]
	v_ashrrev_i32_e32 v2, 31, v1
	;;#ASMSTART
	v_dot2_f32_f16 v68, v138, v150, v68
	;;#ASMEND
	;;#ASMSTART
	v_dot2_f32_f16 v68, v139, v151, v68
	;;#ASMEND
	;; [unrolled: 3-line block ×7, first 2 shown]
	s_cbranch_vccnz .LBB52_10
; %bb.9:                                ;   in Loop: Header=BB52_8 Depth=1
	v_lshlrev_b64 v[3:4], 1, v[1:2]
	s_delay_alu instid0(VALU_DEP_1) | instskip(NEXT) | instid1(VALU_DEP_2)
	v_add_co_u32 v3, vcc_lo, s40, v3
	v_add_co_ci_u32_e32 v4, vcc_lo, s41, v4, vcc_lo
	flat_load_u16 v3, v[3:4]
	s_waitcnt vmcnt(0) lgkmcnt(0)
	v_cvt_f32_f16_e32 v3, v3
	s_delay_alu instid0(VALU_DEP_1)
	v_mul_f32_e32 v3, v24, v3
.LBB52_10:                              ;   in Loop: Header=BB52_8 Depth=1
	v_dual_mov_b32 v115, 0 :: v_dual_mov_b32 v4, 0
	s_and_not1_b32 vcc_lo, exec_lo, s27
	s_cbranch_vccnz .LBB52_12
; %bb.11:                               ;   in Loop: Header=BB52_8 Depth=1
	v_lshlrev_b64 v[1:2], 1, v[1:2]
	s_delay_alu instid0(VALU_DEP_1) | instskip(NEXT) | instid1(VALU_DEP_2)
	v_add_co_u32 v1, vcc_lo, s43, v1
	v_add_co_ci_u32_e32 v2, vcc_lo, s44, v2, vcc_lo
	flat_load_u16 v1, v[1:2]
	s_waitcnt vmcnt(0) lgkmcnt(0)
	v_cvt_f32_f16_e32 v1, v1
	s_delay_alu instid0(VALU_DEP_1)
	v_mul_f32_e32 v4, v24, v1
.LBB52_12:                              ;   in Loop: Header=BB52_8 Depth=1
	v_xor_b32_e32 v1, 16, v94
	s_delay_alu instid0(VALU_DEP_1) | instskip(SKIP_1) | instid1(VALU_DEP_4)
	v_cmp_gt_i32_e32 vcc_lo, 32, v1
	v_dual_add_f32 v118, v112, v3 :: v_dual_cndmask_b32 v1, v94, v1
	v_add_f32_e32 v122, v114, v4
	s_delay_alu instid0(VALU_DEP_2) | instskip(NEXT) | instid1(VALU_DEP_2)
	v_dual_add_f32 v2, 0x40051340, v118 :: v_dual_lshlrev_b32 v125, 2, v1
	v_add_f32_e32 v3, 0x40051340, v122
	s_delay_alu instid0(VALU_DEP_1) | instskip(SKIP_4) | instid1(VALU_DEP_1)
	v_max3_f32 v1, v105, v2, v3
	v_xor_b32_e32 v3, 8, v94
	ds_bpermute_b32 v2, v125, v1
	v_cmp_gt_i32_e32 vcc_lo, 32, v3
	v_cndmask_b32_e32 v3, v94, v3, vcc_lo
	v_lshlrev_b32_e32 v121, 2, v3
	v_xor_b32_e32 v3, 4, v94
	s_delay_alu instid0(VALU_DEP_1) | instskip(SKIP_3) | instid1(VALU_DEP_1)
	v_cmp_gt_i32_e32 vcc_lo, 32, v3
	s_waitcnt lgkmcnt(0)
	v_max_f32_e32 v2, v2, v2
	v_cndmask_b32_e32 v3, v94, v3, vcc_lo
	v_dual_max_f32 v1, v1, v2 :: v_dual_lshlrev_b32 v112, 2, v3
	v_xor_b32_e32 v3, 2, v94
	ds_bpermute_b32 v2, v121, v1
	v_cmp_gt_i32_e32 vcc_lo, 32, v3
	v_cndmask_b32_e32 v3, v94, v3, vcc_lo
	s_delay_alu instid0(VALU_DEP_1) | instskip(SKIP_1) | instid1(VALU_DEP_1)
	v_lshlrev_b32_e32 v4, 2, v3
	v_xor_b32_e32 v3, 1, v94
	v_cmp_gt_i32_e32 vcc_lo, 32, v3
	v_cndmask_b32_e32 v3, v94, v3, vcc_lo
	s_waitcnt lgkmcnt(0)
	v_max_f32_e32 v2, v2, v2
	s_and_not1_b32 vcc_lo, exec_lo, s27
	s_delay_alu instid0(VALU_DEP_2) | instskip(NEXT) | instid1(VALU_DEP_2)
	v_lshlrev_b32_e32 v3, 2, v3
	v_max_f32_e32 v1, v1, v2
	ds_bpermute_b32 v2, v112, v1
	s_waitcnt lgkmcnt(0)
	v_max_f32_e32 v2, v2, v2
	s_delay_alu instid0(VALU_DEP_1) | instskip(SKIP_3) | instid1(VALU_DEP_1)
	v_max_f32_e32 v1, v1, v2
	ds_bpermute_b32 v2, v4, v1
	s_waitcnt lgkmcnt(0)
	v_max_f32_e32 v2, v2, v2
	v_dual_max_f32 v132, v1, v2 :: v_dual_add_nc_u32 v1, v120, v80
	ds_bpermute_b32 v133, v3, v132
	v_ashrrev_i32_e32 v2, 31, v1
	s_cbranch_vccnz .LBB52_14
; %bb.13:                               ;   in Loop: Header=BB52_8 Depth=1
	s_delay_alu instid0(VALU_DEP_1) | instskip(NEXT) | instid1(VALU_DEP_1)
	v_lshlrev_b64 v[114:115], 1, v[1:2]
	v_add_co_u32 v114, vcc_lo, s40, v114
	s_delay_alu instid0(VALU_DEP_2) | instskip(SKIP_3) | instid1(VALU_DEP_1)
	v_add_co_ci_u32_e32 v115, vcc_lo, s41, v115, vcc_lo
	flat_load_u16 v114, v[114:115]
	s_waitcnt vmcnt(0) lgkmcnt(0)
	v_cvt_f32_f16_e32 v114, v114
	v_mul_f32_e32 v115, v24, v114
.LBB52_14:                              ;   in Loop: Header=BB52_8 Depth=1
	v_mov_b32_e32 v114, 0
	v_mov_b32_e32 v116, 0
	s_and_not1_b32 vcc_lo, exec_lo, s27
	s_cbranch_vccnz .LBB52_16
; %bb.15:                               ;   in Loop: Header=BB52_8 Depth=1
	v_lshlrev_b64 v[1:2], 1, v[1:2]
	s_delay_alu instid0(VALU_DEP_1) | instskip(NEXT) | instid1(VALU_DEP_2)
	v_add_co_u32 v1, vcc_lo, s43, v1
	v_add_co_ci_u32_e32 v2, vcc_lo, s44, v2, vcc_lo
	flat_load_u16 v1, v[1:2]
	s_waitcnt vmcnt(0) lgkmcnt(0)
	v_cvt_f32_f16_e32 v1, v1
	s_delay_alu instid0(VALU_DEP_1)
	v_mul_f32_e32 v116, v24, v1
.LBB52_16:                              ;   in Loop: Header=BB52_8 Depth=1
	s_delay_alu instid0(VALU_DEP_1) | instskip(SKIP_1) | instid1(VALU_DEP_1)
	v_dual_add_f32 v128, v110, v115 :: v_dual_add_f32 v129, v113, v116
	s_and_not1_b32 vcc_lo, exec_lo, s27
	v_dual_add_f32 v1, 0x40051340, v128 :: v_dual_add_f32 v2, 0x40051340, v129
	s_delay_alu instid0(VALU_DEP_1) | instskip(SKIP_3) | instid1(VALU_DEP_1)
	v_max3_f32 v1, v106, v1, v2
	ds_bpermute_b32 v2, v125, v1
	s_waitcnt lgkmcnt(0)
	v_max_f32_e32 v2, v2, v2
	v_max_f32_e32 v1, v1, v2
	ds_bpermute_b32 v2, v121, v1
	s_waitcnt lgkmcnt(0)
	v_max_f32_e32 v2, v2, v2
	s_delay_alu instid0(VALU_DEP_1) | instskip(SKIP_3) | instid1(VALU_DEP_1)
	v_max_f32_e32 v1, v1, v2
	ds_bpermute_b32 v2, v112, v1
	s_waitcnt lgkmcnt(0)
	v_max_f32_e32 v2, v2, v2
	v_max_f32_e32 v1, v1, v2
	ds_bpermute_b32 v2, v4, v1
	s_waitcnt lgkmcnt(0)
	v_max_f32_e32 v2, v2, v2
	s_delay_alu instid0(VALU_DEP_1)
	v_dual_max_f32 v134, v1, v2 :: v_dual_add_nc_u32 v1, v120, v81
	ds_bpermute_b32 v135, v3, v134
	v_ashrrev_i32_e32 v2, 31, v1
	s_cbranch_vccnz .LBB52_18
; %bb.17:                               ;   in Loop: Header=BB52_8 Depth=1
	s_delay_alu instid0(VALU_DEP_1) | instskip(NEXT) | instid1(VALU_DEP_1)
	v_lshlrev_b64 v[113:114], 1, v[1:2]
	v_add_co_u32 v113, vcc_lo, s40, v113
	s_delay_alu instid0(VALU_DEP_2) | instskip(SKIP_3) | instid1(VALU_DEP_1)
	v_add_co_ci_u32_e32 v114, vcc_lo, s41, v114, vcc_lo
	flat_load_u16 v110, v[113:114]
	s_waitcnt vmcnt(0) lgkmcnt(0)
	v_cvt_f32_f16_e32 v110, v110
	v_mul_f32_e32 v114, v24, v110
.LBB52_18:                              ;   in Loop: Header=BB52_8 Depth=1
	v_dual_mov_b32 v110, 0 :: v_dual_mov_b32 v113, 0
	s_and_not1_b32 vcc_lo, exec_lo, s27
	s_cbranch_vccnz .LBB52_20
; %bb.19:                               ;   in Loop: Header=BB52_8 Depth=1
	v_lshlrev_b64 v[1:2], 1, v[1:2]
	s_delay_alu instid0(VALU_DEP_1) | instskip(NEXT) | instid1(VALU_DEP_2)
	v_add_co_u32 v1, vcc_lo, s43, v1
	v_add_co_ci_u32_e32 v2, vcc_lo, s44, v2, vcc_lo
	flat_load_u16 v1, v[1:2]
	s_waitcnt vmcnt(0) lgkmcnt(0)
	v_cvt_f32_f16_e32 v1, v1
	s_delay_alu instid0(VALU_DEP_1)
	v_mul_f32_e32 v113, v24, v1
.LBB52_20:                              ;   in Loop: Header=BB52_8 Depth=1
	s_delay_alu instid0(VALU_DEP_1) | instskip(SKIP_1) | instid1(VALU_DEP_1)
	v_dual_add_f32 v108, v108, v114 :: v_dual_add_f32 v111, v111, v113
	s_and_not1_b32 vcc_lo, exec_lo, s27
	v_dual_add_f32 v1, 0x40051340, v108 :: v_dual_add_f32 v2, 0x40051340, v111
	s_delay_alu instid0(VALU_DEP_1) | instskip(SKIP_3) | instid1(VALU_DEP_1)
	v_max3_f32 v1, v103, v1, v2
	ds_bpermute_b32 v2, v125, v1
	s_waitcnt lgkmcnt(0)
	v_max_f32_e32 v2, v2, v2
	v_max_f32_e32 v1, v1, v2
	ds_bpermute_b32 v2, v121, v1
	s_waitcnt lgkmcnt(0)
	v_max_f32_e32 v2, v2, v2
	s_delay_alu instid0(VALU_DEP_1) | instskip(SKIP_3) | instid1(VALU_DEP_1)
	v_max_f32_e32 v1, v1, v2
	ds_bpermute_b32 v2, v112, v1
	s_waitcnt lgkmcnt(0)
	v_max_f32_e32 v2, v2, v2
	v_max_f32_e32 v1, v1, v2
	ds_bpermute_b32 v2, v4, v1
	s_waitcnt lgkmcnt(0)
	v_max_f32_e32 v2, v2, v2
	s_delay_alu instid0(VALU_DEP_1)
	v_max_f32_e32 v130, v1, v2
	v_add_nc_u32_e32 v1, v120, v82
	ds_bpermute_b32 v131, v3, v130
	v_ashrrev_i32_e32 v2, 31, v1
	s_cbranch_vccnz .LBB52_22
; %bb.21:                               ;   in Loop: Header=BB52_8 Depth=1
	s_delay_alu instid0(VALU_DEP_1) | instskip(NEXT) | instid1(VALU_DEP_1)
	v_lshlrev_b64 v[113:114], 1, v[1:2]
	v_add_co_u32 v113, vcc_lo, s40, v113
	s_delay_alu instid0(VALU_DEP_2) | instskip(SKIP_3) | instid1(VALU_DEP_1)
	v_add_co_ci_u32_e32 v114, vcc_lo, s41, v114, vcc_lo
	flat_load_u16 v110, v[113:114]
	s_waitcnt vmcnt(0) lgkmcnt(0)
	v_cvt_f32_f16_e32 v110, v110
	v_mul_f32_e32 v110, v24, v110
.LBB52_22:                              ;   in Loop: Header=BB52_8 Depth=1
	v_dual_mov_b32 v114, 0 :: v_dual_mov_b32 v113, 0
	s_and_not1_b32 vcc_lo, exec_lo, s27
	s_cbranch_vccnz .LBB52_24
; %bb.23:                               ;   in Loop: Header=BB52_8 Depth=1
	v_lshlrev_b64 v[1:2], 1, v[1:2]
	s_delay_alu instid0(VALU_DEP_1) | instskip(NEXT) | instid1(VALU_DEP_2)
	v_add_co_u32 v1, vcc_lo, s43, v1
	v_add_co_ci_u32_e32 v2, vcc_lo, s44, v2, vcc_lo
	flat_load_u16 v1, v[1:2]
	s_waitcnt vmcnt(0) lgkmcnt(0)
	v_cvt_f32_f16_e32 v1, v1
	s_delay_alu instid0(VALU_DEP_1)
	v_mul_f32_e32 v113, v24, v1
.LBB52_24:                              ;   in Loop: Header=BB52_8 Depth=1
	s_delay_alu instid0(VALU_DEP_1) | instskip(SKIP_2) | instid1(VALU_DEP_1)
	v_add_f32_e32 v113, v109, v113
	v_add_f32_e32 v123, v73, v110
	s_and_not1_b32 vcc_lo, exec_lo, s27
	v_dual_add_f32 v2, 0x40051340, v113 :: v_dual_add_f32 v1, 0x40051340, v123
	s_delay_alu instid0(VALU_DEP_1) | instskip(SKIP_3) | instid1(VALU_DEP_1)
	v_max3_f32 v1, v102, v1, v2
	ds_bpermute_b32 v2, v125, v1
	s_waitcnt lgkmcnt(0)
	v_max_f32_e32 v2, v2, v2
	v_max_f32_e32 v1, v1, v2
	ds_bpermute_b32 v2, v121, v1
	s_waitcnt lgkmcnt(0)
	v_max_f32_e32 v2, v2, v2
	s_delay_alu instid0(VALU_DEP_1) | instskip(SKIP_3) | instid1(VALU_DEP_1)
	v_max_f32_e32 v1, v1, v2
	ds_bpermute_b32 v2, v112, v1
	s_waitcnt lgkmcnt(0)
	v_max_f32_e32 v2, v2, v2
	v_max_f32_e32 v1, v1, v2
	ds_bpermute_b32 v2, v4, v1
	s_waitcnt lgkmcnt(0)
	v_max_f32_e32 v2, v2, v2
	s_delay_alu instid0(VALU_DEP_1)
	v_dual_max_f32 v126, v1, v2 :: v_dual_add_nc_u32 v1, v120, v83
	ds_bpermute_b32 v127, v3, v126
	v_ashrrev_i32_e32 v2, 31, v1
	s_cbranch_vccnz .LBB52_26
; %bb.25:                               ;   in Loop: Header=BB52_8 Depth=1
	s_delay_alu instid0(VALU_DEP_1) | instskip(NEXT) | instid1(VALU_DEP_1)
	v_lshlrev_b64 v[109:110], 1, v[1:2]
	v_add_co_u32 v109, vcc_lo, s40, v109
	s_delay_alu instid0(VALU_DEP_2) | instskip(SKIP_3) | instid1(VALU_DEP_1)
	v_add_co_ci_u32_e32 v110, vcc_lo, s41, v110, vcc_lo
	flat_load_u16 v73, v[109:110]
	s_waitcnt vmcnt(0) lgkmcnt(0)
	v_cvt_f32_f16_e32 v73, v73
	v_mul_f32_e32 v114, v24, v73
.LBB52_26:                              ;   in Loop: Header=BB52_8 Depth=1
	v_mov_b32_e32 v73, 0
	v_mov_b32_e32 v109, 0
	s_and_not1_b32 vcc_lo, exec_lo, s27
	s_cbranch_vccnz .LBB52_28
; %bb.27:                               ;   in Loop: Header=BB52_8 Depth=1
	v_lshlrev_b64 v[1:2], 1, v[1:2]
	s_delay_alu instid0(VALU_DEP_1) | instskip(NEXT) | instid1(VALU_DEP_2)
	v_add_co_u32 v1, vcc_lo, s43, v1
	v_add_co_ci_u32_e32 v2, vcc_lo, s44, v2, vcc_lo
	flat_load_u16 v1, v[1:2]
	s_waitcnt vmcnt(0) lgkmcnt(0)
	v_cvt_f32_f16_e32 v1, v1
	s_delay_alu instid0(VALU_DEP_1)
	v_mul_f32_e32 v109, v24, v1
.LBB52_28:                              ;   in Loop: Header=BB52_8 Depth=1
	s_delay_alu instid0(VALU_DEP_1) | instskip(SKIP_2) | instid1(VALU_DEP_1)
	v_add_f32_e32 v107, v107, v109
	v_add_f32_e32 v69, v69, v114
	s_and_not1_b32 vcc_lo, exec_lo, s27
	v_dual_add_f32 v2, 0x40051340, v107 :: v_dual_add_f32 v1, 0x40051340, v69
	s_delay_alu instid0(VALU_DEP_1) | instskip(SKIP_3) | instid1(VALU_DEP_1)
	v_max3_f32 v1, v101, v1, v2
	ds_bpermute_b32 v2, v125, v1
	s_waitcnt lgkmcnt(0)
	v_max_f32_e32 v2, v2, v2
	v_max_f32_e32 v1, v1, v2
	ds_bpermute_b32 v2, v121, v1
	s_waitcnt lgkmcnt(0)
	v_max_f32_e32 v2, v2, v2
	s_delay_alu instid0(VALU_DEP_1) | instskip(SKIP_3) | instid1(VALU_DEP_1)
	v_max_f32_e32 v1, v1, v2
	ds_bpermute_b32 v2, v112, v1
	s_waitcnt lgkmcnt(0)
	v_max_f32_e32 v2, v2, v2
	v_max_f32_e32 v1, v1, v2
	ds_bpermute_b32 v2, v4, v1
	s_waitcnt lgkmcnt(0)
	v_max_f32_e32 v2, v2, v2
	s_delay_alu instid0(VALU_DEP_1)
	v_dual_max_f32 v114, v1, v2 :: v_dual_add_nc_u32 v1, v120, v84
	ds_bpermute_b32 v115, v3, v114
	v_ashrrev_i32_e32 v2, 31, v1
	s_cbranch_vccnz .LBB52_30
; %bb.29:                               ;   in Loop: Header=BB52_8 Depth=1
	s_delay_alu instid0(VALU_DEP_1) | instskip(NEXT) | instid1(VALU_DEP_1)
	v_lshlrev_b64 v[109:110], 1, v[1:2]
	v_add_co_u32 v109, vcc_lo, s40, v109
	s_delay_alu instid0(VALU_DEP_2) | instskip(SKIP_3) | instid1(VALU_DEP_1)
	v_add_co_ci_u32_e32 v110, vcc_lo, s41, v110, vcc_lo
	flat_load_u16 v73, v[109:110]
	s_waitcnt vmcnt(0) lgkmcnt(0)
	v_cvt_f32_f16_e32 v73, v73
	v_mul_f32_e32 v73, v24, v73
.LBB52_30:                              ;   in Loop: Header=BB52_8 Depth=1
	v_dual_mov_b32 v109, 0 :: v_dual_mov_b32 v110, 0
	s_and_not1_b32 vcc_lo, exec_lo, s27
	s_cbranch_vccnz .LBB52_32
; %bb.31:                               ;   in Loop: Header=BB52_8 Depth=1
	v_lshlrev_b64 v[1:2], 1, v[1:2]
	s_delay_alu instid0(VALU_DEP_1) | instskip(NEXT) | instid1(VALU_DEP_2)
	v_add_co_u32 v1, vcc_lo, s43, v1
	v_add_co_ci_u32_e32 v2, vcc_lo, s44, v2, vcc_lo
	flat_load_u16 v1, v[1:2]
	s_waitcnt vmcnt(0) lgkmcnt(0)
	v_cvt_f32_f16_e32 v1, v1
	s_delay_alu instid0(VALU_DEP_1)
	v_mul_f32_e32 v110, v24, v1
.LBB52_32:                              ;   in Loop: Header=BB52_8 Depth=1
	s_delay_alu instid0(VALU_DEP_2) | instskip(NEXT) | instid1(VALU_DEP_2)
	v_add_f32_e32 v119, v66, v73
	v_add_f32_e32 v73, v72, v110
	s_and_not1_b32 vcc_lo, exec_lo, s27
	s_delay_alu instid0(VALU_DEP_1) | instskip(NEXT) | instid1(VALU_DEP_1)
	v_dual_add_f32 v1, 0x40051340, v119 :: v_dual_add_f32 v2, 0x40051340, v73
	v_max3_f32 v1, v100, v1, v2
	ds_bpermute_b32 v2, v125, v1
	s_waitcnt lgkmcnt(0)
	v_max_f32_e32 v2, v2, v2
	s_delay_alu instid0(VALU_DEP_1) | instskip(SKIP_3) | instid1(VALU_DEP_1)
	v_max_f32_e32 v1, v1, v2
	ds_bpermute_b32 v2, v121, v1
	s_waitcnt lgkmcnt(0)
	v_max_f32_e32 v2, v2, v2
	v_max_f32_e32 v1, v1, v2
	ds_bpermute_b32 v2, v112, v1
	s_waitcnt lgkmcnt(0)
	v_max_f32_e32 v2, v2, v2
	s_delay_alu instid0(VALU_DEP_1) | instskip(SKIP_3) | instid1(VALU_DEP_1)
	v_max_f32_e32 v1, v1, v2
	ds_bpermute_b32 v2, v4, v1
	s_waitcnt lgkmcnt(0)
	v_max_f32_e32 v2, v2, v2
	v_dual_max_f32 v66, v1, v2 :: v_dual_add_nc_u32 v1, v120, v85
	ds_bpermute_b32 v124, v3, v66
	v_ashrrev_i32_e32 v2, 31, v1
	s_cbranch_vccnz .LBB52_34
; %bb.33:                               ;   in Loop: Header=BB52_8 Depth=1
	s_delay_alu instid0(VALU_DEP_1) | instskip(NEXT) | instid1(VALU_DEP_1)
	v_lshlrev_b64 v[109:110], 1, v[1:2]
	v_add_co_u32 v109, vcc_lo, s40, v109
	s_delay_alu instid0(VALU_DEP_2) | instskip(SKIP_3) | instid1(VALU_DEP_1)
	v_add_co_ci_u32_e32 v110, vcc_lo, s41, v110, vcc_lo
	flat_load_u16 v72, v[109:110]
	s_waitcnt vmcnt(0) lgkmcnt(0)
	v_cvt_f32_f16_e32 v72, v72
	v_mul_f32_e32 v109, v24, v72
.LBB52_34:                              ;   in Loop: Header=BB52_8 Depth=1
	v_mov_b32_e32 v110, 0
	v_mov_b32_e32 v116, 0
	s_and_not1_b32 vcc_lo, exec_lo, s27
	s_cbranch_vccnz .LBB52_36
; %bb.35:                               ;   in Loop: Header=BB52_8 Depth=1
	v_lshlrev_b64 v[1:2], 1, v[1:2]
	s_delay_alu instid0(VALU_DEP_1) | instskip(NEXT) | instid1(VALU_DEP_2)
	v_add_co_u32 v1, vcc_lo, s43, v1
	v_add_co_ci_u32_e32 v2, vcc_lo, s44, v2, vcc_lo
	flat_load_u16 v1, v[1:2]
	s_waitcnt vmcnt(0) lgkmcnt(0)
	v_cvt_f32_f16_e32 v1, v1
	s_delay_alu instid0(VALU_DEP_1)
	v_mul_f32_e32 v116, v24, v1
.LBB52_36:                              ;   in Loop: Header=BB52_8 Depth=1
	s_delay_alu instid0(VALU_DEP_1) | instskip(SKIP_1) | instid1(VALU_DEP_1)
	v_dual_add_f32 v72, v63, v109 :: v_dual_add_f32 v109, v68, v116
	s_and_not1_b32 vcc_lo, exec_lo, s27
	v_dual_add_f32 v1, 0x40051340, v72 :: v_dual_add_f32 v2, 0x40051340, v109
	s_delay_alu instid0(VALU_DEP_1) | instskip(SKIP_3) | instid1(VALU_DEP_1)
	v_max3_f32 v1, v99, v1, v2
	ds_bpermute_b32 v2, v125, v1
	s_waitcnt lgkmcnt(0)
	v_max_f32_e32 v2, v2, v2
	v_max_f32_e32 v1, v1, v2
	ds_bpermute_b32 v2, v121, v1
	s_waitcnt lgkmcnt(0)
	v_max_f32_e32 v2, v2, v2
	s_delay_alu instid0(VALU_DEP_1) | instskip(SKIP_3) | instid1(VALU_DEP_1)
	v_max_f32_e32 v1, v1, v2
	ds_bpermute_b32 v2, v112, v1
	s_waitcnt lgkmcnt(0)
	v_max_f32_e32 v2, v2, v2
	v_max_f32_e32 v1, v1, v2
	ds_bpermute_b32 v2, v4, v1
	s_waitcnt lgkmcnt(0)
	v_max_f32_e32 v2, v2, v2
	s_delay_alu instid0(VALU_DEP_1)
	v_max_f32_e32 v116, v1, v2
	v_add_nc_u32_e32 v1, v120, v86
	ds_bpermute_b32 v117, v3, v116
	v_ashrrev_i32_e32 v2, 31, v1
	s_cbranch_vccnz .LBB52_38
; %bb.37:                               ;   in Loop: Header=BB52_8 Depth=1
	s_delay_alu instid0(VALU_DEP_1) | instskip(NEXT) | instid1(VALU_DEP_1)
	v_lshlrev_b64 v[136:137], 1, v[1:2]
	v_add_co_u32 v136, vcc_lo, s40, v136
	s_delay_alu instid0(VALU_DEP_2) | instskip(SKIP_3) | instid1(VALU_DEP_1)
	v_add_co_ci_u32_e32 v137, vcc_lo, s41, v137, vcc_lo
	flat_load_u16 v63, v[136:137]
	s_waitcnt vmcnt(0) lgkmcnt(0)
	v_cvt_f32_f16_e32 v63, v63
	v_mul_f32_e32 v110, v24, v63
.LBB52_38:                              ;   in Loop: Header=BB52_8 Depth=1
	s_and_not1_b32 vcc_lo, exec_lo, s27
	s_cbranch_vccnz .LBB52_40
; %bb.39:                               ;   in Loop: Header=BB52_8 Depth=1
	s_delay_alu instid0(VALU_DEP_1) | instskip(NEXT) | instid1(VALU_DEP_1)
	v_lshlrev_b64 v[1:2], 1, v[1:2]
	v_add_co_u32 v1, vcc_lo, s43, v1
	s_delay_alu instid0(VALU_DEP_2) | instskip(SKIP_3) | instid1(VALU_DEP_1)
	v_add_co_ci_u32_e32 v2, vcc_lo, s44, v2, vcc_lo
	flat_load_u16 v1, v[1:2]
	s_waitcnt vmcnt(0) lgkmcnt(0)
	v_cvt_f32_f16_e32 v1, v1
	v_mul_f32_e32 v1, v24, v1
	s_branch .LBB52_41
.LBB52_40:                              ;   in Loop: Header=BB52_8 Depth=1
	v_mov_b32_e32 v1, 0
.LBB52_41:                              ;   in Loop: Header=BB52_8 Depth=1
	s_delay_alu instid0(VALU_DEP_2) | instskip(NEXT) | instid1(VALU_DEP_2)
	v_add_f32_e32 v120, v62, v110
	v_add_f32_e32 v110, v65, v1
	v_dual_max_f32 v68, v132, v132 :: v_dual_max_f32 v137, v130, v130
	v_dual_max_f32 v62, v135, v135 :: v_dual_max_f32 v63, v134, v134
	s_delay_alu instid0(VALU_DEP_3)
	v_dual_add_f32 v1, 0x40051340, v120 :: v_dual_add_f32 v2, 0x40051340, v110
	s_mul_hi_i32 s5, s16, s17
	s_mul_i32 s4, s16, s17
	s_waitcnt lgkmcnt(0)
	s_lshl_b64 s[4:5], s[4:5], 2
	v_max3_f32 v65, v98, v1, v2
	v_max_f32_e32 v1, v133, v133
	s_add_u32 s4, s20, s4
	s_addc_u32 s5, s21, s5
	s_barrier
	ds_bpermute_b32 v125, v125, v65
	v_dual_max_f32 v1, v68, v1 :: v_dual_max_f32 v2, v63, v62
	v_add_co_u32 v62, vcc_lo, s4, v13
	v_add_co_u32 v63, s4, s4, v15
	s_delay_alu instid0(VALU_DEP_3)
	v_sub_f32_e32 v138, v105, v1
	v_add_co_ci_u32_e32 v68, vcc_lo, s5, v14, vcc_lo
	v_add_co_ci_u32_e64 v130, vcc_lo, s5, v16, s4
	v_add_co_u32 v62, vcc_lo, v62, v93
	s_waitcnt lgkmcnt(0)
	buffer_gl0_inv
	v_max_f32_e32 v105, v125, v125
	v_dual_sub_f32 v125, v106, v2 :: v_dual_max_f32 v136, v131, v131
	v_dual_sub_f32 v139, v128, v2 :: v_dual_sub_f32 v122, v122, v1
	s_delay_alu instid0(VALU_DEP_2) | instskip(SKIP_1) | instid1(VALU_DEP_3)
	v_dual_sub_f32 v140, v129, v2 :: v_dual_mul_f32 v145, 0x3fb8aa3b, v125
	v_mul_f32_e32 v143, 0x3fb8aa3b, v138
	v_dual_mul_f32 v141, 0x3fb8aa3b, v139 :: v_dual_sub_f32 v118, v118, v1
	v_max_f32_e32 v65, v65, v105
	v_add_co_u32 v105, s4, v63, v93
	v_add_co_ci_u32_e32 v63, vcc_lo, 0, v68, vcc_lo
	ds_bpermute_b32 v68, v121, v65
	v_mul_f32_e32 v121, 0x3fb8aa3b, v122
	v_mul_f32_e32 v142, 0x3fb8aa3b, v118
	v_add_co_ci_u32_e64 v106, vcc_lo, 0, v130, s4
	s_clause 0x1
	global_load_b128 v[128:131], v[62:63], off
	global_load_b128 v[132:135], v[105:106], off
	v_fma_f32 v62, 0x3fb8aa3b, v122, -v121
	v_fma_f32 v146, 0x3fb8aa3b, v118, -v142
	;; [unrolled: 1-line block ×3, first 2 shown]
	v_mul_f32_e32 v144, 0x3fb8aa3b, v140
	v_cmp_ngt_f32_e64 s5, 0xc2ce8ed0, v118
	v_fmac_f32_e32 v62, 0x32a5705f, v122
	v_cmp_nlt_f32_e64 s9, 0x42b17218, v118
	v_fma_f32 v105, 0x3fb8aa3b, v139, -v141
	v_fma_f32 v149, 0x3fb8aa3b, v140, -v144
	v_rndne_f32_e32 v106, v141
	v_fmac_f32_e32 v146, 0x32a5705f, v118
	v_fma_f32 v147, 0x3fb8aa3b, v138, -v143
	s_waitcnt lgkmcnt(0)
	v_max_f32_e32 v63, v68, v68
	v_rndne_f32_e32 v68, v121
	v_rndne_f32_e32 v148, v143
	;; [unrolled: 1-line block ×3, first 2 shown]
	v_cmp_ngt_f32_e32 vcc_lo, 0xc2ce8ed0, v122
	v_max_f32_e32 v63, v65, v63
	v_rndne_f32_e32 v65, v142
	v_sub_f32_e32 v121, v121, v68
	v_cmp_ngt_f32_e64 s6, 0xc2ce8ed0, v138
	v_cmp_nlt_f32_e64 s8, 0x42b17218, v122
	ds_bpermute_b32 v112, v112, v63
	v_sub_f32_e32 v118, v142, v65
	v_fmac_f32_e32 v151, 0x32a5705f, v125
	v_dual_fmac_f32 v149, 0x32a5705f, v140 :: v_dual_add_f32 v62, v121, v62
	v_cmp_nlt_f32_e64 s10, 0x42b17218, v138
	v_rndne_f32_e32 v150, v144
	v_dual_fmac_f32 v105, 0x32a5705f, v139 :: v_dual_sub_f32 v122, v141, v106
	v_dual_fmac_f32 v147, 0x32a5705f, v138 :: v_dual_sub_f32 v138, v143, v148
	v_dual_sub_f32 v141, v145, v152 :: v_dual_add_f32 v118, v118, v146
	v_exp_f32_e32 v62, v62
	v_cmp_ngt_f32_e64 s4, 0xc2ce8ed0, v139
	v_cmp_nlt_f32_e64 s11, 0x42b17218, v139
	v_cvt_i32_f32_e32 v68, v68
	v_cvt_i32_f32_e32 v65, v65
	v_cvt_i32_f32_e32 v106, v106
	v_cmp_ngt_f32_e64 s7, 0xc2ce8ed0, v140
	s_waitcnt lgkmcnt(0)
	v_max_f32_e32 v112, v112, v112
	s_delay_alu instid0(TRANS32_DEP_1) | instskip(SKIP_1) | instid1(VALU_DEP_3)
	v_ldexp_f32 v62, v62, v68
	v_add_f32_e32 v105, v122, v105
	v_max_f32_e32 v63, v63, v112
	v_exp_f32_e32 v112, v118
	s_delay_alu instid0(VALU_DEP_3) | instskip(NEXT) | instid1(VALU_DEP_3)
	v_cndmask_b32_e32 v62, 0, v62, vcc_lo
	v_exp_f32_e32 v105, v105
	ds_bpermute_b32 v4, v4, v63
	v_cmp_nlt_f32_e32 vcc_lo, 0x42b17218, v140
	v_ldexp_f32 v65, v112, v65
	v_ldexp_f32 v105, v105, v106
	s_delay_alu instid0(VALU_DEP_2) | instskip(NEXT) | instid1(VALU_DEP_2)
	v_cndmask_b32_e64 v65, 0, v65, s5
	v_cndmask_b32_e64 v105, 0, v105, s4
	v_cmp_ngt_f32_e64 s4, 0xc2ce8ed0, v125
	s_delay_alu instid0(VALU_DEP_3) | instskip(NEXT) | instid1(VALU_DEP_3)
	v_cndmask_b32_e64 v65, 0x7f800000, v65, s9
	v_cndmask_b32_e64 v105, 0x7f800000, v105, s11
	s_waitcnt lgkmcnt(0)
	v_max_f32_e32 v4, v4, v4
	v_sub_f32_e32 v139, v144, v150
	v_add_f32_e32 v121, v138, v147
	v_cvt_i32_f32_e32 v138, v150
	s_delay_alu instid0(VALU_DEP_3) | instskip(NEXT) | instid1(VALU_DEP_3)
	v_add_f32_e32 v122, v139, v149
	v_exp_f32_e32 v118, v121
	v_cvt_i32_f32_e32 v121, v148
	s_delay_alu instid0(VALU_DEP_2) | instskip(SKIP_4) | instid1(VALU_DEP_3)
	v_exp_f32_e32 v122, v122
	s_waitcnt_depctr 0xfff
	v_ldexp_f32 v68, v118, v121
	v_cndmask_b32_e64 v118, 0x7f800000, v62, s8
	v_ldexp_f32 v106, v122, v138
	v_cndmask_b32_e64 v68, 0, v68, s6
	s_delay_alu instid0(VALU_DEP_3)
	v_add_f32_e32 v62, v65, v118
	v_max_f32_e32 v122, v63, v4
	v_cvt_f16_f32_e64 v138, v105
	v_cndmask_b32_e64 v106, 0, v106, s7
	v_cndmask_b32_e64 v68, 0x7f800000, v68, s10
	v_add_f32_e32 v139, v141, v151
	v_cvt_i32_f32_e32 v141, v152
	v_cvt_f16_f32_e32 v118, v118
	s_delay_alu instid0(VALU_DEP_4) | instskip(NEXT) | instid1(VALU_DEP_4)
	v_fmac_f32_e32 v62, v104, v68
	v_exp_f32_e32 v112, v139
	v_cvt_f16_f32_e32 v121, v68
	v_cndmask_b32_e32 v68, 0x7f800000, v106, vcc_lo
	v_max_f32_e32 v106, v127, v127
	v_cmp_nlt_f32_e32 vcc_lo, 0x42b17218, v125
	v_cvt_f16_f32_e32 v125, v65
	v_pk_mul_f16 v104, v121, v57 op_sel_hi:[0,1]
	v_add_f32_e32 v63, v105, v68
	ds_bpermute_b32 v57, v3, v122
	v_max_f32_e32 v3, v137, v136
	v_ldexp_f32 v4, v112, v141
	v_pk_mul_f16 v58, v121, v58 op_sel_hi:[0,1]
	s_delay_alu instid0(VALU_DEP_3) | instskip(NEXT) | instid1(VALU_DEP_3)
	v_dual_sub_f32 v111, v111, v3 :: v_dual_max_f32 v112, v126, v126
	v_cndmask_b32_e64 v121, 0, v4, s4
	v_sub_f32_e32 v103, v103, v3
	s_delay_alu instid0(VALU_DEP_3) | instskip(NEXT) | instid1(VALU_DEP_3)
	v_dual_mul_f32 v65, 0x3fb8aa3b, v111 :: v_dual_max_f32 v4, v112, v106
	v_cndmask_b32_e32 v105, 0x7f800000, v121, vcc_lo
	v_cvt_f16_f32_e32 v106, v68
	v_cmp_ngt_f32_e32 vcc_lo, 0xc2ce8ed0, v111
	s_delay_alu instid0(VALU_DEP_4) | instskip(SKIP_3) | instid1(VALU_DEP_4)
	v_fma_f32 v68, 0x3fb8aa3b, v111, -v65
	v_rndne_f32_e32 v112, v65
	v_sub_f32_e32 v121, v123, v4
	v_cvt_f16_f32_e32 v123, v105
	v_dual_fmac_f32 v63, v6, v105 :: v_dual_fmac_f32 v68, 0x32a5705f, v111
	s_delay_alu instid0(VALU_DEP_3) | instskip(NEXT) | instid1(VALU_DEP_3)
	v_dual_sub_f32 v6, v65, v112 :: v_dual_mul_f32 v65, 0x3fb8aa3b, v121
	v_pk_mul_f16 v105, v123, v55 op_sel_hi:[0,1]
	v_sub_f32_e32 v55, v108, v3
	v_pk_mul_f16 v108, v123, v56 op_sel_hi:[0,1]
	s_delay_alu instid0(VALU_DEP_4)
	v_add_f32_e32 v6, v6, v68
	v_fma_f32 v56, 0x3fb8aa3b, v121, -v65
	v_rndne_f32_e32 v68, v65
	v_mul_f32_e32 v136, 0x3fb8aa3b, v103
	v_cvt_i32_f32_e32 v112, v112
	v_exp_f32_e32 v6, v6
	s_delay_alu instid0(VALU_DEP_3)
	v_dual_fmac_f32 v56, 0x32a5705f, v121 :: v_dual_sub_f32 v65, v65, v68
	v_mul_f32_e32 v123, 0x3fb8aa3b, v55
	v_rndne_f32_e32 v137, v136
	v_cvt_i32_f32_e32 v68, v68
	v_cmp_nlt_f32_e64 s5, 0x42b17218, v121
	v_add_f32_e32 v56, v65, v56
	v_rndne_f32_e32 v127, v123
	v_fma_f32 v126, 0x3fb8aa3b, v55, -v123
	s_delay_alu instid0(TRANS32_DEP_1)
	v_ldexp_f32 v6, v6, v112
	v_sub_f32_e32 v112, v136, v137
	v_exp_f32_e32 v56, v56
	v_sub_f32_e32 v65, v123, v127
	v_fma_f32 v123, 0x3fb8aa3b, v103, -v136
	v_cndmask_b32_e32 v6, 0, v6, vcc_lo
	v_cmp_nlt_f32_e32 vcc_lo, 0x42b17218, v111
	v_cmp_ngt_f32_e64 s4, 0xc2ce8ed0, v103
	s_waitcnt lgkmcnt(0)
	v_max_f32_e32 v57, v57, v57
	v_fmac_f32_e32 v123, 0x32a5705f, v103
	v_cndmask_b32_e32 v6, 0x7f800000, v6, vcc_lo
	v_ldexp_f32 v56, v56, v68
	v_cvt_i32_f32_e32 v68, v127
	s_delay_alu instid0(VALU_DEP_4) | instskip(SKIP_1) | instid1(VALU_DEP_2)
	v_dual_add_f32 v111, v112, v123 :: v_dual_sub_f32 v112, v113, v4
	v_cmp_ngt_f32_e32 vcc_lo, 0xc2ce8ed0, v121
	v_exp_f32_e32 v111, v111
	s_delay_alu instid0(VALU_DEP_2) | instskip(SKIP_2) | instid1(VALU_DEP_3)
	v_mul_f32_e32 v113, 0x3fb8aa3b, v112
	v_cndmask_b32_e32 v56, 0, v56, vcc_lo
	v_cmp_ngt_f32_e32 vcc_lo, 0xc2ce8ed0, v55
	v_rndne_f32_e32 v127, v113
	v_sub_f32_e32 v102, v102, v4
	v_fmac_f32_e32 v126, 0x32a5705f, v55
	v_cndmask_b32_e64 v56, 0x7f800000, v56, s5
	s_delay_alu instid0(VALU_DEP_2) | instskip(SKIP_3) | instid1(VALU_DEP_4)
	v_add_f32_e32 v65, v65, v126
	v_fma_f32 v126, 0x3fb8aa3b, v112, -v113
	v_sub_f32_e32 v113, v113, v127
	v_mul_f32_e32 v123, 0x3fb8aa3b, v102
	v_exp_f32_e32 v65, v65
	s_delay_alu instid0(VALU_DEP_1) | instskip(NEXT) | instid1(VALU_DEP_1)
	v_rndne_f32_e32 v136, v123
	v_cvt_i32_f32_e32 v121, v136
	s_waitcnt_depctr 0xfff
	v_ldexp_f32 v65, v65, v68
	v_cvt_i32_f32_e32 v68, v137
	s_delay_alu instid0(VALU_DEP_2) | instskip(NEXT) | instid1(VALU_DEP_2)
	v_dual_fmac_f32 v126, 0x32a5705f, v112 :: v_dual_cndmask_b32 v65, 0, v65
	v_ldexp_f32 v68, v111, v68
	v_fma_f32 v111, 0x3fb8aa3b, v102, -v123
	v_sub_f32_e32 v123, v123, v136
	v_cmp_nlt_f32_e32 vcc_lo, 0x42b17218, v55
	v_add_f32_e32 v55, v113, v126
	v_cndmask_b32_e64 v68, 0, v68, s4
	v_fmac_f32_e32 v111, 0x32a5705f, v102
	v_cmp_nlt_f32_e64 s4, 0x42b17218, v103
	v_cndmask_b32_e32 v103, 0x7f800000, v65, vcc_lo
	v_exp_f32_e32 v55, v55
	v_cvt_i32_f32_e32 v113, v127
	v_add_f32_e32 v111, v123, v111
	v_cndmask_b32_e64 v68, 0x7f800000, v68, s4
	v_add_f32_e32 v65, v103, v6
	v_cmp_ngt_f32_e32 vcc_lo, 0xc2ce8ed0, v112
	v_cvt_f16_f32_e32 v126, v6
	v_exp_f32_e32 v111, v111
	v_cvt_f16_f32_e32 v123, v68
	v_fmac_f32_e32 v65, v5, v68
	v_ldexp_f32 v5, v55, v113
	v_cmp_ngt_f32_e64 s4, 0xc2ce8ed0, v102
	s_delay_alu instid0(VALU_DEP_2) | instskip(SKIP_1) | instid1(TRANS32_DEP_1)
	v_dual_max_f32 v55, v114, v114 :: v_dual_cndmask_b32 v68, 0, v5
	v_cmp_nlt_f32_e32 vcc_lo, 0x42b17218, v112
	v_ldexp_f32 v6, v111, v121
	v_pk_mul_f16 v111, v123, v53 op_sel_hi:[0,1]
	v_max_f32_e32 v53, v115, v115
	v_pk_mul_f16 v112, v123, v54 op_sel_hi:[0,1]
	v_cvt_f16_f32_e32 v54, v56
	v_cndmask_b32_e64 v6, 0, v6, s4
	v_cmp_nlt_f32_e64 s4, 0x42b17218, v102
	v_max_f32_e32 v5, v55, v53
	v_dual_cndmask_b32 v53, 0x7f800000, v68 :: v_dual_max_f32 v102, v66, v66
	s_delay_alu instid0(VALU_DEP_3) | instskip(SKIP_1) | instid1(VALU_DEP_3)
	v_cndmask_b32_e64 v55, 0x7f800000, v6, s4
	v_max_f32_e32 v6, v124, v124
	v_add_f32_e32 v66, v56, v53
	s_delay_alu instid0(VALU_DEP_2) | instskip(SKIP_1) | instid1(VALU_DEP_3)
	v_max_f32_e32 v6, v102, v6
	v_cvt_f16_f32_e32 v102, v53
	v_fmac_f32_e32 v66, v8, v55
	v_sub_f32_e32 v68, v107, v5
	s_delay_alu instid0(VALU_DEP_4) | instskip(SKIP_2) | instid1(VALU_DEP_4)
	v_dual_sub_f32 v53, v69, v5 :: v_dual_sub_f32 v114, v119, v6
	v_cvt_f16_f32_e32 v107, v55
	v_sub_f32_e32 v100, v100, v6
	v_mul_f32_e32 v56, 0x3fb8aa3b, v68
	s_delay_alu instid0(VALU_DEP_4) | instskip(SKIP_2) | instid1(VALU_DEP_4)
	v_mul_f32_e32 v8, 0x3fb8aa3b, v53
	v_cmp_ngt_f32_e32 vcc_lo, 0xc2ce8ed0, v68
	v_cvt_f16_f32_e32 v103, v103
	v_rndne_f32_e32 v113, v56
	s_delay_alu instid0(VALU_DEP_4) | instskip(SKIP_2) | instid1(VALU_DEP_4)
	v_fma_f32 v115, 0x3fb8aa3b, v53, -v8
	v_fma_f32 v69, 0x3fb8aa3b, v68, -v56
	v_rndne_f32_e32 v119, v8
	v_dual_sub_f32 v55, v56, v113 :: v_dual_mul_f32 v56, 0x3fb8aa3b, v114
	s_delay_alu instid0(VALU_DEP_4) | instskip(SKIP_1) | instid1(VALU_DEP_4)
	v_fmac_f32_e32 v115, 0x32a5705f, v53
	v_cvt_i32_f32_e32 v113, v113
	v_sub_f32_e32 v8, v8, v119
	s_delay_alu instid0(VALU_DEP_4) | instskip(NEXT) | instid1(VALU_DEP_2)
	v_rndne_f32_e32 v121, v56
	v_dual_fmac_f32 v69, 0x32a5705f, v68 :: v_dual_add_f32 v8, v8, v115
	v_cmp_ngt_f32_e64 s4, 0xc2ce8ed0, v53
	s_delay_alu instid0(VALU_DEP_2) | instskip(SKIP_3) | instid1(VALU_DEP_3)
	v_add_f32_e32 v55, v55, v69
	v_fma_f32 v69, 0x3fb8aa3b, v114, -v56
	v_sub_f32_e32 v56, v56, v121
	v_exp_f32_e32 v8, v8
	v_exp_f32_e32 v55, v55
	s_delay_alu instid0(VALU_DEP_2) | instskip(SKIP_4) | instid1(VALU_DEP_3)
	v_fmac_f32_e32 v69, 0x32a5705f, v114
	s_waitcnt_depctr 0xfff
	v_ldexp_f32 v55, v55, v113
	v_pk_mul_f16 v113, v107, v51 op_sel_hi:[0,1]
	v_pk_mul_f16 v107, v107, v52 op_sel_hi:[0,1]
	v_cndmask_b32_e32 v55, 0, v55, vcc_lo
	v_cmp_nlt_f32_e32 vcc_lo, 0x42b17218, v68
	s_delay_alu instid0(VALU_DEP_2) | instskip(NEXT) | instid1(VALU_DEP_1)
	v_dual_sub_f32 v101, v101, v5 :: v_dual_cndmask_b32 v52, 0x7f800000, v55
	v_mul_f32_e32 v123, 0x3fb8aa3b, v101
	v_cmp_ngt_f32_e64 s5, 0xc2ce8ed0, v101
	v_cmp_ngt_f32_e32 vcc_lo, 0xc2ce8ed0, v114
	s_delay_alu instid0(VALU_DEP_3) | instskip(SKIP_2) | instid1(VALU_DEP_3)
	v_fma_f32 v115, 0x3fb8aa3b, v101, -v123
	v_rndne_f32_e32 v124, v123
	v_add_f32_e32 v56, v56, v69
	v_fmac_f32_e32 v115, 0x32a5705f, v101
	s_delay_alu instid0(VALU_DEP_3) | instskip(NEXT) | instid1(VALU_DEP_3)
	v_sub_f32_e32 v69, v123, v124
	v_exp_f32_e32 v51, v56
	v_cvt_i32_f32_e32 v56, v119
	v_cvt_i32_f32_e32 v55, v124
	s_delay_alu instid0(VALU_DEP_3) | instskip(SKIP_1) | instid1(VALU_DEP_4)
	v_add_f32_e32 v69, v69, v115
	v_cvt_i32_f32_e32 v115, v121
	v_ldexp_f32 v8, v8, v56
	s_delay_alu instid0(VALU_DEP_3) | instskip(SKIP_1) | instid1(VALU_DEP_2)
	v_exp_f32_e32 v56, v69
	v_sub_f32_e32 v69, v73, v6
	v_cndmask_b32_e64 v8, 0, v8, s4
	v_cmp_nlt_f32_e64 s4, 0x42b17218, v53
	v_ldexp_f32 v51, v51, v115
	v_max_f32_e32 v115, v116, v116
	s_delay_alu instid0(VALU_DEP_3) | instskip(SKIP_1) | instid1(TRANS32_DEP_1)
	v_cndmask_b32_e64 v8, 0x7f800000, v8, s4
	v_cmp_nlt_f32_e64 s4, 0x42b17218, v101
	v_ldexp_f32 v53, v56, v55
	v_mul_f32_e32 v55, 0x3fb8aa3b, v69
	s_delay_alu instid0(VALU_DEP_4) | instskip(SKIP_1) | instid1(VALU_DEP_4)
	v_dual_cndmask_b32 v51, 0, v51 :: v_dual_add_f32 v68, v8, v52
	v_mul_f32_e32 v101, 0x3fb8aa3b, v100
	v_cndmask_b32_e64 v53, 0, v53, s5
	s_delay_alu instid0(VALU_DEP_4)
	v_fma_f32 v56, 0x3fb8aa3b, v69, -v55
	v_rndne_f32_e32 v73, v55
	v_cmp_nlt_f32_e32 vcc_lo, 0x42b17218, v114
	v_cvt_f16_f32_e32 v114, v52
	v_cndmask_b32_e64 v53, 0x7f800000, v53, s4
	v_fmac_f32_e32 v56, 0x32a5705f, v69
	v_sub_f32_e32 v55, v55, v73
	v_fma_f32 v52, 0x3fb8aa3b, v100, -v101
	s_delay_alu instid0(VALU_DEP_4) | instskip(SKIP_1) | instid1(VALU_DEP_4)
	v_fmac_f32_e32 v68, v7, v53
	v_cvt_f16_f32_e32 v116, v53
	v_dual_add_f32 v7, v55, v56 :: v_dual_max_f32 v56, v117, v117
	v_rndne_f32_e32 v55, v101
	v_fmac_f32_e32 v52, 0x32a5705f, v100
	s_delay_alu instid0(VALU_DEP_4) | instskip(NEXT) | instid1(VALU_DEP_4)
	v_pk_mul_f16 v49, v116, v49 op_sel_hi:[0,1]
	v_exp_f32_e32 v53, v7
	v_max_f32_e32 v7, v115, v56
	v_sub_f32_e32 v101, v101, v55
	v_pk_mul_f16 v115, v116, v50 op_sel_hi:[0,1]
	v_cvt_i32_f32_e32 v50, v73
	v_cvt_i32_f32_e32 v55, v55
	v_sub_f32_e32 v72, v72, v7
	v_sub_f32_e32 v73, v109, v7
	v_add_f32_e32 v52, v101, v52
	v_cvt_f16_f32_e32 v101, v8
	v_ldexp_f32 v50, v53, v50
	v_dual_max_f32 v8, v122, v57 :: v_dual_cndmask_b32 v51, 0x7f800000, v51
	v_cmp_ngt_f32_e32 vcc_lo, 0xc2ce8ed0, v69
	v_mul_f32_e32 v53, 0x3fb8aa3b, v73
	v_exp_f32_e32 v52, v52
	s_delay_alu instid0(VALU_DEP_3)
	v_sub_f32_e32 v117, v120, v8
	v_sub_f32_e32 v110, v110, v8
	v_cndmask_b32_e32 v50, 0, v50, vcc_lo
	v_cmp_nlt_f32_e32 vcc_lo, 0x42b17218, v69
	v_fma_f32 v57, 0x3fb8aa3b, v73, -v53
	v_rndne_f32_e32 v109, v53
	v_mul_f32_e32 v119, 0x3fb8aa3b, v117
	v_cvt_f16_f32_e32 v56, v51
	v_cndmask_b32_e32 v50, 0x7f800000, v50, vcc_lo
	v_fmac_f32_e32 v57, 0x32a5705f, v73
	v_sub_f32_e32 v53, v53, v109
	v_ldexp_f32 v52, v52, v55
	v_cmp_ngt_f32_e32 vcc_lo, 0xc2ce8ed0, v100
	v_add_f32_e32 v69, v51, v50
	v_rndne_f32_e32 v55, v119
	v_add_f32_e32 v51, v53, v57
	v_fma_f32 v53, 0x3fb8aa3b, v117, -v119
	v_cndmask_b32_e32 v52, 0, v52, vcc_lo
	v_cmp_nlt_f32_e32 vcc_lo, 0x42b17218, v100
	v_sub_f32_e32 v57, v119, v55
	v_exp_f32_e32 v51, v51
	v_fmac_f32_e32 v53, 0x32a5705f, v117
	v_cvt_i32_f32_e32 v55, v55
	v_cndmask_b32_e32 v100, 0x7f800000, v52, vcc_lo
	v_cvt_i32_f32_e32 v52, v109
	v_cvt_f16_f32_e32 v109, v50
	v_dual_add_f32 v50, v57, v53 :: v_dual_mul_f32 v53, 0x3fb8aa3b, v72
	v_mul_f32_e32 v119, 0x3fb8aa3b, v110
	v_cmp_ngt_f32_e64 s4, 0xc2ce8ed0, v117
	s_delay_alu instid0(TRANS32_DEP_1) | instskip(NEXT) | instid1(VALU_DEP_4)
	v_ldexp_f32 v51, v51, v52
	v_exp_f32_e32 v50, v50
	v_fma_f32 v52, 0x3fb8aa3b, v72, -v53
	v_rndne_f32_e32 v57, v53
	v_sub_f32_e32 v98, v98, v8
	v_fmac_f32_e32 v69, v97, v100
	s_delay_alu instid0(VALU_DEP_4) | instskip(SKIP_3) | instid1(TRANS32_DEP_1)
	v_fmac_f32_e32 v52, 0x32a5705f, v72
	v_cmp_ngt_f32_e32 vcc_lo, 0xc2ce8ed0, v73
	v_sub_f32_e32 v53, v53, v57
	v_cvt_i32_f32_e32 v57, v57
	v_ldexp_f32 v50, v50, v55
	v_cndmask_b32_e32 v51, 0, v51, vcc_lo
	v_cmp_nlt_f32_e32 vcc_lo, 0x42b17218, v73
	v_add_f32_e32 v52, v53, v52
	v_fma_f32 v53, 0x3fb8aa3b, v110, -v119
	v_cndmask_b32_e64 v50, 0, v50, s4
	v_cmp_ngt_f32_e64 s4, 0xc2ce8ed0, v110
	v_cndmask_b32_e32 v73, 0x7f800000, v51, vcc_lo
	v_rndne_f32_e32 v51, v119
	v_fmac_f32_e32 v53, 0x32a5705f, v110
	v_cmp_nlt_f32_e32 vcc_lo, 0x42b17218, v117
	v_exp_f32_e32 v52, v52
	s_delay_alu instid0(VALU_DEP_3) | instskip(SKIP_3) | instid1(VALU_DEP_4)
	v_sub_f32_e32 v55, v119, v51
	v_cvt_i32_f32_e32 v51, v51
	v_cndmask_b32_e32 v119, 0x7f800000, v50, vcc_lo
	v_cmp_ngt_f32_e32 vcc_lo, 0xc2ce8ed0, v72
	v_dual_add_f32 v50, v55, v53 :: v_dual_mul_f32 v53, 0x3fb8aa3b, v98
	s_waitcnt_depctr 0xfff
	v_ldexp_f32 v52, v52, v57
	v_exp_f32_e32 v50, v50
	v_fma_f32 v120, 0x3fb8aa3b, v98, -v53
	v_rndne_f32_e32 v121, v53
	s_delay_alu instid0(VALU_DEP_1)
	v_dual_fmac_f32 v120, 0x32a5705f, v98 :: v_dual_sub_f32 v53, v53, v121
	s_waitcnt_depctr 0xfff
	v_ldexp_f32 v50, v50, v51
	v_cndmask_b32_e32 v51, 0, v52, vcc_lo
	v_cmp_nlt_f32_e32 vcc_lo, 0x42b17218, v72
	v_add_f32_e32 v52, v53, v120
	s_delay_alu instid0(VALU_DEP_4) | instskip(SKIP_4) | instid1(VALU_DEP_3)
	v_cndmask_b32_e64 v50, 0, v50, s4
	v_cmp_nlt_f32_e64 s4, 0x42b17218, v110
	v_cndmask_b32_e32 v72, 0x7f800000, v51, vcc_lo
	v_sub_f32_e32 v99, v99, v7
	v_exp_f32_e32 v52, v52
	v_cndmask_b32_e64 v110, 0x7f800000, v50, s4
	v_cvt_i32_f32_e32 v50, v121
	s_delay_alu instid0(VALU_DEP_3) | instskip(SKIP_3) | instid1(VALU_DEP_4)
	v_mul_f32_e32 v117, 0x3fb8aa3b, v99
	v_cmp_ngt_f32_e32 vcc_lo, 0xc2ce8ed0, v99
	v_cmp_ngt_f32_e64 s4, 0xc2ce8ed0, v98
	v_cvt_f16_f32_e32 v121, v110
	v_fma_f32 v55, 0x3fb8aa3b, v99, -v117
	v_rndne_f32_e32 v57, v117
	s_delay_alu instid0(TRANS32_DEP_1)
	v_ldexp_f32 v122, v52, v50
	v_pack_b32_f16 v52, v101, v56
	v_pack_b32_f16 v50, v125, v138
	v_fmac_f32_e32 v55, 0x32a5705f, v99
	v_sub_f32_e32 v117, v117, v57
	v_cvt_i32_f32_e32 v51, v57
	v_cvt_f16_f32_e32 v57, v72
	v_pack_b32_f16 v56, v114, v109
	v_cvt_f16_f32_e32 v101, v100
	v_add_f32_e32 v55, v117, v55
	v_cvt_f16_f32_e32 v117, v73
	v_dual_add_f32 v73, v72, v73 :: v_dual_add_f32 v72, v119, v110
	s_delay_alu instid0(VALU_DEP_4) | instskip(NEXT) | instid1(VALU_DEP_4)
	v_pk_mul_f16 v47, v101, v47 op_sel_hi:[0,1]
	v_exp_f32_e32 v53, v55
	v_cvt_f16_f32_e32 v55, v119
	s_waitcnt_depctr 0xfff
	v_ldexp_f32 v120, v53, v51
	v_pack_b32_f16 v53, v57, v55
	v_pack_b32_f16 v51, v103, v54
	;; [unrolled: 1-line block ×5, first 2 shown]
	v_cndmask_b32_e32 v102, 0, v120, vcc_lo
	v_cndmask_b32_e64 v103, 0, v122, s4
	ds_store_b128 v92, v[50:53]
	ds_store_b128 v92, v[54:57] offset:512
	s_waitcnt vmcnt(1)
	ds_store_b128 v88, v[128:131]
	s_waitcnt vmcnt(0)
	ds_store_b128 v89, v[132:135]
	s_waitcnt lgkmcnt(0)
	s_barrier
	buffer_gl0_inv
	v_cmp_nlt_f32_e32 vcc_lo, 0x42b17218, v99
	ds_load_2addr_b64 v[50:53], v90 offset1:32
	ds_load_b128 v[54:57], v87
	v_cmp_nlt_f32_e64 s4, 0x42b17218, v98
	v_cndmask_b32_e32 v98, 0x7f800000, v102, vcc_lo
	s_delay_alu instid0(VALU_DEP_2) | instskip(SKIP_2) | instid1(VALU_DEP_3)
	v_cndmask_b32_e64 v97, 0x7f800000, v103, s4
	v_pk_mul_f16 v103, v101, v48 op_sel_hi:[0,1]
	s_or_b32 s4, s16, 32
	v_cvt_f16_f32_e32 v99, v98
	s_delay_alu instid0(VALU_DEP_3) | instskip(SKIP_2) | instid1(VALU_DEP_3)
	v_dual_fmac_f32 v73, v96, v98 :: v_dual_fmac_f32 v72, v95, v97
	v_cvt_f16_f32_e32 v48, v97
	s_mul_hi_i32 s5, s4, s17
	v_pk_mul_f16 v106, v99, v45 op_sel_hi:[0,1]
	v_pk_mul_f16 v109, v99, v46 op_sel_hi:[0,1]
	s_mul_i32 s4, s4, s17
	v_pk_mul_f16 v110, v48, v44 op_sel_hi:[0,1]
	v_pk_mul_f16 v114, v48, v43 op_sel_hi:[0,1]
	ds_load_b128 v[43:46], v87 offset:16
	ds_load_b128 v[95:98], v87 offset:32
	ds_load_b128 v[99:102], v87 offset:48
	s_waitcnt lgkmcnt(3)
	v_pk_fma_f16 v104, v50, v54, v104 op_sel_hi:[1,0,1]
	v_pk_fma_f16 v105, v50, v54, v105 op_sel:[0,1,0]
	v_pk_fma_f16 v111, v50, v55, v111 op_sel_hi:[1,0,1]
	v_pk_fma_f16 v113, v50, v55, v113 op_sel:[0,1,0]
	;; [unrolled: 2-line block ×6, first 2 shown]
	v_pk_fma_f16 v107, v51, v56, v49 op_sel_hi:[1,0,1]
	ds_load_2addr_b64 v[47:50], v90 offset0:64 offset1:96
	v_pk_fma_f16 v56, v51, v56, v103 op_sel:[0,1,0]
	v_pk_fma_f16 v103, v51, v57, v109 op_sel_hi:[1,0,1]
	v_pk_fma_f16 v51, v51, v57, v114 op_sel:[0,1,0]
	s_waitcnt lgkmcnt(3)
	v_pk_fma_f16 v57, v52, v43, v104 op_sel_hi:[1,0,1]
	v_pk_fma_f16 v104, v52, v43, v105 op_sel:[0,1,0]
	v_pk_fma_f16 v105, v52, v44, v111 op_sel_hi:[1,0,1]
	v_pk_fma_f16 v109, v52, v44, v113 op_sel:[0,1,0]
	v_pk_fma_f16 v111, v52, v45, v115 op_sel_hi:[1,0,1]
	v_pk_fma_f16 v112, v52, v45, v116 op_sel:[0,1,0]
	v_pk_fma_f16 v106, v52, v46, v106 op_sel_hi:[1,0,1]
	v_pk_fma_f16 v52, v52, v46, v110 op_sel:[0,1,0]
	v_pk_fma_f16 v58, v53, v43, v58 op_sel_hi:[1,0,1]
	v_pk_fma_f16 v43, v53, v43, v54 op_sel:[0,1,0]
	v_pk_fma_f16 v54, v53, v44, v108 op_sel_hi:[1,0,1]
	v_pk_fma_f16 v44, v53, v44, v55 op_sel:[0,1,0]
	v_pk_fma_f16 v55, v53, v45, v107 op_sel_hi:[1,0,1]
	v_pk_fma_f16 v45, v53, v45, v56 op_sel:[0,1,0]
	v_pk_fma_f16 v56, v53, v46, v103 op_sel_hi:[1,0,1]
	v_pk_fma_f16 v103, v53, v46, v51 op_sel:[0,1,0]
	s_waitcnt lgkmcnt(0)
	v_pk_fma_f16 v57, v47, v95, v57 op_sel_hi:[1,0,1]
	v_pk_fma_f16 v104, v47, v95, v104 op_sel:[0,1,0]
	v_pk_fma_f16 v105, v47, v96, v105 op_sel_hi:[1,0,1]
	v_pk_fma_f16 v107, v47, v96, v109 op_sel:[0,1,0]
	;; [unrolled: 2-line block ×7, first 2 shown]
	ds_load_2addr_b64 v[43:46], v90 offset0:128 offset1:160
	ds_load_b128 v[51:54], v87 offset:64
	v_pk_fma_f16 v56, v48, v98, v56 op_sel_hi:[1,0,1]
	v_pk_fma_f16 v48, v48, v98, v103 op_sel:[0,1,0]
	v_pk_fma_f16 v98, v49, v99, v57 op_sel_hi:[1,0,1]
	v_pk_fma_f16 v103, v49, v99, v104 op_sel:[0,1,0]
	;; [unrolled: 2-line block ×8, first 2 shown]
	v_pk_fma_f16 v101, v50, v102, v56 op_sel_hi:[1,0,1]
	ds_load_b128 v[55:58], v87 offset:80
	v_pk_fma_f16 v102, v50, v102, v48 op_sel:[0,1,0]
	s_waitcnt lgkmcnt(1)
	v_pk_fma_f16 v109, v43, v51, v98 op_sel_hi:[1,0,1]
	v_pk_fma_f16 v103, v43, v51, v103 op_sel:[0,1,0]
	v_pk_fma_f16 v104, v43, v52, v104 op_sel_hi:[1,0,1]
	v_pk_fma_f16 v105, v43, v52, v105 op_sel:[0,1,0]
	;; [unrolled: 2-line block ×7, first 2 shown]
	ds_load_2addr_b64 v[47:50], v90 offset0:192 offset1:224
	ds_load_b128 v[95:98], v87 offset:96
	v_pk_fma_f16 v101, v44, v54, v101 op_sel_hi:[1,0,1]
	v_pk_fma_f16 v44, v44, v54, v102 op_sel:[0,1,0]
	s_lshl_b64 s[4:5], s[4:5], 2
	s_waitcnt lgkmcnt(2)
	v_pk_fma_f16 v102, v45, v55, v109 op_sel_hi:[1,0,1]
	v_pk_fma_f16 v103, v45, v55, v103 op_sel:[0,1,0]
	v_pk_fma_f16 v104, v45, v56, v104 op_sel_hi:[1,0,1]
	v_pk_fma_f16 v105, v45, v56, v105 op_sel:[0,1,0]
	v_pk_fma_f16 v107, v45, v57, v107 op_sel_hi:[1,0,1]
	v_pk_fma_f16 v108, v45, v57, v108 op_sel:[0,1,0]
	v_pk_fma_f16 v106, v45, v58, v106 op_sel_hi:[1,0,1]
	v_pk_fma_f16 v43, v45, v58, v43 op_sel:[0,1,0]
	v_pk_fma_f16 v45, v46, v55, v110 op_sel_hi:[1,0,1]
	v_pk_fma_f16 v55, v46, v55, v51 op_sel:[0,1,0]
	v_pk_fma_f16 v99, v46, v56, v99 op_sel_hi:[1,0,1]
	v_pk_fma_f16 v56, v46, v56, v52 op_sel:[0,1,0]
	v_pk_fma_f16 v100, v46, v57, v100 op_sel_hi:[1,0,1]
	v_pk_fma_f16 v57, v46, v57, v53 op_sel:[0,1,0]
	v_pk_fma_f16 v109, v46, v58, v101 op_sel_hi:[1,0,1]
	v_pk_fma_f16 v44, v46, v58, v44 op_sel:[0,1,0]
	ds_load_b128 v[51:54], v87 offset:112
	s_waitcnt lgkmcnt(1)
	v_pk_fma_f16 v46, v47, v95, v102 op_sel_hi:[1,0,1]
	v_pk_fma_f16 v103, v47, v95, v103 op_sel:[0,1,0]
	v_pk_fma_f16 v104, v47, v96, v104 op_sel_hi:[1,0,1]
	v_pk_fma_f16 v105, v47, v96, v105 op_sel:[0,1,0]
	;; [unrolled: 2-line block ×4, first 2 shown]
	v_pk_fma_f16 v47, v48, v95, v45 op_sel_hi:[1,0,1]
	v_add_nc_u32_e32 v45, 0x800, v90
	v_pk_fma_f16 v95, v48, v95, v55 op_sel:[0,1,0]
	v_pk_fma_f16 v110, v48, v96, v99 op_sel_hi:[1,0,1]
	v_pk_fma_f16 v96, v48, v96, v56 op_sel:[0,1,0]
	v_pk_fma_f16 v111, v48, v97, v100 op_sel_hi:[1,0,1]
	v_pk_fma_f16 v97, v48, v97, v57 op_sel:[0,1,0]
	ds_load_2addr_b64 v[55:58], v45 offset1:32
	ds_load_b128 v[99:102], v87 offset:128
	v_pk_fma_f16 v109, v48, v98, v109 op_sel_hi:[1,0,1]
	v_pk_fma_f16 v44, v48, v98, v44 op_sel:[0,1,0]
	s_add_u32 s4, s20, s4
	s_waitcnt lgkmcnt(2)
	v_pk_fma_f16 v98, v49, v51, v46 op_sel_hi:[1,0,1]
	v_pk_fma_f16 v103, v49, v51, v103 op_sel:[0,1,0]
	v_pk_fma_f16 v104, v49, v52, v104 op_sel_hi:[1,0,1]
	v_pk_fma_f16 v105, v49, v52, v105 op_sel:[0,1,0]
	;; [unrolled: 2-line block ×7, first 2 shown]
	ds_load_b128 v[46:49], v87 offset:144
	v_pk_fma_f16 v109, v50, v54, v109 op_sel_hi:[1,0,1]
	v_pk_fma_f16 v44, v50, v54, v44 op_sel:[0,1,0]
	s_waitcnt lgkmcnt(1)
	v_pk_fma_f16 v54, v55, v99, v98 op_sel_hi:[1,0,1]
	v_pk_fma_f16 v103, v55, v99, v103 op_sel:[0,1,0]
	v_pk_fma_f16 v104, v55, v100, v104 op_sel_hi:[1,0,1]
	v_pk_fma_f16 v105, v55, v100, v105 op_sel:[0,1,0]
	;; [unrolled: 2-line block ×7, first 2 shown]
	ds_load_2addr_b64 v[50:53], v45 offset0:64 offset1:96
	ds_load_b128 v[95:98], v87 offset:160
	v_pk_fma_f16 v109, v56, v102, v109 op_sel_hi:[1,0,1]
	v_pk_fma_f16 v44, v56, v102, v44 op_sel:[0,1,0]
	s_waitcnt lgkmcnt(2)
	v_pk_fma_f16 v102, v57, v46, v54 op_sel_hi:[1,0,1]
	v_pk_fma_f16 v103, v57, v46, v103 op_sel:[0,1,0]
	v_pk_fma_f16 v104, v57, v47, v104 op_sel_hi:[1,0,1]
	v_pk_fma_f16 v105, v57, v47, v105 op_sel:[0,1,0]
	v_pk_fma_f16 v107, v57, v48, v107 op_sel_hi:[1,0,1]
	v_pk_fma_f16 v108, v57, v48, v108 op_sel:[0,1,0]
	v_pk_fma_f16 v106, v57, v49, v106 op_sel_hi:[1,0,1]
	v_pk_fma_f16 v43, v57, v49, v43 op_sel:[0,1,0]
	v_pk_fma_f16 v112, v58, v46, v55 op_sel_hi:[1,0,1]
	ds_load_b128 v[54:57], v87 offset:176
	v_pk_fma_f16 v46, v58, v46, v99 op_sel:[0,1,0]
	v_pk_fma_f16 v99, v58, v47, v110 op_sel_hi:[1,0,1]
	v_pk_fma_f16 v47, v58, v47, v100 op_sel:[0,1,0]
	v_pk_fma_f16 v100, v58, v48, v111 op_sel_hi:[1,0,1]
	;; [unrolled: 2-line block ×3, first 2 shown]
	v_pk_fma_f16 v44, v58, v49, v44 op_sel:[0,1,0]
	s_waitcnt lgkmcnt(1)
	v_pk_fma_f16 v49, v50, v95, v102 op_sel_hi:[1,0,1]
	v_pk_fma_f16 v58, v50, v95, v103 op_sel:[0,1,0]
	v_pk_fma_f16 v219, v50, v96, v104 op_sel_hi:[1,0,1]
	v_pk_fma_f16 v220, v50, v96, v105 op_sel:[0,1,0]
	;; [unrolled: 2-line block ×4, first 2 shown]
	s_addc_u32 s5, s21, s5
	v_add_co_u32 v50, vcc_lo, s4, v13
	v_pk_fma_f16 v225, v51, v95, v112 op_sel_hi:[1,0,1]
	v_pk_fma_f16 v226, v51, v95, v46 op_sel:[0,1,0]
	v_pk_fma_f16 v227, v51, v96, v99 op_sel_hi:[1,0,1]
	v_pk_fma_f16 v228, v51, v96, v47 op_sel:[0,1,0]
	;; [unrolled: 2-line block ×4, first 2 shown]
	v_add_co_ci_u32_e32 v51, vcc_lo, s5, v14, vcc_lo
	v_add_co_u32 v211, vcc_lo, s4, v15
	v_add_co_ci_u32_e32 v212, vcc_lo, s5, v16, vcc_lo
	v_add_co_u32 v50, vcc_lo, v50, v93
	s_delay_alu instid0(VALU_DEP_4) | instskip(NEXT) | instid1(VALU_DEP_4)
	v_add_co_ci_u32_e32 v51, vcc_lo, 0, v51, vcc_lo
	v_add_co_u32 v215, vcc_lo, v211, v93
	v_add_nc_u32_e32 v43, 0x1800, v90
	v_add_co_ci_u32_e32 v216, vcc_lo, 0, v212, vcc_lo
	v_add_nc_u32_e32 v44, 0x1000, v90
	s_waitcnt lgkmcnt(0)
	v_pk_fma_f16 v233, v52, v54, v49 op_sel_hi:[1,0,1]
	ds_load_2addr_b64 v[46:49], v45 offset0:128 offset1:160
	ds_load_b128 v[95:98], v87 offset:192
	ds_load_b128 v[99:102], v87 offset:208
	ds_load_2addr_b64 v[103:106], v45 offset0:192 offset1:224
	ds_load_b128 v[107:110], v87 offset:224
	ds_load_b128 v[111:114], v87 offset:240
	ds_load_2addr_b64 v[115:118], v44 offset1:32
	ds_load_b128 v[119:122], v87 offset:256
	ds_load_b128 v[123:126], v87 offset:272
	ds_load_2addr_b64 v[127:130], v44 offset0:64 offset1:96
	ds_load_b128 v[131:134], v87 offset:288
	ds_load_b128 v[135:138], v87 offset:304
	ds_load_2addr_b64 v[139:142], v44 offset0:128 offset1:160
	;; [unrolled: 3-line block ×3, first 2 shown]
	ds_load_b128 v[155:158], v87 offset:352
	ds_load_b128 v[159:162], v87 offset:368
	ds_load_2addr_b64 v[163:166], v43 offset1:32
	ds_load_b128 v[167:170], v87 offset:384
	ds_load_b128 v[171:174], v87 offset:400
	ds_load_2addr_b64 v[175:178], v43 offset0:64 offset1:96
	ds_load_b128 v[179:182], v87 offset:416
	ds_load_b128 v[183:186], v87 offset:432
	ds_load_2addr_b64 v[187:190], v43 offset0:128 offset1:160
	;; [unrolled: 3-line block ×3, first 2 shown]
	ds_load_b128 v[203:206], v87 offset:480
	ds_load_b128 v[207:210], v87 offset:496
	s_waitcnt lgkmcnt(0)
	s_barrier
	buffer_gl0_inv
	s_clause 0x1
	global_load_b128 v[211:214], v[50:51], off
	global_load_b128 v[215:218], v[215:216], off
	v_pk_fma_f16 v58, v52, v54, v58 op_sel:[0,1,0]
	v_pk_fma_f16 v50, v52, v55, v219 op_sel_hi:[1,0,1]
	v_pk_fma_f16 v51, v52, v55, v220 op_sel:[0,1,0]
	v_pk_fma_f16 v219, v52, v56, v221 op_sel_hi:[1,0,1]
	;; [unrolled: 2-line block ×20, first 2 shown]
	v_pk_fma_f16 v52, v49, v99, v54 op_sel:[0,1,0]
	v_pk_fma_f16 v47, v49, v102, v47 op_sel:[0,1,0]
	v_pk_fma_f16 v54, v49, v100, v95 op_sel_hi:[1,0,1]
	v_pk_fma_f16 v55, v49, v100, v55 op_sel:[0,1,0]
	v_pk_fma_f16 v95, v49, v101, v96 op_sel_hi:[1,0,1]
	;; [unrolled: 2-line block ×3, first 2 shown]
	v_pk_fma_f16 v49, v103, v107, v53 op_sel_hi:[1,0,1]
	v_pk_fma_f16 v53, v103, v107, v57 op_sel:[0,1,0]
	v_pk_fma_f16 v50, v103, v108, v50 op_sel_hi:[1,0,1]
	v_pk_fma_f16 v51, v103, v108, v51 op_sel:[0,1,0]
	v_pk_fma_f16 v46, v103, v110, v46 op_sel:[0,1,0]
	v_pk_fma_f16 v48, v104, v107, v48 op_sel_hi:[1,0,1]
	v_pk_fma_f16 v52, v104, v107, v52 op_sel:[0,1,0]
	;; [unrolled: 3-line block ×3, first 2 shown]
	v_pk_fma_f16 v50, v105, v112, v50 op_sel_hi:[1,0,1]
	v_pk_fma_f16 v51, v105, v112, v51 op_sel:[0,1,0]
	v_pk_fma_f16 v46, v105, v114, v46 op_sel:[0,1,0]
	v_pk_fma_f16 v48, v106, v111, v48 op_sel_hi:[1,0,1]
	v_pk_fma_f16 v52, v106, v111, v52 op_sel:[0,1,0]
	v_pk_fma_f16 v47, v106, v114, v47 op_sel:[0,1,0]
	v_pk_fma_f16 v57, v103, v109, v58 op_sel_hi:[1,0,1]
	v_pk_fma_f16 v58, v103, v109, v98 op_sel:[0,1,0]
	v_pk_fma_f16 v97, v103, v110, v219 op_sel_hi:[1,0,1]
	v_pk_fma_f16 v49, v115, v119, v49 op_sel_hi:[1,0,1]
	v_pk_fma_f16 v53, v115, v119, v53 op_sel:[0,1,0]
	v_pk_fma_f16 v50, v115, v120, v50 op_sel_hi:[1,0,1]
	v_pk_fma_f16 v51, v115, v120, v51 op_sel:[0,1,0]
	v_pk_fma_f16 v46, v115, v122, v46 op_sel:[0,1,0]
	v_pk_fma_f16 v48, v116, v119, v48 op_sel_hi:[1,0,1]
	v_pk_fma_f16 v52, v116, v119, v52 op_sel:[0,1,0]
	v_pk_fma_f16 v47, v116, v122, v47 op_sel:[0,1,0]
	v_pk_fma_f16 v54, v104, v108, v54 op_sel_hi:[1,0,1]
	v_pk_fma_f16 v55, v104, v108, v55 op_sel:[0,1,0]
	v_pk_fma_f16 v95, v104, v109, v95 op_sel_hi:[1,0,1]
	v_pk_fma_f16 v56, v104, v109, v56 op_sel:[0,1,0]
	v_pk_fma_f16 v96, v104, v110, v96 op_sel_hi:[1,0,1]
	v_pk_fma_f16 v57, v105, v113, v57 op_sel_hi:[1,0,1]
	v_pk_fma_f16 v58, v105, v113, v58 op_sel:[0,1,0]
	v_pk_fma_f16 v97, v105, v114, v97 op_sel_hi:[1,0,1]
	v_pk_fma_f16 v49, v117, v123, v49 op_sel_hi:[1,0,1]
	v_pk_fma_f16 v53, v117, v123, v53 op_sel:[0,1,0]
	v_pk_fma_f16 v50, v117, v124, v50 op_sel_hi:[1,0,1]
	v_pk_fma_f16 v51, v117, v124, v51 op_sel:[0,1,0]
	v_pk_fma_f16 v46, v117, v126, v46 op_sel:[0,1,0]
	v_pk_fma_f16 v48, v118, v123, v48 op_sel_hi:[1,0,1]
	v_pk_fma_f16 v52, v118, v123, v52 op_sel:[0,1,0]
	v_pk_fma_f16 v47, v118, v126, v47 op_sel:[0,1,0]
	v_pk_fma_f16 v54, v106, v112, v54 op_sel_hi:[1,0,1]
	v_pk_fma_f16 v55, v106, v112, v55 op_sel:[0,1,0]
	v_pk_fma_f16 v95, v106, v113, v95 op_sel_hi:[1,0,1]
	v_pk_fma_f16 v56, v106, v113, v56 op_sel:[0,1,0]
	v_pk_fma_f16 v96, v106, v114, v96 op_sel_hi:[1,0,1]
	;; [unrolled: 16-line block ×14, first 2 shown]
	v_pk_fma_f16 v57, v187, v193, v57 op_sel_hi:[1,0,1]
	v_pk_fma_f16 v58, v187, v193, v58 op_sel:[0,1,0]
	v_pk_fma_f16 v97, v187, v194, v97 op_sel_hi:[1,0,1]
	v_pk_fma_f16 v98, v199, v203, v49 op_sel_hi:[1,0,1]
	v_pk_fma_f16 v99, v199, v203, v53 op_sel:[0,1,0]
	v_pk_fma_f16 v100, v199, v204, v50 op_sel_hi:[1,0,1]
	v_pk_fma_f16 v101, v199, v204, v51 op_sel:[0,1,0]
	v_pk_fma_f16 v102, v199, v206, v46 op_sel:[0,1,0]
	v_pk_fma_f16 v103, v200, v203, v48 op_sel_hi:[1,0,1]
	v_pk_fma_f16 v104, v200, v203, v52 op_sel:[0,1,0]
	v_pk_fma_f16 v105, v200, v206, v47 op_sel:[0,1,0]
	s_waitcnt vmcnt(1)
	ds_store_b128 v88, v[211:214]
	s_waitcnt vmcnt(0)
	ds_store_b128 v89, v[215:218]
	s_waitcnt lgkmcnt(0)
	s_barrier
	buffer_gl0_inv
	ds_load_2addr_b64 v[46:49], v90 offset1:32
	ds_load_b128 v[50:53], v87 offset:512
	v_pk_fma_f16 v54, v188, v192, v54 op_sel_hi:[1,0,1]
	v_pk_fma_f16 v55, v188, v192, v55 op_sel:[0,1,0]
	v_pk_fma_f16 v95, v188, v193, v95 op_sel_hi:[1,0,1]
	v_pk_fma_f16 v56, v188, v193, v56 op_sel:[0,1,0]
	v_pk_fma_f16 v96, v188, v194, v96 op_sel_hi:[1,0,1]
	v_pk_fma_f16 v57, v189, v197, v57 op_sel_hi:[1,0,1]
	v_pk_fma_f16 v58, v189, v197, v58 op_sel:[0,1,0]
	v_pk_fma_f16 v97, v189, v198, v97 op_sel_hi:[1,0,1]
	v_pk_fma_f16 v54, v190, v196, v54 op_sel_hi:[1,0,1]
	v_pk_fma_f16 v55, v190, v196, v55 op_sel:[0,1,0]
	v_pk_fma_f16 v95, v190, v197, v95 op_sel_hi:[1,0,1]
	v_pk_fma_f16 v56, v190, v197, v56 op_sel:[0,1,0]
	v_pk_fma_f16 v96, v190, v198, v96 op_sel_hi:[1,0,1]
	v_pk_fma_f16 v57, v199, v205, v57 op_sel_hi:[1,0,1]
	v_pk_fma_f16 v58, v199, v205, v58 op_sel:[0,1,0]
	v_pk_fma_f16 v97, v199, v206, v97 op_sel_hi:[1,0,1]
	v_pk_fma_f16 v54, v200, v204, v54 op_sel_hi:[1,0,1]
	v_pk_fma_f16 v55, v200, v204, v55 op_sel:[0,1,0]
	v_pk_fma_f16 v95, v200, v205, v95 op_sel_hi:[1,0,1]
	v_pk_fma_f16 v56, v200, v205, v56 op_sel:[0,1,0]
	v_pk_fma_f16 v96, v200, v206, v96 op_sel_hi:[1,0,1]
	v_pk_fma_f16 v106, v201, v207, v98 op_sel_hi:[1,0,1]
	v_pk_fma_f16 v107, v201, v207, v99 op_sel:[0,1,0]
	v_pk_fma_f16 v108, v201, v208, v100 op_sel_hi:[1,0,1]
	v_pk_fma_f16 v109, v201, v208, v101 op_sel:[0,1,0]
	v_pk_fma_f16 v110, v201, v209, v57 op_sel_hi:[1,0,1]
	v_pk_fma_f16 v58, v201, v209, v58 op_sel:[0,1,0]
	v_pk_fma_f16 v111, v201, v210, v97 op_sel_hi:[1,0,1]
	;; [unrolled: 2-line block ×6, first 2 shown]
	ds_load_b128 v[54:57], v87 offset:528
	ds_load_b128 v[95:98], v87 offset:544
	;; [unrolled: 1-line block ×3, first 2 shown]
	v_pk_fma_f16 v118, v202, v210, v105 op_sel:[0,1,0]
	s_waitcnt lgkmcnt(3)
	v_pk_fma_f16 v119, v46, v50, v106 op_sel_hi:[1,0,1]
	v_pk_fma_f16 v107, v46, v50, v107 op_sel:[0,1,0]
	v_pk_fma_f16 v108, v46, v51, v108 op_sel_hi:[1,0,1]
	v_pk_fma_f16 v109, v46, v51, v109 op_sel:[0,1,0]
	;; [unrolled: 2-line block ×5, first 2 shown]
	ds_load_2addr_b64 v[103:106], v90 offset0:64 offset1:96
	v_pk_fma_f16 v113, v47, v51, v113 op_sel_hi:[1,0,1]
	v_pk_fma_f16 v51, v47, v51, v114 op_sel:[0,1,0]
	v_pk_fma_f16 v114, v47, v52, v115 op_sel_hi:[1,0,1]
	v_pk_fma_f16 v52, v47, v52, v116 op_sel:[0,1,0]
	;; [unrolled: 2-line block ×3, first 2 shown]
	s_waitcnt lgkmcnt(3)
	v_pk_fma_f16 v53, v48, v54, v119 op_sel_hi:[1,0,1]
	v_pk_fma_f16 v107, v48, v54, v107 op_sel:[0,1,0]
	v_pk_fma_f16 v108, v48, v55, v108 op_sel_hi:[1,0,1]
	v_pk_fma_f16 v109, v48, v55, v109 op_sel:[0,1,0]
	;; [unrolled: 2-line block ×8, first 2 shown]
	s_waitcnt lgkmcnt(0)
	v_pk_fma_f16 v112, v103, v95, v53 op_sel_hi:[1,0,1]
	v_pk_fma_f16 v107, v103, v95, v107 op_sel:[0,1,0]
	v_pk_fma_f16 v108, v103, v96, v108 op_sel_hi:[1,0,1]
	v_pk_fma_f16 v109, v103, v96, v109 op_sel:[0,1,0]
	;; [unrolled: 2-line block ×7, first 2 shown]
	ds_load_2addr_b64 v[46:49], v90 offset0:128 offset1:160
	ds_load_b128 v[50:53], v87 offset:576
	v_pk_fma_f16 v56, v104, v98, v56 op_sel_hi:[1,0,1]
	v_pk_fma_f16 v98, v104, v98, v57 op_sel:[0,1,0]
	v_pk_fma_f16 v104, v105, v99, v112 op_sel_hi:[1,0,1]
	v_pk_fma_f16 v107, v105, v99, v107 op_sel:[0,1,0]
	;; [unrolled: 2-line block ×7, first 2 shown]
	v_pk_fma_f16 v100, v106, v101, v55 op_sel_hi:[1,0,1]
	v_pk_fma_f16 v112, v106, v102, v56 op_sel_hi:[1,0,1]
	ds_load_b128 v[54:57], v87 offset:592
	v_pk_fma_f16 v97, v106, v101, v97 op_sel:[0,1,0]
	v_pk_fma_f16 v106, v106, v102, v98 op_sel:[0,1,0]
	s_waitcnt lgkmcnt(1)
	v_pk_fma_f16 v104, v46, v50, v104 op_sel_hi:[1,0,1]
	v_pk_fma_f16 v107, v46, v50, v107 op_sel:[0,1,0]
	v_pk_fma_f16 v108, v46, v51, v108 op_sel_hi:[1,0,1]
	v_pk_fma_f16 v109, v46, v51, v109 op_sel:[0,1,0]
	;; [unrolled: 2-line block ×7, first 2 shown]
	ds_load_2addr_b64 v[95:98], v90 offset0:192 offset1:224
	ds_load_b128 v[99:102], v87 offset:608
	v_pk_fma_f16 v112, v47, v53, v112 op_sel_hi:[1,0,1]
	v_pk_fma_f16 v47, v47, v53, v106 op_sel:[0,1,0]
	s_waitcnt lgkmcnt(2)
	v_pk_fma_f16 v104, v48, v54, v104 op_sel_hi:[1,0,1]
	v_pk_fma_f16 v106, v48, v54, v107 op_sel:[0,1,0]
	v_pk_fma_f16 v107, v48, v55, v108 op_sel_hi:[1,0,1]
	v_pk_fma_f16 v108, v48, v55, v109 op_sel:[0,1,0]
	;; [unrolled: 2-line block ×7, first 2 shown]
	ds_load_b128 v[50:53], v87 offset:624
	v_pk_fma_f16 v111, v49, v57, v112 op_sel_hi:[1,0,1]
	v_pk_fma_f16 v112, v49, v57, v47 op_sel:[0,1,0]
	s_waitcnt lgkmcnt(1)
	v_pk_fma_f16 v104, v95, v99, v104 op_sel_hi:[1,0,1]
	v_pk_fma_f16 v106, v95, v99, v106 op_sel:[0,1,0]
	v_pk_fma_f16 v107, v95, v100, v107 op_sel_hi:[1,0,1]
	v_pk_fma_f16 v108, v95, v100, v108 op_sel:[0,1,0]
	v_pk_fma_f16 v109, v95, v101, v109 op_sel_hi:[1,0,1]
	v_pk_fma_f16 v58, v95, v101, v58 op_sel:[0,1,0]
	v_pk_fma_f16 v110, v95, v102, v110 op_sel_hi:[1,0,1]
	v_pk_fma_f16 v95, v95, v102, v46 op_sel:[0,1,0]
	v_pk_fma_f16 v113, v96, v99, v48 op_sel_hi:[1,0,1]
	v_pk_fma_f16 v99, v96, v99, v54 op_sel:[0,1,0]
	v_pk_fma_f16 v103, v96, v100, v103 op_sel_hi:[1,0,1]
	v_pk_fma_f16 v100, v96, v100, v55 op_sel:[0,1,0]
	v_pk_fma_f16 v105, v96, v101, v105 op_sel_hi:[1,0,1]
	v_pk_fma_f16 v101, v96, v101, v56 op_sel:[0,1,0]
	ds_load_2addr_b64 v[46:49], v45 offset1:32
	ds_load_b128 v[54:57], v87 offset:640
	v_pk_fma_f16 v111, v96, v102, v111 op_sel_hi:[1,0,1]
	v_pk_fma_f16 v96, v96, v102, v112 op_sel:[0,1,0]
	s_waitcnt lgkmcnt(2)
	v_pk_fma_f16 v104, v97, v50, v104 op_sel_hi:[1,0,1]
	v_pk_fma_f16 v106, v97, v50, v106 op_sel:[0,1,0]
	v_pk_fma_f16 v107, v97, v51, v107 op_sel_hi:[1,0,1]
	v_pk_fma_f16 v108, v97, v51, v108 op_sel:[0,1,0]
	v_pk_fma_f16 v109, v97, v52, v109 op_sel_hi:[1,0,1]
	v_pk_fma_f16 v58, v97, v52, v58 op_sel:[0,1,0]
	v_pk_fma_f16 v110, v97, v53, v110 op_sel_hi:[1,0,1]
	v_pk_fma_f16 v95, v97, v53, v95 op_sel:[0,1,0]
	v_pk_fma_f16 v97, v98, v50, v113 op_sel_hi:[1,0,1]
	v_pk_fma_f16 v50, v98, v50, v99 op_sel:[0,1,0]
	v_pk_fma_f16 v103, v98, v51, v103 op_sel_hi:[1,0,1]
	v_pk_fma_f16 v51, v98, v51, v100 op_sel:[0,1,0]
	v_pk_fma_f16 v105, v98, v52, v105 op_sel_hi:[1,0,1]
	v_pk_fma_f16 v52, v98, v52, v101 op_sel:[0,1,0]
	ds_load_b128 v[99:102], v87 offset:656
	v_pk_fma_f16 v111, v98, v53, v111 op_sel_hi:[1,0,1]
	v_pk_fma_f16 v112, v98, v53, v96 op_sel:[0,1,0]
	s_waitcnt lgkmcnt(1)
	v_pk_fma_f16 v104, v46, v54, v104 op_sel_hi:[1,0,1]
	v_pk_fma_f16 v106, v46, v54, v106 op_sel:[0,1,0]
	v_pk_fma_f16 v107, v46, v55, v107 op_sel_hi:[1,0,1]
	v_pk_fma_f16 v108, v46, v55, v108 op_sel:[0,1,0]
	v_pk_fma_f16 v109, v46, v56, v109 op_sel_hi:[1,0,1]
	v_pk_fma_f16 v58, v46, v56, v58 op_sel:[0,1,0]
	v_pk_fma_f16 v110, v46, v57, v110 op_sel_hi:[1,0,1]
	v_pk_fma_f16 v46, v46, v57, v95 op_sel:[0,1,0]
	v_pk_fma_f16 v113, v47, v54, v97 op_sel_hi:[1,0,1]
	v_pk_fma_f16 v54, v47, v54, v50 op_sel:[0,1,0]
	v_pk_fma_f16 v103, v47, v55, v103 op_sel_hi:[1,0,1]
	v_pk_fma_f16 v55, v47, v55, v51 op_sel:[0,1,0]
	v_pk_fma_f16 v105, v47, v56, v105 op_sel_hi:[1,0,1]
	v_pk_fma_f16 v56, v47, v56, v52 op_sel:[0,1,0]
	ds_load_2addr_b64 v[50:53], v45 offset0:64 offset1:96
	ds_load_b128 v[95:98], v87 offset:672
	v_pk_fma_f16 v111, v47, v57, v111 op_sel_hi:[1,0,1]
	v_pk_fma_f16 v47, v47, v57, v112 op_sel:[0,1,0]
	s_waitcnt lgkmcnt(2)
	v_pk_fma_f16 v104, v48, v99, v104 op_sel_hi:[1,0,1]
	v_pk_fma_f16 v106, v48, v99, v106 op_sel:[0,1,0]
	v_pk_fma_f16 v107, v48, v100, v107 op_sel_hi:[1,0,1]
	v_pk_fma_f16 v108, v48, v100, v108 op_sel:[0,1,0]
	v_pk_fma_f16 v109, v48, v101, v109 op_sel_hi:[1,0,1]
	v_pk_fma_f16 v58, v48, v101, v58 op_sel:[0,1,0]
	v_pk_fma_f16 v110, v48, v102, v110 op_sel_hi:[1,0,1]
	v_pk_fma_f16 v46, v48, v102, v46 op_sel:[0,1,0]
	v_pk_fma_f16 v48, v49, v99, v113 op_sel_hi:[1,0,1]
	v_pk_fma_f16 v99, v49, v99, v54 op_sel:[0,1,0]
	v_pk_fma_f16 v103, v49, v100, v103 op_sel_hi:[1,0,1]
	v_pk_fma_f16 v100, v49, v100, v55 op_sel:[0,1,0]
	v_pk_fma_f16 v105, v49, v101, v105 op_sel_hi:[1,0,1]
	v_pk_fma_f16 v101, v49, v101, v56 op_sel:[0,1,0]
	ds_load_b128 v[54:57], v87 offset:688
	v_pk_fma_f16 v111, v49, v102, v111 op_sel_hi:[1,0,1]
	v_pk_fma_f16 v112, v49, v102, v47 op_sel:[0,1,0]
	s_waitcnt lgkmcnt(1)
	v_pk_fma_f16 v104, v50, v95, v104 op_sel_hi:[1,0,1]
	v_pk_fma_f16 v106, v50, v95, v106 op_sel:[0,1,0]
	v_pk_fma_f16 v107, v50, v96, v107 op_sel_hi:[1,0,1]
	v_pk_fma_f16 v108, v50, v96, v108 op_sel:[0,1,0]
	v_pk_fma_f16 v109, v50, v97, v109 op_sel_hi:[1,0,1]
	v_pk_fma_f16 v58, v50, v97, v58 op_sel:[0,1,0]
	v_pk_fma_f16 v110, v50, v98, v110 op_sel_hi:[1,0,1]
	v_pk_fma_f16 v50, v50, v98, v46 op_sel:[0,1,0]
	v_pk_fma_f16 v113, v51, v95, v48 op_sel_hi:[1,0,1]
	v_pk_fma_f16 v95, v51, v95, v99 op_sel:[0,1,0]
	v_pk_fma_f16 v103, v51, v96, v103 op_sel_hi:[1,0,1]
	v_pk_fma_f16 v96, v51, v96, v100 op_sel:[0,1,0]
	v_pk_fma_f16 v105, v51, v97, v105 op_sel_hi:[1,0,1]
	v_pk_fma_f16 v97, v51, v97, v101 op_sel:[0,1,0]
	ds_load_2addr_b64 v[46:49], v45 offset0:128 offset1:160
	;; [unrolled: 37-line block ×3, first 2 shown]
	ds_load_b128 v[54:57], v87 offset:736
	v_pk_fma_f16 v45, v47, v102, v111 op_sel_hi:[1,0,1]
	v_pk_fma_f16 v102, v47, v102, v112 op_sel:[0,1,0]
	s_waitcnt lgkmcnt(2)
	v_pk_fma_f16 v104, v48, v95, v104 op_sel_hi:[1,0,1]
	v_pk_fma_f16 v106, v48, v95, v106 op_sel:[0,1,0]
	v_pk_fma_f16 v107, v48, v96, v107 op_sel_hi:[1,0,1]
	v_pk_fma_f16 v108, v48, v96, v108 op_sel:[0,1,0]
	v_pk_fma_f16 v109, v48, v97, v109 op_sel_hi:[1,0,1]
	v_pk_fma_f16 v58, v48, v97, v58 op_sel:[0,1,0]
	v_pk_fma_f16 v110, v48, v98, v110 op_sel_hi:[1,0,1]
	v_pk_fma_f16 v111, v48, v98, v46 op_sel:[0,1,0]
	v_pk_fma_f16 v112, v49, v95, v113 op_sel_hi:[1,0,1]
	v_pk_fma_f16 v95, v49, v95, v99 op_sel:[0,1,0]
	v_pk_fma_f16 v99, v49, v96, v103 op_sel_hi:[1,0,1]
	v_pk_fma_f16 v103, v49, v98, v45 op_sel_hi:[1,0,1]
	ds_load_b128 v[45:48], v87 offset:752
	v_pk_fma_f16 v96, v49, v96, v100 op_sel:[0,1,0]
	v_pk_fma_f16 v100, v49, v97, v105 op_sel_hi:[1,0,1]
	v_pk_fma_f16 v97, v49, v97, v101 op_sel:[0,1,0]
	v_pk_fma_f16 v49, v49, v98, v102 op_sel:[0,1,0]
	s_waitcnt lgkmcnt(1)
	v_pk_fma_f16 v104, v50, v54, v104 op_sel_hi:[1,0,1]
	v_pk_fma_f16 v105, v50, v54, v106 op_sel:[0,1,0]
	v_pk_fma_f16 v106, v50, v55, v107 op_sel_hi:[1,0,1]
	v_pk_fma_f16 v107, v50, v55, v108 op_sel:[0,1,0]
	;; [unrolled: 2-line block ×7, first 2 shown]
	ds_load_2addr_b64 v[95:98], v44 offset1:32
	ds_load_b128 v[99:102], v87 offset:768
	v_pk_fma_f16 v103, v51, v57, v103 op_sel_hi:[1,0,1]
	v_pk_fma_f16 v57, v51, v57, v49 op_sel:[0,1,0]
	s_waitcnt lgkmcnt(2)
	v_pk_fma_f16 v104, v52, v45, v104 op_sel_hi:[1,0,1]
	v_pk_fma_f16 v105, v52, v45, v105 op_sel:[0,1,0]
	v_pk_fma_f16 v106, v52, v46, v106 op_sel_hi:[1,0,1]
	v_pk_fma_f16 v107, v52, v46, v107 op_sel:[0,1,0]
	;; [unrolled: 2-line block ×4, first 2 shown]
	ds_load_b128 v[49:52], v87 offset:784
	v_pk_fma_f16 v110, v53, v45, v110 op_sel_hi:[1,0,1]
	v_pk_fma_f16 v45, v53, v45, v54 op_sel:[0,1,0]
	v_pk_fma_f16 v54, v53, v46, v111 op_sel_hi:[1,0,1]
	v_pk_fma_f16 v46, v53, v46, v55 op_sel:[0,1,0]
	;; [unrolled: 2-line block ×4, first 2 shown]
	s_waitcnt lgkmcnt(1)
	v_pk_fma_f16 v104, v95, v99, v104 op_sel_hi:[1,0,1]
	v_pk_fma_f16 v105, v95, v99, v105 op_sel:[0,1,0]
	v_pk_fma_f16 v106, v95, v100, v106 op_sel_hi:[1,0,1]
	v_pk_fma_f16 v107, v95, v100, v107 op_sel:[0,1,0]
	;; [unrolled: 2-line block ×7, first 2 shown]
	ds_load_2addr_b64 v[45:48], v44 offset0:64 offset1:96
	ds_load_b128 v[53:56], v87 offset:800
	v_pk_fma_f16 v103, v96, v102, v103 op_sel_hi:[1,0,1]
	v_pk_fma_f16 v57, v96, v102, v57 op_sel:[0,1,0]
	s_waitcnt lgkmcnt(2)
	v_pk_fma_f16 v96, v97, v49, v104 op_sel_hi:[1,0,1]
	v_pk_fma_f16 v104, v97, v49, v105 op_sel:[0,1,0]
	v_pk_fma_f16 v105, v97, v50, v106 op_sel_hi:[1,0,1]
	v_pk_fma_f16 v106, v97, v50, v107 op_sel:[0,1,0]
	;; [unrolled: 2-line block ×7, first 2 shown]
	ds_load_b128 v[99:102], v87 offset:816
	v_pk_fma_f16 v103, v98, v52, v103 op_sel_hi:[1,0,1]
	v_pk_fma_f16 v57, v98, v52, v57 op_sel:[0,1,0]
	s_waitcnt lgkmcnt(1)
	v_pk_fma_f16 v111, v45, v53, v96 op_sel_hi:[1,0,1]
	v_pk_fma_f16 v104, v45, v53, v104 op_sel:[0,1,0]
	v_pk_fma_f16 v105, v45, v54, v105 op_sel_hi:[1,0,1]
	v_pk_fma_f16 v106, v45, v54, v106 op_sel:[0,1,0]
	;; [unrolled: 2-line block ×7, first 2 shown]
	ds_load_2addr_b64 v[49:52], v44 offset0:128 offset1:160
	ds_load_b128 v[95:98], v87 offset:832
	v_pk_fma_f16 v103, v46, v56, v103 op_sel_hi:[1,0,1]
	v_pk_fma_f16 v46, v46, v56, v57 op_sel:[0,1,0]
	s_waitcnt lgkmcnt(2)
	v_pk_fma_f16 v57, v47, v99, v111 op_sel_hi:[1,0,1]
	v_pk_fma_f16 v104, v47, v99, v104 op_sel:[0,1,0]
	v_pk_fma_f16 v105, v47, v100, v105 op_sel_hi:[1,0,1]
	v_pk_fma_f16 v106, v47, v100, v106 op_sel:[0,1,0]
	;; [unrolled: 2-line block ×7, first 2 shown]
	ds_load_b128 v[53:56], v87 offset:848
	v_pk_fma_f16 v103, v48, v102, v103 op_sel_hi:[1,0,1]
	v_pk_fma_f16 v48, v48, v102, v46 op_sel:[0,1,0]
	s_waitcnt lgkmcnt(1)
	v_pk_fma_f16 v57, v49, v95, v57 op_sel_hi:[1,0,1]
	v_pk_fma_f16 v104, v49, v95, v104 op_sel:[0,1,0]
	v_pk_fma_f16 v105, v49, v96, v105 op_sel_hi:[1,0,1]
	v_pk_fma_f16 v106, v49, v96, v106 op_sel:[0,1,0]
	;; [unrolled: 2-line block ×7, first 2 shown]
	ds_load_2addr_b64 v[44:47], v44 offset0:192 offset1:224
	ds_load_b128 v[99:102], v87 offset:864
	v_pk_fma_f16 v103, v50, v98, v103 op_sel_hi:[1,0,1]
	v_pk_fma_f16 v98, v50, v98, v48 op_sel:[0,1,0]
	s_waitcnt lgkmcnt(2)
	v_pk_fma_f16 v57, v51, v53, v57 op_sel_hi:[1,0,1]
	v_pk_fma_f16 v104, v51, v53, v104 op_sel:[0,1,0]
	v_pk_fma_f16 v105, v51, v54, v105 op_sel_hi:[1,0,1]
	v_pk_fma_f16 v106, v51, v54, v106 op_sel:[0,1,0]
	;; [unrolled: 2-line block ×4, first 2 shown]
	ds_load_b128 v[48:51], v87 offset:880
	v_pk_fma_f16 v111, v52, v53, v111 op_sel_hi:[1,0,1]
	v_pk_fma_f16 v53, v52, v53, v95 op_sel:[0,1,0]
	v_pk_fma_f16 v95, v52, v54, v109 op_sel_hi:[1,0,1]
	v_pk_fma_f16 v54, v52, v54, v96 op_sel:[0,1,0]
	;; [unrolled: 2-line block ×4, first 2 shown]
	s_waitcnt lgkmcnt(1)
	v_pk_fma_f16 v57, v44, v99, v57 op_sel_hi:[1,0,1]
	v_pk_fma_f16 v104, v44, v99, v104 op_sel:[0,1,0]
	v_pk_fma_f16 v105, v44, v100, v105 op_sel_hi:[1,0,1]
	v_pk_fma_f16 v106, v44, v100, v106 op_sel:[0,1,0]
	;; [unrolled: 2-line block ×7, first 2 shown]
	ds_load_2addr_b64 v[52:55], v43 offset1:32
	ds_load_b128 v[95:98], v87 offset:896
	v_pk_fma_f16 v103, v45, v102, v103 op_sel_hi:[1,0,1]
	v_pk_fma_f16 v45, v45, v102, v56 op_sel:[0,1,0]
	s_waitcnt lgkmcnt(2)
	v_pk_fma_f16 v56, v46, v48, v57 op_sel_hi:[1,0,1]
	v_pk_fma_f16 v57, v46, v48, v104 op_sel:[0,1,0]
	v_pk_fma_f16 v104, v46, v49, v105 op_sel_hi:[1,0,1]
	v_pk_fma_f16 v105, v46, v49, v106 op_sel:[0,1,0]
	v_pk_fma_f16 v106, v46, v50, v107 op_sel_hi:[1,0,1]
	v_pk_fma_f16 v58, v46, v50, v58 op_sel:[0,1,0]
	v_pk_fma_f16 v107, v46, v51, v108 op_sel_hi:[1,0,1]
	v_pk_fma_f16 v44, v46, v51, v44 op_sel:[0,1,0]
	v_pk_fma_f16 v46, v47, v48, v109 op_sel_hi:[1,0,1]
	v_pk_fma_f16 v48, v47, v48, v99 op_sel:[0,1,0]
	v_pk_fma_f16 v108, v47, v49, v110 op_sel_hi:[1,0,1]
	v_pk_fma_f16 v49, v47, v49, v100 op_sel:[0,1,0]
	v_pk_fma_f16 v109, v47, v50, v111 op_sel_hi:[1,0,1]
	v_pk_fma_f16 v50, v47, v50, v101 op_sel:[0,1,0]
	ds_load_b128 v[99:102], v87 offset:912
	v_pk_fma_f16 v103, v47, v51, v103 op_sel_hi:[1,0,1]
	v_pk_fma_f16 v110, v47, v51, v45 op_sel:[0,1,0]
	s_waitcnt lgkmcnt(1)
	v_pk_fma_f16 v56, v52, v95, v56 op_sel_hi:[1,0,1]
	v_pk_fma_f16 v57, v52, v95, v57 op_sel:[0,1,0]
	v_pk_fma_f16 v104, v52, v96, v104 op_sel_hi:[1,0,1]
	v_pk_fma_f16 v105, v52, v96, v105 op_sel:[0,1,0]
	v_pk_fma_f16 v106, v52, v97, v106 op_sel_hi:[1,0,1]
	v_pk_fma_f16 v58, v52, v97, v58 op_sel:[0,1,0]
	v_pk_fma_f16 v107, v52, v98, v107 op_sel_hi:[1,0,1]
	v_pk_fma_f16 v52, v52, v98, v44 op_sel:[0,1,0]
	v_pk_fma_f16 v111, v53, v95, v46 op_sel_hi:[1,0,1]
	v_pk_fma_f16 v95, v53, v95, v48 op_sel:[0,1,0]
	v_pk_fma_f16 v108, v53, v96, v108 op_sel_hi:[1,0,1]
	v_pk_fma_f16 v96, v53, v96, v49 op_sel:[0,1,0]
	v_pk_fma_f16 v109, v53, v97, v109 op_sel_hi:[1,0,1]
	v_pk_fma_f16 v97, v53, v97, v50 op_sel:[0,1,0]
	ds_load_2addr_b64 v[44:47], v43 offset0:64 offset1:96
	ds_load_b128 v[48:51], v87 offset:928
	v_pk_fma_f16 v103, v53, v98, v103 op_sel_hi:[1,0,1]
	v_pk_fma_f16 v53, v53, v98, v110 op_sel:[0,1,0]
	s_waitcnt lgkmcnt(2)
	v_pk_fma_f16 v56, v54, v99, v56 op_sel_hi:[1,0,1]
	v_pk_fma_f16 v57, v54, v99, v57 op_sel:[0,1,0]
	v_pk_fma_f16 v104, v54, v100, v104 op_sel_hi:[1,0,1]
	v_pk_fma_f16 v105, v54, v100, v105 op_sel:[0,1,0]
	v_pk_fma_f16 v106, v54, v101, v106 op_sel_hi:[1,0,1]
	v_pk_fma_f16 v58, v54, v101, v58 op_sel:[0,1,0]
	v_pk_fma_f16 v107, v54, v102, v107 op_sel_hi:[1,0,1]
	v_pk_fma_f16 v52, v54, v102, v52 op_sel:[0,1,0]
	v_pk_fma_f16 v54, v55, v99, v111 op_sel_hi:[1,0,1]
	v_pk_fma_f16 v99, v55, v99, v95 op_sel:[0,1,0]
	v_pk_fma_f16 v108, v55, v100, v108 op_sel_hi:[1,0,1]
	v_pk_fma_f16 v100, v55, v100, v96 op_sel:[0,1,0]
	v_pk_fma_f16 v109, v55, v101, v109 op_sel_hi:[1,0,1]
	v_pk_fma_f16 v101, v55, v101, v97 op_sel:[0,1,0]
	ds_load_b128 v[95:98], v87 offset:944
	v_pk_fma_f16 v103, v55, v102, v103 op_sel_hi:[1,0,1]
	v_pk_fma_f16 v110, v55, v102, v53 op_sel:[0,1,0]
	s_waitcnt lgkmcnt(1)
	v_pk_fma_f16 v56, v44, v48, v56 op_sel_hi:[1,0,1]
	v_pk_fma_f16 v57, v44, v48, v57 op_sel:[0,1,0]
	v_pk_fma_f16 v104, v44, v49, v104 op_sel_hi:[1,0,1]
	v_pk_fma_f16 v105, v44, v49, v105 op_sel:[0,1,0]
	v_pk_fma_f16 v106, v44, v50, v106 op_sel_hi:[1,0,1]
	v_pk_fma_f16 v58, v44, v50, v58 op_sel:[0,1,0]
	v_pk_fma_f16 v107, v44, v51, v107 op_sel_hi:[1,0,1]
	v_pk_fma_f16 v44, v44, v51, v52 op_sel:[0,1,0]
	v_pk_fma_f16 v111, v45, v48, v54 op_sel_hi:[1,0,1]
	v_pk_fma_f16 v48, v45, v48, v99 op_sel:[0,1,0]
	v_pk_fma_f16 v108, v45, v49, v108 op_sel_hi:[1,0,1]
	v_pk_fma_f16 v49, v45, v49, v100 op_sel:[0,1,0]
	v_pk_fma_f16 v109, v45, v50, v109 op_sel_hi:[1,0,1]
	v_pk_fma_f16 v50, v45, v50, v101 op_sel:[0,1,0]
	ds_load_2addr_b64 v[52:55], v43 offset0:128 offset1:160
	;; [unrolled: 37-line block ×3, first 2 shown]
	ds_load_b128 v[43:46], v87 offset:992
	v_pk_fma_f16 v103, v53, v102, v103 op_sel_hi:[1,0,1]
	v_pk_fma_f16 v47, v53, v102, v47 op_sel:[0,1,0]
	s_waitcnt lgkmcnt(2)
	v_pk_fma_f16 v53, v54, v48, v56 op_sel_hi:[1,0,1]
	v_pk_fma_f16 v56, v54, v48, v57 op_sel:[0,1,0]
	v_pk_fma_f16 v57, v54, v49, v104 op_sel_hi:[1,0,1]
	v_pk_fma_f16 v104, v54, v49, v105 op_sel:[0,1,0]
	;; [unrolled: 2-line block ×7, first 2 shown]
	ds_load_b128 v[99:102], v87 offset:1008
	s_waitcnt lgkmcnt(0)
	s_barrier
	buffer_gl0_inv
	s_load_b32 s4, s[12:13], 0x4
	v_pk_fma_f16 v103, v55, v51, v103 op_sel_hi:[1,0,1]
	v_pk_fma_f16 v47, v55, v51, v47 op_sel:[0,1,0]
	v_pk_fma_f16 v51, v95, v43, v53 op_sel_hi:[1,0,1]
	v_pk_fma_f16 v53, v95, v43, v56 op_sel:[0,1,0]
	;; [unrolled: 2-line block ×9, first 2 shown]
	v_pk_fma_f16 v57, v97, v99, v51 op_sel_hi:[1,0,1]
	s_waitcnt lgkmcnt(0)
	s_lshl_b32 s4, s4, 6
	v_pk_fma_f16 v55, v97, v99, v53 op_sel:[0,1,0]
	v_pk_fma_f16 v53, v97, v100, v56 op_sel_hi:[1,0,1]
	v_pk_fma_f16 v51, v97, v100, v104 op_sel:[0,1,0]
	v_pk_fma_f16 v50, v97, v101, v105 op_sel_hi:[1,0,1]
	;; [unrolled: 2-line block ×7, first 2 shown]
	v_pk_fma_f16 v43, v98, v102, v96 op_sel:[0,1,0]
	s_add_i32 s16, s4, s16
	s_delay_alu instid0(SALU_CYCLE_1)
	s_cmp_lt_i32 s16, s26
	s_cbranch_scc0 .LBB52_44
; %bb.42:                               ;   in Loop: Header=BB52_8 Depth=1
	v_dual_mov_b32 v105, v1 :: v_dual_mov_b32 v106, v2
	v_dual_mov_b32 v103, v3 :: v_dual_mov_b32 v102, v4
	;; [unrolled: 1-line block ×8, first 2 shown]
	s_branch .LBB52_8
.LBB52_43:
	s_mov_b32 s5, s4
	s_mov_b32 s6, s4
	;; [unrolled: 1-line block ×7, first 2 shown]
	v_dual_mov_b32 v1, s4 :: v_dual_mov_b32 v2, s5
	v_dual_mov_b32 v3, s6 :: v_dual_mov_b32 v4, s7
	;; [unrolled: 1-line block ×15, first 2 shown]
.LBB52_44:
	s_cmp_gt_i32 s42, s16
	s_cbranch_scc1 .LBB52_46
; %bb.45:
	v_mbcnt_lo_u32_b32 v9, -1, 0
	v_mov_b32_e32 v80, 32
	s_delay_alu instid0(VALU_DEP_2)
	v_xor_b32_e32 v83, 16, v9
	v_xor_b32_e32 v82, 8, v9
	;; [unrolled: 1-line block ×5, first 2 shown]
	s_cbranch_execz .LBB52_47
	s_branch .LBB52_127
.LBB52_46:
                                        ; implicit-def: $vgpr9
                                        ; implicit-def: $vgpr80
                                        ; implicit-def: $vgpr83
                                        ; implicit-def: $vgpr82
                                        ; implicit-def: $vgpr81
                                        ; implicit-def: $vgpr79
                                        ; implicit-def: $vgpr78
.LBB52_47:
	s_load_b64 s[0:1], s[0:1], 0x4
	v_lshl_add_u32 v16, v21, 2, v18
	v_bfe_u32 v0, v0, 20, 10
	s_mul_hi_i32 s7, s16, s23
	s_mul_i32 s6, s16, s23
	s_sub_i32 s26, s42, s16
	v_mul_lo_u32 v11, s23, v16
	s_lshl_b64 s[6:7], s[6:7], 2
	s_mov_b64 s[4:5], src_shared_base
	v_dual_mov_b32 v78, 0 :: v_dual_lshlrev_b32 v17, 2, v17
	v_dual_mov_b32 v97, 0 :: v_dual_mov_b32 v98, 0
	v_dual_mov_b32 v89, 0 :: v_dual_mov_b32 v90, 0
	s_delay_alu instid0(VALU_DEP_4)
	v_ashrrev_i32_e32 v12, 31, v11
	v_dual_mov_b32 v84, 0 :: v_dual_mov_b32 v93, 0
	v_dual_mov_b32 v86, 0 :: v_dual_mov_b32 v91, 0
	s_waitcnt lgkmcnt(0)
	s_lshr_b32 s0, s0, 16
	v_mul_u32_u24_e32 v14, s1, v21
	s_mul_i32 s0, s0, s1
	v_lshlrev_b64 v[9:10], 2, v[11:12]
	v_mul_lo_u32 v13, s0, v41
	s_add_u32 s1, s18, s6
	s_addc_u32 s4, s19, s7
	v_cmp_gt_i32_e64 s0, s26, v16
	v_lshl_add_u32 v11, s23, 5, v11
	v_add_co_u32 v9, vcc_lo, s1, v9
	v_add_co_ci_u32_e32 v10, vcc_lo, s4, v10, vcc_lo
	v_add3_u32 v0, v13, v14, v0
	s_delay_alu instid0(VALU_DEP_3) | instskip(NEXT) | instid1(VALU_DEP_3)
	v_add_co_u32 v14, vcc_lo, v9, v17
	v_add_co_ci_u32_e32 v15, vcc_lo, 0, v10, vcc_lo
	s_delay_alu instid0(VALU_DEP_3) | instskip(SKIP_1) | instid1(VALU_DEP_3)
	v_dual_mov_b32 v88, 0 :: v_dual_lshlrev_b32 v77, 4, v0
	v_mov_b32_e32 v94, 0
	v_cndmask_b32_e64 v13, s5, v15, s0
	s_delay_alu instid0(VALU_DEP_3)
	v_dual_mov_b32 v96, 0 :: v_dual_add_nc_u32 v9, 0x8400, v77
	v_dual_mov_b32 v87, 0 :: v_dual_add_nc_u32 v10, 0x8404, v77
	ds_store_b32 v77, v78 offset:33792
	ds_store_2addr_b32 v10, v78, v78 offset1:1
	ds_store_b32 v77, v78 offset:33804
	v_cndmask_b32_e64 v12, v9, v14, s0
	s_cmp_lg_u64 s[40:41], 0
	v_mov_b32_e32 v85, 0
	v_mov_b32_e32 v95, 0
	flat_load_b128 v[79:82], v[12:13]
	v_ashrrev_i32_e32 v12, 31, v11
	s_delay_alu instid0(VALU_DEP_1) | instskip(NEXT) | instid1(VALU_DEP_1)
	v_lshlrev_b64 v[11:12], 2, v[11:12]
	v_add_co_u32 v0, vcc_lo, s1, v11
	s_delay_alu instid0(VALU_DEP_2) | instskip(NEXT) | instid1(VALU_DEP_2)
	v_add_co_ci_u32_e32 v11, vcc_lo, s4, v12, vcc_lo
	v_add_co_u32 v12, vcc_lo, v0, v17
	s_delay_alu instid0(VALU_DEP_2)
	v_add_co_ci_u32_e32 v13, vcc_lo, 0, v11, vcc_lo
	v_add_nc_u32_e32 v18, 32, v16
	v_mad_u32_u24 v11, 0x90, v16, v17
	v_mov_b32_e32 v0, 0
	ds_store_b32 v77, v78 offset:33792
	ds_store_2addr_b32 v10, v78, v78 offset1:1
	ds_store_b32 v77, v78 offset:33804
	s_waitcnt vmcnt(0) lgkmcnt(3)
	ds_store_b128 v11, v[79:82] offset:16384
	v_cmp_gt_i32_e32 vcc_lo, s26, v18
	v_mov_b32_e32 v92, 0
	v_add_co_u32 v18, s1, 0x80, v14
	s_delay_alu instid0(VALU_DEP_1)
	v_add_co_ci_u32_e64 v83, s1, 0, v15, s1
	v_cndmask_b32_e32 v17, s5, v13, vcc_lo
	v_cndmask_b32_e32 v16, v9, v12, vcc_lo
	s_cselect_b32 s1, -1, 0
	flat_load_b128 v[79:82], v[16:17]
	s_waitcnt vmcnt(0) lgkmcnt(0)
	ds_store_b128 v11, v[79:82] offset:20992
	s_waitcnt lgkmcnt(0)
	s_barrier
	buffer_gl0_inv
	ds_load_b128 v[79:82], v76 offset:16384
	ds_load_b128 v[99:102], v75
	ds_load_b128 v[103:106], v75 offset:256
	ds_load_b128 v[107:110], v75 offset:512
	;; [unrolled: 1-line block ×8, first 2 shown]
	s_waitcnt lgkmcnt(8)
	;;#ASMSTART
	v_dot2_f32_f16 v87, v79, v99, v87
	;;#ASMEND
	;;#ASMSTART
	v_dot2_f32_f16 v87, v80, v100, v87
	;;#ASMEND
	;;#ASMSTART
	v_dot2_f32_f16 v87, v81, v101, v87
	;;#ASMEND
	;;#ASMSTART
	v_dot2_f32_f16 v87, v82, v102, v87
	;;#ASMEND
	s_waitcnt lgkmcnt(7)
	;;#ASMSTART
	v_dot2_f32_f16 v88, v79, v103, v88
	;;#ASMEND
	;;#ASMSTART
	v_dot2_f32_f16 v88, v80, v104, v88
	;;#ASMEND
	;;#ASMSTART
	v_dot2_f32_f16 v88, v81, v105, v88
	;;#ASMEND
	;;#ASMSTART
	v_dot2_f32_f16 v88, v82, v106, v88
	;;#ASMEND
	s_waitcnt lgkmcnt(6)
	;;#ASMSTART
	v_dot2_f32_f16 v95, v79, v107, v95
	;;#ASMEND
	;;#ASMSTART
	v_dot2_f32_f16 v95, v80, v108, v95
	;;#ASMEND
	;;#ASMSTART
	v_dot2_f32_f16 v95, v81, v109, v95
	;;#ASMEND
	;;#ASMSTART
	v_dot2_f32_f16 v95, v82, v110, v95
	;;#ASMEND
	s_waitcnt lgkmcnt(5)
	;;#ASMSTART
	v_dot2_f32_f16 v96, v79, v111, v96
	;;#ASMEND
	;;#ASMSTART
	v_dot2_f32_f16 v96, v80, v112, v96
	;;#ASMEND
	;;#ASMSTART
	v_dot2_f32_f16 v96, v81, v113, v96
	;;#ASMEND
	;;#ASMSTART
	v_dot2_f32_f16 v96, v82, v114, v96
	;;#ASMEND
	s_waitcnt lgkmcnt(3)
	;;#ASMSTART
	v_dot2_f32_f16 v97, v79, v119, v97
	;;#ASMEND
	;;#ASMSTART
	v_dot2_f32_f16 v97, v80, v120, v97
	;;#ASMEND
	;;#ASMSTART
	v_dot2_f32_f16 v97, v81, v121, v97
	;;#ASMEND
	;;#ASMSTART
	v_dot2_f32_f16 v97, v82, v122, v97
	;;#ASMEND
	s_waitcnt lgkmcnt(2)
	;;#ASMSTART
	v_dot2_f32_f16 v98, v79, v123, v98
	;;#ASMEND
	;;#ASMSTART
	v_dot2_f32_f16 v98, v80, v124, v98
	;;#ASMEND
	;;#ASMSTART
	v_dot2_f32_f16 v98, v81, v125, v98
	;;#ASMEND
	;;#ASMSTART
	v_dot2_f32_f16 v98, v82, v126, v98
	;;#ASMEND
	s_waitcnt lgkmcnt(1)
	;;#ASMSTART
	v_dot2_f32_f16 v89, v79, v127, v89
	;;#ASMEND
	;;#ASMSTART
	v_dot2_f32_f16 v89, v80, v128, v89
	;;#ASMEND
	;;#ASMSTART
	v_dot2_f32_f16 v89, v81, v129, v89
	;;#ASMEND
	;;#ASMSTART
	v_dot2_f32_f16 v89, v82, v130, v89
	;;#ASMEND
	s_waitcnt lgkmcnt(0)
	;;#ASMSTART
	v_dot2_f32_f16 v90, v79, v131, v90
	;;#ASMEND
	;;#ASMSTART
	v_dot2_f32_f16 v90, v80, v132, v90
	;;#ASMEND
	;;#ASMSTART
	v_dot2_f32_f16 v90, v81, v133, v90
	;;#ASMEND
	;;#ASMSTART
	v_dot2_f32_f16 v90, v82, v134, v90
	;;#ASMEND
	;;#ASMSTART
	v_dot2_f32_f16 v0, v115, v99, v0
	;;#ASMEND
	;;#ASMSTART
	v_dot2_f32_f16 v0, v116, v100, v0
	;;#ASMEND
	;; [unrolled: 3-line block ×32, first 2 shown]
	ds_load_b128 v[79:82], v76 offset:16400
	ds_load_b128 v[99:102], v75 offset:16
	;; [unrolled: 1-line block ×10, first 2 shown]
	s_waitcnt lgkmcnt(8)
	;;#ASMSTART
	v_dot2_f32_f16 v87, v79, v99, v87
	;;#ASMEND
	;;#ASMSTART
	v_dot2_f32_f16 v87, v80, v100, v87
	;;#ASMEND
	;;#ASMSTART
	v_dot2_f32_f16 v87, v81, v101, v87
	;;#ASMEND
	;;#ASMSTART
	v_dot2_f32_f16 v87, v82, v102, v87
	;;#ASMEND
	s_waitcnt lgkmcnt(7)
	;;#ASMSTART
	v_dot2_f32_f16 v88, v79, v103, v88
	;;#ASMEND
	;;#ASMSTART
	v_dot2_f32_f16 v88, v80, v104, v88
	;;#ASMEND
	;;#ASMSTART
	v_dot2_f32_f16 v88, v81, v105, v88
	;;#ASMEND
	;;#ASMSTART
	v_dot2_f32_f16 v88, v82, v106, v88
	;;#ASMEND
	;; [unrolled: 13-line block ×8, first 2 shown]
	;;#ASMSTART
	v_dot2_f32_f16 v0, v115, v99, v0
	;;#ASMEND
	;;#ASMSTART
	v_dot2_f32_f16 v0, v116, v100, v0
	;;#ASMEND
	;; [unrolled: 3-line block ×32, first 2 shown]
	ds_load_b128 v[79:82], v76 offset:16416
	ds_load_b128 v[99:102], v75 offset:32
	;; [unrolled: 1-line block ×10, first 2 shown]
	s_waitcnt lgkmcnt(8)
	;;#ASMSTART
	v_dot2_f32_f16 v87, v79, v99, v87
	;;#ASMEND
	;;#ASMSTART
	v_dot2_f32_f16 v87, v80, v100, v87
	;;#ASMEND
	;;#ASMSTART
	v_dot2_f32_f16 v87, v81, v101, v87
	;;#ASMEND
	;;#ASMSTART
	v_dot2_f32_f16 v87, v82, v102, v87
	;;#ASMEND
	s_waitcnt lgkmcnt(7)
	;;#ASMSTART
	v_dot2_f32_f16 v88, v79, v103, v88
	;;#ASMEND
	;;#ASMSTART
	v_dot2_f32_f16 v88, v80, v104, v88
	;;#ASMEND
	;;#ASMSTART
	v_dot2_f32_f16 v88, v81, v105, v88
	;;#ASMEND
	;;#ASMSTART
	v_dot2_f32_f16 v88, v82, v106, v88
	;;#ASMEND
	;; [unrolled: 13-line block ×8, first 2 shown]
	;;#ASMSTART
	v_dot2_f32_f16 v0, v115, v99, v0
	;;#ASMEND
	;;#ASMSTART
	v_dot2_f32_f16 v0, v116, v100, v0
	;;#ASMEND
	;; [unrolled: 3-line block ×32, first 2 shown]
	ds_load_b128 v[79:82], v76 offset:16432
	ds_load_b128 v[99:102], v75 offset:48
	;; [unrolled: 1-line block ×10, first 2 shown]
	s_waitcnt lgkmcnt(8)
	;;#ASMSTART
	v_dot2_f32_f16 v87, v79, v99, v87
	;;#ASMEND
	;;#ASMSTART
	v_dot2_f32_f16 v87, v80, v100, v87
	;;#ASMEND
	;;#ASMSTART
	v_dot2_f32_f16 v87, v81, v101, v87
	;;#ASMEND
	;;#ASMSTART
	v_dot2_f32_f16 v87, v82, v102, v87
	;;#ASMEND
	s_waitcnt lgkmcnt(7)
	;;#ASMSTART
	v_dot2_f32_f16 v88, v79, v103, v88
	;;#ASMEND
	;;#ASMSTART
	v_dot2_f32_f16 v88, v80, v104, v88
	;;#ASMEND
	;;#ASMSTART
	v_dot2_f32_f16 v88, v81, v105, v88
	;;#ASMEND
	;;#ASMSTART
	v_dot2_f32_f16 v88, v82, v106, v88
	;;#ASMEND
	;; [unrolled: 13-line block ×8, first 2 shown]
	;;#ASMSTART
	v_dot2_f32_f16 v0, v115, v99, v0
	;;#ASMEND
	;;#ASMSTART
	v_dot2_f32_f16 v0, v116, v100, v0
	;;#ASMEND
	;; [unrolled: 3-line block ×32, first 2 shown]
	ds_load_b128 v[79:82], v76 offset:16448
	ds_load_b128 v[99:102], v75 offset:64
	ds_load_b128 v[103:106], v75 offset:320
	ds_load_b128 v[107:110], v75 offset:576
	ds_load_b128 v[111:114], v75 offset:832
	ds_load_b128 v[115:118], v76 offset:21056
	ds_load_b128 v[119:122], v75 offset:1088
	ds_load_b128 v[123:126], v75 offset:1344
	ds_load_b128 v[127:130], v75 offset:1600
	ds_load_b128 v[131:134], v75 offset:1856
	s_waitcnt lgkmcnt(8)
	;;#ASMSTART
	v_dot2_f32_f16 v87, v79, v99, v87
	;;#ASMEND
	;;#ASMSTART
	v_dot2_f32_f16 v87, v80, v100, v87
	;;#ASMEND
	;;#ASMSTART
	v_dot2_f32_f16 v87, v81, v101, v87
	;;#ASMEND
	;;#ASMSTART
	v_dot2_f32_f16 v87, v82, v102, v87
	;;#ASMEND
	s_waitcnt lgkmcnt(7)
	;;#ASMSTART
	v_dot2_f32_f16 v88, v79, v103, v88
	;;#ASMEND
	;;#ASMSTART
	v_dot2_f32_f16 v88, v80, v104, v88
	;;#ASMEND
	;;#ASMSTART
	v_dot2_f32_f16 v88, v81, v105, v88
	;;#ASMEND
	;;#ASMSTART
	v_dot2_f32_f16 v88, v82, v106, v88
	;;#ASMEND
	;; [unrolled: 13-line block ×8, first 2 shown]
	;;#ASMSTART
	v_dot2_f32_f16 v0, v115, v99, v0
	;;#ASMEND
	;;#ASMSTART
	v_dot2_f32_f16 v0, v116, v100, v0
	;;#ASMEND
	;; [unrolled: 3-line block ×32, first 2 shown]
	ds_load_b128 v[79:82], v76 offset:16464
	ds_load_b128 v[99:102], v75 offset:80
	ds_load_b128 v[103:106], v75 offset:336
	ds_load_b128 v[107:110], v75 offset:592
	ds_load_b128 v[111:114], v75 offset:848
	ds_load_b128 v[115:118], v76 offset:21072
	ds_load_b128 v[119:122], v75 offset:1104
	ds_load_b128 v[123:126], v75 offset:1360
	ds_load_b128 v[127:130], v75 offset:1616
	ds_load_b128 v[131:134], v75 offset:1872
	s_waitcnt lgkmcnt(8)
	;;#ASMSTART
	v_dot2_f32_f16 v87, v79, v99, v87
	;;#ASMEND
	;;#ASMSTART
	v_dot2_f32_f16 v87, v80, v100, v87
	;;#ASMEND
	;;#ASMSTART
	v_dot2_f32_f16 v87, v81, v101, v87
	;;#ASMEND
	;;#ASMSTART
	v_dot2_f32_f16 v87, v82, v102, v87
	;;#ASMEND
	s_waitcnt lgkmcnt(7)
	;;#ASMSTART
	v_dot2_f32_f16 v88, v79, v103, v88
	;;#ASMEND
	;;#ASMSTART
	v_dot2_f32_f16 v88, v80, v104, v88
	;;#ASMEND
	;;#ASMSTART
	v_dot2_f32_f16 v88, v81, v105, v88
	;;#ASMEND
	;;#ASMSTART
	v_dot2_f32_f16 v88, v82, v106, v88
	;;#ASMEND
	;; [unrolled: 13-line block ×8, first 2 shown]
	;;#ASMSTART
	v_dot2_f32_f16 v0, v115, v99, v0
	;;#ASMEND
	;;#ASMSTART
	v_dot2_f32_f16 v0, v116, v100, v0
	;;#ASMEND
	;; [unrolled: 3-line block ×32, first 2 shown]
	ds_load_b128 v[79:82], v76 offset:16480
	ds_load_b128 v[99:102], v75 offset:96
	;; [unrolled: 1-line block ×10, first 2 shown]
	s_waitcnt lgkmcnt(8)
	;;#ASMSTART
	v_dot2_f32_f16 v87, v79, v99, v87
	;;#ASMEND
	;;#ASMSTART
	v_dot2_f32_f16 v87, v80, v100, v87
	;;#ASMEND
	;;#ASMSTART
	v_dot2_f32_f16 v87, v81, v101, v87
	;;#ASMEND
	;;#ASMSTART
	v_dot2_f32_f16 v87, v82, v102, v87
	;;#ASMEND
	s_waitcnt lgkmcnt(7)
	;;#ASMSTART
	v_dot2_f32_f16 v88, v79, v103, v88
	;;#ASMEND
	;;#ASMSTART
	v_dot2_f32_f16 v88, v80, v104, v88
	;;#ASMEND
	;;#ASMSTART
	v_dot2_f32_f16 v88, v81, v105, v88
	;;#ASMEND
	;;#ASMSTART
	v_dot2_f32_f16 v88, v82, v106, v88
	;;#ASMEND
	;; [unrolled: 13-line block ×8, first 2 shown]
	;;#ASMSTART
	v_dot2_f32_f16 v0, v115, v99, v0
	;;#ASMEND
	;;#ASMSTART
	v_dot2_f32_f16 v0, v116, v100, v0
	;;#ASMEND
	;;#ASMSTART
	v_dot2_f32_f16 v0, v117, v101, v0
	;;#ASMEND
	;;#ASMSTART
	v_dot2_f32_f16 v0, v118, v102, v0
	;;#ASMEND
	;;#ASMSTART
	v_dot2_f32_f16 v84, v115, v103, v84
	;;#ASMEND
	;;#ASMSTART
	v_dot2_f32_f16 v84, v116, v104, v84
	;;#ASMEND
	;;#ASMSTART
	v_dot2_f32_f16 v84, v117, v105, v84
	;;#ASMEND
	;;#ASMSTART
	v_dot2_f32_f16 v84, v118, v106, v84
	;;#ASMEND
	;;#ASMSTART
	v_dot2_f32_f16 v85, v115, v107, v85
	;;#ASMEND
	;;#ASMSTART
	v_dot2_f32_f16 v85, v116, v108, v85
	;;#ASMEND
	;;#ASMSTART
	v_dot2_f32_f16 v85, v117, v109, v85
	;;#ASMEND
	;;#ASMSTART
	v_dot2_f32_f16 v85, v118, v110, v85
	;;#ASMEND
	;;#ASMSTART
	v_dot2_f32_f16 v86, v115, v111, v86
	;;#ASMEND
	;;#ASMSTART
	v_dot2_f32_f16 v86, v116, v112, v86
	;;#ASMEND
	;;#ASMSTART
	v_dot2_f32_f16 v86, v117, v113, v86
	;;#ASMEND
	;;#ASMSTART
	v_dot2_f32_f16 v86, v118, v114, v86
	;;#ASMEND
	;;#ASMSTART
	v_dot2_f32_f16 v92, v115, v119, v92
	;;#ASMEND
	;;#ASMSTART
	v_dot2_f32_f16 v92, v116, v120, v92
	;;#ASMEND
	;;#ASMSTART
	v_dot2_f32_f16 v92, v117, v121, v92
	;;#ASMEND
	;;#ASMSTART
	v_dot2_f32_f16 v92, v118, v122, v92
	;;#ASMEND
	;;#ASMSTART
	v_dot2_f32_f16 v93, v115, v123, v93
	;;#ASMEND
	;;#ASMSTART
	v_dot2_f32_f16 v93, v116, v124, v93
	;;#ASMEND
	;;#ASMSTART
	v_dot2_f32_f16 v93, v117, v125, v93
	;;#ASMEND
	;;#ASMSTART
	v_dot2_f32_f16 v93, v118, v126, v93
	;;#ASMEND
	;;#ASMSTART
	v_dot2_f32_f16 v94, v115, v127, v94
	;;#ASMEND
	;;#ASMSTART
	v_dot2_f32_f16 v94, v116, v128, v94
	;;#ASMEND
	;;#ASMSTART
	v_dot2_f32_f16 v94, v117, v129, v94
	;;#ASMEND
	;;#ASMSTART
	v_dot2_f32_f16 v94, v118, v130, v94
	;;#ASMEND
	;;#ASMSTART
	v_dot2_f32_f16 v91, v115, v131, v91
	;;#ASMEND
	;;#ASMSTART
	v_dot2_f32_f16 v91, v116, v132, v91
	;;#ASMEND
	;;#ASMSTART
	v_dot2_f32_f16 v91, v117, v133, v91
	;;#ASMEND
	;;#ASMSTART
	v_dot2_f32_f16 v91, v118, v134, v91
	;;#ASMEND
	ds_load_b128 v[79:82], v76 offset:16496
	ds_load_b128 v[99:102], v75 offset:112
	;; [unrolled: 1-line block ×10, first 2 shown]
	s_waitcnt lgkmcnt(8)
	;;#ASMSTART
	v_dot2_f32_f16 v87, v79, v99, v87
	;;#ASMEND
	;;#ASMSTART
	v_dot2_f32_f16 v87, v80, v100, v87
	;;#ASMEND
	;;#ASMSTART
	v_dot2_f32_f16 v87, v81, v101, v87
	;;#ASMEND
	;;#ASMSTART
	v_dot2_f32_f16 v87, v82, v102, v87
	;;#ASMEND
	s_waitcnt lgkmcnt(7)
	;;#ASMSTART
	v_dot2_f32_f16 v88, v79, v103, v88
	;;#ASMEND
	;;#ASMSTART
	v_dot2_f32_f16 v88, v80, v104, v88
	;;#ASMEND
	;;#ASMSTART
	v_dot2_f32_f16 v88, v81, v105, v88
	;;#ASMEND
	;;#ASMSTART
	v_dot2_f32_f16 v88, v82, v106, v88
	;;#ASMEND
	;; [unrolled: 13-line block ×8, first 2 shown]
	;;#ASMSTART
	v_dot2_f32_f16 v0, v111, v99, v0
	;;#ASMEND
	;;#ASMSTART
	v_dot2_f32_f16 v0, v112, v100, v0
	;;#ASMEND
	;;#ASMSTART
	v_dot2_f32_f16 v0, v113, v101, v0
	;;#ASMEND
	;;#ASMSTART
	v_dot2_f32_f16 v0, v114, v102, v0
	;;#ASMEND
	;;#ASMSTART
	v_dot2_f32_f16 v84, v111, v103, v84
	;;#ASMEND
	;;#ASMSTART
	v_dot2_f32_f16 v84, v112, v104, v84
	;;#ASMEND
	;;#ASMSTART
	v_dot2_f32_f16 v84, v113, v105, v84
	;;#ASMEND
	;;#ASMSTART
	v_dot2_f32_f16 v84, v114, v106, v84
	;;#ASMEND
	;;#ASMSTART
	v_dot2_f32_f16 v85, v111, v14, v85
	;;#ASMEND
	;;#ASMSTART
	v_dot2_f32_f16 v85, v112, v15, v85
	;;#ASMEND
	;;#ASMSTART
	v_dot2_f32_f16 v85, v113, v16, v85
	;;#ASMEND
	;;#ASMSTART
	v_dot2_f32_f16 v85, v114, v17, v85
	;;#ASMEND
	;;#ASMSTART
	v_dot2_f32_f16 v86, v111, v107, v86
	;;#ASMEND
	;;#ASMSTART
	v_dot2_f32_f16 v86, v112, v108, v86
	;;#ASMEND
	;;#ASMSTART
	v_dot2_f32_f16 v86, v113, v109, v86
	;;#ASMEND
	;;#ASMSTART
	v_dot2_f32_f16 v86, v114, v110, v86
	;;#ASMEND
	;;#ASMSTART
	v_dot2_f32_f16 v92, v111, v115, v92
	;;#ASMEND
	;;#ASMSTART
	v_dot2_f32_f16 v92, v112, v116, v92
	;;#ASMEND
	;;#ASMSTART
	v_dot2_f32_f16 v92, v113, v117, v92
	;;#ASMEND
	;;#ASMSTART
	v_dot2_f32_f16 v92, v114, v118, v92
	;;#ASMEND
	;;#ASMSTART
	v_dot2_f32_f16 v93, v111, v119, v93
	;;#ASMEND
	;;#ASMSTART
	v_dot2_f32_f16 v93, v112, v120, v93
	;;#ASMEND
	;;#ASMSTART
	v_dot2_f32_f16 v93, v113, v121, v93
	;;#ASMEND
	;;#ASMSTART
	v_dot2_f32_f16 v93, v114, v122, v93
	;;#ASMEND
	;;#ASMSTART
	v_dot2_f32_f16 v94, v111, v123, v94
	;;#ASMEND
	;;#ASMSTART
	v_dot2_f32_f16 v94, v112, v124, v94
	;;#ASMEND
	v_cndmask_b32_e64 v132, s5, v83, s0
	v_cndmask_b32_e64 v131, v9, v18, s0
	;;#ASMSTART
	v_dot2_f32_f16 v94, v113, v125, v94
	;;#ASMEND
	;;#ASMSTART
	v_dot2_f32_f16 v94, v114, v126, v94
	;;#ASMEND
	;; [unrolled: 3-line block ×6, first 2 shown]
	s_barrier
	buffer_gl0_inv
	ds_store_b32 v77, v78 offset:33792
	ds_store_2addr_b32 v10, v78, v78 offset1:1
	ds_store_b32 v77, v78 offset:33804
	flat_load_b128 v[14:17], v[131:132]
	v_add_co_u32 v12, s0, 0x80, v12
	s_delay_alu instid0(VALU_DEP_1) | instskip(SKIP_1) | instid1(VALU_DEP_3)
	v_add_co_ci_u32_e64 v13, s0, 0, v13, s0
	v_cmp_gt_i32_e64 s0, s26, v41
	v_cndmask_b32_e32 v12, v9, v12, vcc_lo
	ds_store_b32 v77, v78 offset:33792
	ds_store_2addr_b32 v10, v78, v78 offset1:1
	ds_store_b32 v77, v78 offset:33804
	s_waitcnt vmcnt(0) lgkmcnt(3)
	ds_store_b128 v11, v[14:17] offset:16384
	v_cndmask_b32_e32 v13, s5, v13, vcc_lo
	v_mad_u64_u32 v[17:18], null, v70, s15, s[16:17]
	flat_load_b128 v[12:15], v[12:13]
	s_waitcnt vmcnt(0) lgkmcnt(0)
	ds_store_b128 v11, v[12:15] offset:20992
	s_waitcnt lgkmcnt(0)
	s_barrier
	buffer_gl0_inv
	ds_load_b128 v[9:12], v76 offset:16384
	ds_load_b128 v[13:16], v75 offset:128
	;; [unrolled: 1-line block ×10, first 2 shown]
	s_waitcnt lgkmcnt(8)
	;;#ASMSTART
	v_dot2_f32_f16 v87, v9, v13, v87
	;;#ASMEND
	;;#ASMSTART
	v_dot2_f32_f16 v87, v10, v14, v87
	;;#ASMEND
	;;#ASMSTART
	v_dot2_f32_f16 v87, v11, v15, v87
	;;#ASMEND
	;;#ASMSTART
	v_dot2_f32_f16 v87, v12, v16, v87
	;;#ASMEND
	s_waitcnt lgkmcnt(7)
	;;#ASMSTART
	v_dot2_f32_f16 v88, v9, v79, v88
	;;#ASMEND
	;;#ASMSTART
	v_dot2_f32_f16 v88, v10, v80, v88
	;;#ASMEND
	;;#ASMSTART
	v_dot2_f32_f16 v88, v11, v81, v88
	;;#ASMEND
	;;#ASMSTART
	v_dot2_f32_f16 v88, v12, v82, v88
	;;#ASMEND
	;; [unrolled: 13-line block ×8, first 2 shown]
	;;#ASMSTART
	v_dot2_f32_f16 v0, v107, v13, v0
	;;#ASMEND
	;;#ASMSTART
	v_dot2_f32_f16 v0, v108, v14, v0
	;;#ASMEND
	;; [unrolled: 3-line block ×32, first 2 shown]
	ds_load_b128 v[9:12], v76 offset:16400
	ds_load_b128 v[13:16], v75 offset:144
	;; [unrolled: 1-line block ×10, first 2 shown]
	s_waitcnt lgkmcnt(8)
	;;#ASMSTART
	v_dot2_f32_f16 v87, v9, v13, v87
	;;#ASMEND
	;;#ASMSTART
	v_dot2_f32_f16 v87, v10, v14, v87
	;;#ASMEND
	;;#ASMSTART
	v_dot2_f32_f16 v87, v11, v15, v87
	;;#ASMEND
	;;#ASMSTART
	v_dot2_f32_f16 v87, v12, v16, v87
	;;#ASMEND
	s_waitcnt lgkmcnt(7)
	;;#ASMSTART
	v_dot2_f32_f16 v88, v9, v79, v88
	;;#ASMEND
	;;#ASMSTART
	v_dot2_f32_f16 v88, v10, v80, v88
	;;#ASMEND
	;;#ASMSTART
	v_dot2_f32_f16 v88, v11, v81, v88
	;;#ASMEND
	;;#ASMSTART
	v_dot2_f32_f16 v88, v12, v82, v88
	;;#ASMEND
	;; [unrolled: 13-line block ×8, first 2 shown]
	;;#ASMSTART
	v_dot2_f32_f16 v0, v107, v13, v0
	;;#ASMEND
	;;#ASMSTART
	v_dot2_f32_f16 v0, v108, v14, v0
	;;#ASMEND
	;;#ASMSTART
	v_dot2_f32_f16 v0, v109, v15, v0
	;;#ASMEND
	;;#ASMSTART
	v_dot2_f32_f16 v0, v110, v16, v0
	;;#ASMEND
	;;#ASMSTART
	v_dot2_f32_f16 v84, v107, v79, v84
	;;#ASMEND
	;;#ASMSTART
	v_dot2_f32_f16 v84, v108, v80, v84
	;;#ASMEND
	;;#ASMSTART
	v_dot2_f32_f16 v84, v109, v81, v84
	;;#ASMEND
	;;#ASMSTART
	v_dot2_f32_f16 v84, v110, v82, v84
	;;#ASMEND
	;;#ASMSTART
	v_dot2_f32_f16 v85, v107, v99, v85
	;;#ASMEND
	;;#ASMSTART
	v_dot2_f32_f16 v85, v108, v100, v85
	;;#ASMEND
	;;#ASMSTART
	v_dot2_f32_f16 v85, v109, v101, v85
	;;#ASMEND
	;;#ASMSTART
	v_dot2_f32_f16 v85, v110, v102, v85
	;;#ASMEND
	;;#ASMSTART
	v_dot2_f32_f16 v86, v107, v103, v86
	;;#ASMEND
	;;#ASMSTART
	v_dot2_f32_f16 v86, v108, v104, v86
	;;#ASMEND
	;;#ASMSTART
	v_dot2_f32_f16 v86, v109, v105, v86
	;;#ASMEND
	;;#ASMSTART
	v_dot2_f32_f16 v86, v110, v106, v86
	;;#ASMEND
	;;#ASMSTART
	v_dot2_f32_f16 v92, v107, v111, v92
	;;#ASMEND
	;;#ASMSTART
	v_dot2_f32_f16 v92, v108, v112, v92
	;;#ASMEND
	;;#ASMSTART
	v_dot2_f32_f16 v92, v109, v113, v92
	;;#ASMEND
	;;#ASMSTART
	v_dot2_f32_f16 v92, v110, v114, v92
	;;#ASMEND
	;;#ASMSTART
	v_dot2_f32_f16 v93, v107, v115, v93
	;;#ASMEND
	;;#ASMSTART
	v_dot2_f32_f16 v93, v108, v116, v93
	;;#ASMEND
	;;#ASMSTART
	v_dot2_f32_f16 v93, v109, v117, v93
	;;#ASMEND
	;;#ASMSTART
	v_dot2_f32_f16 v93, v110, v118, v93
	;;#ASMEND
	;;#ASMSTART
	v_dot2_f32_f16 v94, v107, v119, v94
	;;#ASMEND
	;;#ASMSTART
	v_dot2_f32_f16 v94, v108, v120, v94
	;;#ASMEND
	;;#ASMSTART
	v_dot2_f32_f16 v94, v109, v121, v94
	;;#ASMEND
	;;#ASMSTART
	v_dot2_f32_f16 v94, v110, v122, v94
	;;#ASMEND
	;;#ASMSTART
	v_dot2_f32_f16 v91, v107, v123, v91
	;;#ASMEND
	;;#ASMSTART
	v_dot2_f32_f16 v91, v108, v124, v91
	;;#ASMEND
	;;#ASMSTART
	v_dot2_f32_f16 v91, v109, v125, v91
	;;#ASMEND
	;;#ASMSTART
	v_dot2_f32_f16 v91, v110, v126, v91
	;;#ASMEND
	ds_load_b128 v[9:12], v76 offset:16416
	ds_load_b128 v[13:16], v75 offset:160
	;; [unrolled: 1-line block ×10, first 2 shown]
	s_waitcnt lgkmcnt(8)
	;;#ASMSTART
	v_dot2_f32_f16 v87, v9, v13, v87
	;;#ASMEND
	;;#ASMSTART
	v_dot2_f32_f16 v87, v10, v14, v87
	;;#ASMEND
	;;#ASMSTART
	v_dot2_f32_f16 v87, v11, v15, v87
	;;#ASMEND
	;;#ASMSTART
	v_dot2_f32_f16 v87, v12, v16, v87
	;;#ASMEND
	s_waitcnt lgkmcnt(7)
	;;#ASMSTART
	v_dot2_f32_f16 v88, v9, v79, v88
	;;#ASMEND
	;;#ASMSTART
	v_dot2_f32_f16 v88, v10, v80, v88
	;;#ASMEND
	;;#ASMSTART
	v_dot2_f32_f16 v88, v11, v81, v88
	;;#ASMEND
	;;#ASMSTART
	v_dot2_f32_f16 v88, v12, v82, v88
	;;#ASMEND
	;; [unrolled: 13-line block ×8, first 2 shown]
	;;#ASMSTART
	v_dot2_f32_f16 v0, v107, v13, v0
	;;#ASMEND
	;;#ASMSTART
	v_dot2_f32_f16 v0, v108, v14, v0
	;;#ASMEND
	;; [unrolled: 3-line block ×32, first 2 shown]
	ds_load_b128 v[9:12], v76 offset:16432
	ds_load_b128 v[13:16], v75 offset:176
	;; [unrolled: 1-line block ×10, first 2 shown]
	s_waitcnt lgkmcnt(8)
	;;#ASMSTART
	v_dot2_f32_f16 v87, v9, v13, v87
	;;#ASMEND
	;;#ASMSTART
	v_dot2_f32_f16 v87, v10, v14, v87
	;;#ASMEND
	;;#ASMSTART
	v_dot2_f32_f16 v87, v11, v15, v87
	;;#ASMEND
	;;#ASMSTART
	v_dot2_f32_f16 v87, v12, v16, v87
	;;#ASMEND
	s_waitcnt lgkmcnt(7)
	;;#ASMSTART
	v_dot2_f32_f16 v88, v9, v79, v88
	;;#ASMEND
	;;#ASMSTART
	v_dot2_f32_f16 v88, v10, v80, v88
	;;#ASMEND
	;;#ASMSTART
	v_dot2_f32_f16 v88, v11, v81, v88
	;;#ASMEND
	;;#ASMSTART
	v_dot2_f32_f16 v88, v12, v82, v88
	;;#ASMEND
	;; [unrolled: 13-line block ×8, first 2 shown]
	;;#ASMSTART
	v_dot2_f32_f16 v0, v107, v13, v0
	;;#ASMEND
	;;#ASMSTART
	v_dot2_f32_f16 v0, v108, v14, v0
	;;#ASMEND
	;; [unrolled: 3-line block ×32, first 2 shown]
	ds_load_b128 v[9:12], v76 offset:16448
	ds_load_b128 v[13:16], v75 offset:192
	;; [unrolled: 1-line block ×10, first 2 shown]
	s_waitcnt lgkmcnt(8)
	;;#ASMSTART
	v_dot2_f32_f16 v87, v9, v13, v87
	;;#ASMEND
	;;#ASMSTART
	v_dot2_f32_f16 v87, v10, v14, v87
	;;#ASMEND
	;;#ASMSTART
	v_dot2_f32_f16 v87, v11, v15, v87
	;;#ASMEND
	;;#ASMSTART
	v_dot2_f32_f16 v87, v12, v16, v87
	;;#ASMEND
	s_waitcnt lgkmcnt(7)
	;;#ASMSTART
	v_dot2_f32_f16 v88, v9, v79, v88
	;;#ASMEND
	;;#ASMSTART
	v_dot2_f32_f16 v88, v10, v80, v88
	;;#ASMEND
	;;#ASMSTART
	v_dot2_f32_f16 v88, v11, v81, v88
	;;#ASMEND
	;;#ASMSTART
	v_dot2_f32_f16 v88, v12, v82, v88
	;;#ASMEND
	;; [unrolled: 13-line block ×8, first 2 shown]
	;;#ASMSTART
	v_dot2_f32_f16 v0, v107, v13, v0
	;;#ASMEND
	;;#ASMSTART
	v_dot2_f32_f16 v0, v108, v14, v0
	;;#ASMEND
	;; [unrolled: 3-line block ×32, first 2 shown]
	ds_load_b128 v[9:12], v76 offset:16464
	ds_load_b128 v[13:16], v75 offset:208
	;; [unrolled: 1-line block ×10, first 2 shown]
	s_waitcnt lgkmcnt(8)
	;;#ASMSTART
	v_dot2_f32_f16 v87, v9, v13, v87
	;;#ASMEND
	;;#ASMSTART
	v_dot2_f32_f16 v87, v10, v14, v87
	;;#ASMEND
	;;#ASMSTART
	v_dot2_f32_f16 v87, v11, v15, v87
	;;#ASMEND
	;;#ASMSTART
	v_dot2_f32_f16 v87, v12, v16, v87
	;;#ASMEND
	s_waitcnt lgkmcnt(7)
	;;#ASMSTART
	v_dot2_f32_f16 v88, v9, v79, v88
	;;#ASMEND
	;;#ASMSTART
	v_dot2_f32_f16 v88, v10, v80, v88
	;;#ASMEND
	;;#ASMSTART
	v_dot2_f32_f16 v88, v11, v81, v88
	;;#ASMEND
	;;#ASMSTART
	v_dot2_f32_f16 v88, v12, v82, v88
	;;#ASMEND
	s_waitcnt lgkmcnt(6)
	;;#ASMSTART
	v_dot2_f32_f16 v95, v9, v99, v95
	;;#ASMEND
	;;#ASMSTART
	v_dot2_f32_f16 v95, v10, v100, v95
	;;#ASMEND
	;;#ASMSTART
	v_dot2_f32_f16 v95, v11, v101, v95
	;;#ASMEND
	;;#ASMSTART
	v_dot2_f32_f16 v95, v12, v102, v95
	;;#ASMEND
	s_waitcnt lgkmcnt(5)
	;;#ASMSTART
	v_dot2_f32_f16 v96, v9, v103, v96
	;;#ASMEND
	;;#ASMSTART
	v_dot2_f32_f16 v96, v10, v104, v96
	;;#ASMEND
	;;#ASMSTART
	v_dot2_f32_f16 v96, v11, v105, v96
	;;#ASMEND
	;;#ASMSTART
	v_dot2_f32_f16 v96, v12, v106, v96
	;;#ASMEND
	s_waitcnt lgkmcnt(3)
	;;#ASMSTART
	v_dot2_f32_f16 v97, v9, v111, v97
	;;#ASMEND
	;;#ASMSTART
	v_dot2_f32_f16 v97, v10, v112, v97
	;;#ASMEND
	;;#ASMSTART
	v_dot2_f32_f16 v97, v11, v113, v97
	;;#ASMEND
	;;#ASMSTART
	v_dot2_f32_f16 v97, v12, v114, v97
	;;#ASMEND
	s_waitcnt lgkmcnt(2)
	;;#ASMSTART
	v_dot2_f32_f16 v98, v9, v115, v98
	;;#ASMEND
	;;#ASMSTART
	v_dot2_f32_f16 v98, v10, v116, v98
	;;#ASMEND
	;;#ASMSTART
	v_dot2_f32_f16 v98, v11, v117, v98
	;;#ASMEND
	;;#ASMSTART
	v_dot2_f32_f16 v98, v12, v118, v98
	;;#ASMEND
	s_waitcnt lgkmcnt(1)
	;;#ASMSTART
	v_dot2_f32_f16 v89, v9, v119, v89
	;;#ASMEND
	;;#ASMSTART
	v_dot2_f32_f16 v89, v10, v120, v89
	;;#ASMEND
	;;#ASMSTART
	v_dot2_f32_f16 v89, v11, v121, v89
	;;#ASMEND
	;;#ASMSTART
	v_dot2_f32_f16 v89, v12, v122, v89
	;;#ASMEND
	s_waitcnt lgkmcnt(0)
	;;#ASMSTART
	v_dot2_f32_f16 v90, v9, v123, v90
	;;#ASMEND
	;;#ASMSTART
	v_dot2_f32_f16 v90, v10, v124, v90
	;;#ASMEND
	;;#ASMSTART
	v_dot2_f32_f16 v90, v11, v125, v90
	;;#ASMEND
	;;#ASMSTART
	v_dot2_f32_f16 v90, v12, v126, v90
	;;#ASMEND
	;;#ASMSTART
	v_dot2_f32_f16 v0, v107, v13, v0
	;;#ASMEND
	;;#ASMSTART
	v_dot2_f32_f16 v0, v108, v14, v0
	;;#ASMEND
	;; [unrolled: 3-line block ×32, first 2 shown]
	ds_load_b128 v[9:12], v76 offset:16480
	ds_load_b128 v[13:16], v75 offset:224
	;; [unrolled: 1-line block ×10, first 2 shown]
	s_waitcnt lgkmcnt(8)
	;;#ASMSTART
	v_dot2_f32_f16 v87, v9, v13, v87
	;;#ASMEND
	;;#ASMSTART
	v_dot2_f32_f16 v87, v10, v14, v87
	;;#ASMEND
	;;#ASMSTART
	v_dot2_f32_f16 v87, v11, v15, v87
	;;#ASMEND
	;;#ASMSTART
	v_dot2_f32_f16 v87, v12, v16, v87
	;;#ASMEND
	s_waitcnt lgkmcnt(7)
	;;#ASMSTART
	v_dot2_f32_f16 v88, v9, v79, v88
	;;#ASMEND
	;;#ASMSTART
	v_dot2_f32_f16 v88, v10, v80, v88
	;;#ASMEND
	;;#ASMSTART
	v_dot2_f32_f16 v88, v11, v81, v88
	;;#ASMEND
	;;#ASMSTART
	v_dot2_f32_f16 v88, v12, v82, v88
	;;#ASMEND
	;; [unrolled: 13-line block ×8, first 2 shown]
	;;#ASMSTART
	v_dot2_f32_f16 v0, v107, v13, v0
	;;#ASMEND
	;;#ASMSTART
	v_dot2_f32_f16 v0, v108, v14, v0
	;;#ASMEND
	;; [unrolled: 3-line block ×32, first 2 shown]
	ds_load_b128 v[79:82], v76 offset:16496
	ds_load_b128 v[100:103], v75 offset:240
	;; [unrolled: 1-line block ×10, first 2 shown]
	s_waitcnt lgkmcnt(8)
	;;#ASMSTART
	v_dot2_f32_f16 v87, v79, v100, v87
	;;#ASMEND
	;;#ASMSTART
	v_dot2_f32_f16 v87, v80, v101, v87
	;;#ASMEND
	;;#ASMSTART
	v_dot2_f32_f16 v87, v81, v102, v87
	;;#ASMEND
	;;#ASMSTART
	v_dot2_f32_f16 v87, v82, v103, v87
	;;#ASMEND
	s_waitcnt lgkmcnt(7)
	;;#ASMSTART
	v_dot2_f32_f16 v88, v79, v104, v88
	;;#ASMEND
	;;#ASMSTART
	v_dot2_f32_f16 v88, v80, v105, v88
	;;#ASMEND
	;;#ASMSTART
	v_dot2_f32_f16 v88, v81, v106, v88
	;;#ASMEND
	;;#ASMSTART
	v_dot2_f32_f16 v88, v82, v107, v88
	;;#ASMEND
	;; [unrolled: 13-line block ×8, first 2 shown]
	;;#ASMSTART
	v_dot2_f32_f16 v0, v116, v100, v0
	;;#ASMEND
	;;#ASMSTART
	v_dot2_f32_f16 v0, v117, v101, v0
	;;#ASMEND
	;; [unrolled: 3-line block ×23, first 2 shown]
	v_dual_mov_b32 v16, v8 :: v_dual_mov_b32 v13, v5
	;;#ASMSTART
	v_dot2_f32_f16 v93, v119, v127, v93
	;;#ASMEND
	;;#ASMSTART
	v_dot2_f32_f16 v94, v116, v128, v94
	;;#ASMEND
	v_dual_mov_b32 v15, v7 :: v_dual_mov_b32 v14, v6
	v_dual_mov_b32 v9, v1 :: v_dual_mov_b32 v12, v4
	;; [unrolled: 1-line block ×3, first 2 shown]
	v_cndmask_b32_e64 v99, 0, 1, s1
	;;#ASMSTART
	v_dot2_f32_f16 v94, v117, v129, v94
	;;#ASMEND
	;;#ASMSTART
	v_dot2_f32_f16 v94, v118, v130, v94
	;;#ASMEND
	;; [unrolled: 3-line block ×7, first 2 shown]
	s_and_saveexec_b32 s4, s0
	s_cbranch_execz .LBB52_51
; %bb.48:
	s_and_not1_b32 vcc_lo, exec_lo, s1
	s_cbranch_vccnz .LBB52_50
; %bb.49:
	v_add_nc_u32_e32 v9, v17, v41
	s_delay_alu instid0(VALU_DEP_1) | instskip(NEXT) | instid1(VALU_DEP_1)
	v_ashrrev_i32_e32 v10, 31, v9
	v_lshlrev_b64 v[9:10], 1, v[9:10]
	s_delay_alu instid0(VALU_DEP_1) | instskip(NEXT) | instid1(VALU_DEP_2)
	v_add_co_u32 v9, vcc_lo, s40, v9
	v_add_co_ci_u32_e32 v10, vcc_lo, s41, v10, vcc_lo
	flat_load_u16 v9, v[9:10]
	s_waitcnt vmcnt(0) lgkmcnt(0)
	v_cvt_f32_f16_e32 v9, v9
	s_delay_alu instid0(VALU_DEP_1)
	v_mul_f32_e32 v78, v24, v9
.LBB52_50:
	s_delay_alu instid0(VALU_DEP_1) | instskip(NEXT) | instid1(VALU_DEP_1)
	v_dual_add_f32 v87, v87, v78 :: v_dual_max_f32 v10, v1, v1
	v_add_f32_e32 v9, 0x40051340, v87
	s_delay_alu instid0(VALU_DEP_1)
	v_max_f32_e32 v18, v10, v9
	v_dual_mov_b32 v16, v8 :: v_dual_mov_b32 v13, v5
	v_dual_mov_b32 v10, v2 :: v_dual_mov_b32 v9, v1
	;; [unrolled: 1-line block ×4, first 2 shown]
	v_mov_b32_e32 v9, v18
.LBB52_51:
	s_or_b32 exec_lo, exec_lo, s4
	v_add_nc_u32_e32 v70, 32, v41
	s_delay_alu instid0(VALU_DEP_1) | instskip(NEXT) | instid1(VALU_DEP_1)
	v_cmp_gt_i32_e64 s1, s26, v70
	s_and_saveexec_b32 s4, s1
	s_cbranch_execz .LBB52_56
; %bb.52:
	v_cmp_ne_u32_e32 vcc_lo, 1, v99
	s_cbranch_vccnz .LBB52_54
; %bb.53:
	v_ashrrev_i32_e32 v18, 31, v17
	v_add_co_u32 v17, vcc_lo, v17, v41
	s_delay_alu instid0(VALU_DEP_2) | instskip(NEXT) | instid1(VALU_DEP_1)
	v_add_co_ci_u32_e32 v18, vcc_lo, 0, v18, vcc_lo
	v_lshlrev_b64 v[17:18], 1, v[17:18]
	s_delay_alu instid0(VALU_DEP_1) | instskip(NEXT) | instid1(VALU_DEP_2)
	v_add_co_u32 v17, vcc_lo, s40, v17
	v_add_co_ci_u32_e32 v18, vcc_lo, s41, v18, vcc_lo
	flat_load_u16 v17, v[17:18] offset:64
	s_waitcnt vmcnt(0) lgkmcnt(0)
	v_cvt_f32_f16_e32 v17, v17
	s_delay_alu instid0(VALU_DEP_1)
	v_mul_f32_e32 v17, v24, v17
	s_branch .LBB52_55
.LBB52_54:
	v_mov_b32_e32 v17, 0
.LBB52_55:
	s_delay_alu instid0(VALU_DEP_1) | instskip(SKIP_1) | instid1(VALU_DEP_2)
	v_add_f32_e32 v0, v0, v17
	v_max_f32_e32 v9, v9, v9
	v_add_f32_e32 v17, 0x40051340, v0
	s_delay_alu instid0(VALU_DEP_1)
	v_max_f32_e32 v9, v9, v17
.LBB52_56:
	s_or_b32 exec_lo, exec_lo, s4
	v_xor_b32_e32 v83, 16, v19
	v_xor_b32_e32 v82, 8, v19
	;; [unrolled: 1-line block ×4, first 2 shown]
	v_mul_hi_u32 v80, s36, v74
	v_cmp_gt_i32_e32 vcc_lo, 32, v83
	v_xor_b32_e32 v78, 1, v19
	v_cndmask_b32_e32 v17, v19, v83, vcc_lo
	v_cmp_gt_i32_e32 vcc_lo, 32, v82
	v_cndmask_b32_e32 v18, v19, v82, vcc_lo
	v_cmp_gt_i32_e32 vcc_lo, 32, v81
	s_delay_alu instid0(VALU_DEP_2) | instskip(SKIP_3) | instid1(VALU_DEP_3)
	v_lshlrev_b32_e32 v76, 2, v18
	v_cndmask_b32_e32 v18, v19, v81, vcc_lo
	v_cmp_gt_i32_e32 vcc_lo, 32, v79
	v_lshlrev_b32_e32 v75, 2, v17
	v_lshlrev_b32_e32 v100, 2, v18
	v_cndmask_b32_e32 v18, v19, v79, vcc_lo
	ds_bpermute_b32 v17, v75, v9
	v_cmp_gt_i32_e32 vcc_lo, 32, v78
	v_max_f32_e32 v9, v9, v9
	v_lshlrev_b32_e32 v101, 2, v18
	v_cndmask_b32_e32 v18, v19, v78, vcc_lo
	s_waitcnt lgkmcnt(0)
	s_delay_alu instid0(VALU_DEP_1) | instskip(NEXT) | instid1(VALU_DEP_1)
	v_dual_max_f32 v17, v17, v17 :: v_dual_lshlrev_b32 v102, 2, v18
	v_max_f32_e32 v9, v9, v17
	ds_bpermute_b32 v17, v76, v9
	s_waitcnt lgkmcnt(0)
	v_max_f32_e32 v17, v17, v17
	s_delay_alu instid0(VALU_DEP_1) | instskip(SKIP_3) | instid1(VALU_DEP_1)
	v_max_f32_e32 v9, v9, v17
	ds_bpermute_b32 v17, v100, v9
	s_waitcnt lgkmcnt(0)
	v_max_f32_e32 v17, v17, v17
	v_max_f32_e32 v9, v9, v17
	ds_bpermute_b32 v17, v101, v9
	s_waitcnt lgkmcnt(0)
	v_max_f32_e32 v17, v17, v17
	s_delay_alu instid0(VALU_DEP_1) | instskip(SKIP_3) | instid1(VALU_DEP_1)
	v_max_f32_e32 v9, v9, v17
	v_dual_mov_b32 v80, 32 :: v_dual_add_nc_u32 v17, v74, v80
	ds_bpermute_b32 v18, v102, v9
	v_lshrrev_b32_e32 v17, s37, v17
	v_mul_lo_u32 v17, v17, s38
	s_delay_alu instid0(VALU_DEP_1) | instskip(SKIP_2) | instid1(VALU_DEP_2)
	v_sub_nc_u32_e32 v74, v74, v17
	s_waitcnt lgkmcnt(0)
	v_max_f32_e32 v103, v18, v18
	v_mad_u64_u32 v[17:18], null, v74, s15, s[16:17]
	s_delay_alu instid0(VALU_DEP_2)
	v_max_f32_e32 v9, v9, v103
	s_and_saveexec_b32 s4, s0
	s_cbranch_execz .LBB52_61
; %bb.57:
	v_cmp_ne_u32_e32 vcc_lo, 1, v99
	s_cbranch_vccnz .LBB52_59
; %bb.58:
	s_delay_alu instid0(VALU_DEP_3) | instskip(NEXT) | instid1(VALU_DEP_1)
	v_add_nc_u32_e32 v103, v17, v41
	v_ashrrev_i32_e32 v104, 31, v103
	s_delay_alu instid0(VALU_DEP_1) | instskip(NEXT) | instid1(VALU_DEP_1)
	v_lshlrev_b64 v[103:104], 1, v[103:104]
	v_add_co_u32 v103, vcc_lo, s40, v103
	s_delay_alu instid0(VALU_DEP_2) | instskip(SKIP_3) | instid1(VALU_DEP_1)
	v_add_co_ci_u32_e32 v104, vcc_lo, s41, v104, vcc_lo
	flat_load_u16 v18, v[103:104]
	s_waitcnt vmcnt(0) lgkmcnt(0)
	v_cvt_f32_f16_e32 v18, v18
	v_mul_f32_e32 v18, v24, v18
	s_branch .LBB52_60
.LBB52_59:
	v_mov_b32_e32 v18, 0
.LBB52_60:
	s_delay_alu instid0(VALU_DEP_1) | instskip(SKIP_1) | instid1(VALU_DEP_2)
	v_add_f32_e32 v88, v88, v18
	v_max_f32_e32 v10, v10, v10
	v_add_f32_e32 v18, 0x40051340, v88
	s_delay_alu instid0(VALU_DEP_1)
	v_max_f32_e32 v10, v10, v18
.LBB52_61:
	s_or_b32 exec_lo, exec_lo, s4
	s_and_saveexec_b32 s4, s1
	s_cbranch_execz .LBB52_66
; %bb.62:
	v_cmp_ne_u32_e32 vcc_lo, 1, v99
	s_cbranch_vccnz .LBB52_64
; %bb.63:
	v_ashrrev_i32_e32 v18, 31, v17
	v_add_co_u32 v17, vcc_lo, v17, v41
	s_delay_alu instid0(VALU_DEP_2) | instskip(NEXT) | instid1(VALU_DEP_1)
	v_add_co_ci_u32_e32 v18, vcc_lo, 0, v18, vcc_lo
	v_lshlrev_b64 v[17:18], 1, v[17:18]
	s_delay_alu instid0(VALU_DEP_1) | instskip(NEXT) | instid1(VALU_DEP_2)
	v_add_co_u32 v17, vcc_lo, s40, v17
	v_add_co_ci_u32_e32 v18, vcc_lo, s41, v18, vcc_lo
	flat_load_u16 v17, v[17:18] offset:64
	s_waitcnt vmcnt(0) lgkmcnt(0)
	v_cvt_f32_f16_e32 v17, v17
	s_delay_alu instid0(VALU_DEP_1)
	v_mul_f32_e32 v17, v24, v17
	s_branch .LBB52_65
.LBB52_64:
	v_mov_b32_e32 v17, 0
.LBB52_65:
	s_delay_alu instid0(VALU_DEP_1) | instskip(NEXT) | instid1(VALU_DEP_1)
	v_add_f32_e32 v84, v84, v17
	v_dual_max_f32 v10, v10, v10 :: v_dual_add_f32 v17, 0x40051340, v84
	s_delay_alu instid0(VALU_DEP_1)
	v_max_f32_e32 v10, v10, v17
.LBB52_66:
	s_or_b32 exec_lo, exec_lo, s4
	ds_bpermute_b32 v17, v75, v10
	v_mul_hi_u32 v18, s36, v71
	s_waitcnt lgkmcnt(0)
	v_dual_max_f32 v10, v10, v10 :: v_dual_max_f32 v17, v17, v17
	s_delay_alu instid0(VALU_DEP_1) | instskip(SKIP_3) | instid1(VALU_DEP_1)
	v_max_f32_e32 v10, v10, v17
	ds_bpermute_b32 v17, v76, v10
	s_waitcnt lgkmcnt(0)
	v_max_f32_e32 v17, v17, v17
	v_max_f32_e32 v10, v10, v17
	ds_bpermute_b32 v17, v100, v10
	s_waitcnt lgkmcnt(0)
	v_max_f32_e32 v17, v17, v17
	s_delay_alu instid0(VALU_DEP_1) | instskip(SKIP_3) | instid1(VALU_DEP_1)
	v_max_f32_e32 v10, v10, v17
	ds_bpermute_b32 v17, v101, v10
	s_waitcnt lgkmcnt(0)
	v_max_f32_e32 v17, v17, v17
	v_dual_max_f32 v10, v10, v17 :: v_dual_add_nc_u32 v17, v71, v18
	ds_bpermute_b32 v18, v102, v10
	v_lshrrev_b32_e32 v17, s37, v17
	s_delay_alu instid0(VALU_DEP_1) | instskip(NEXT) | instid1(VALU_DEP_1)
	v_mul_lo_u32 v17, v17, s38
	v_sub_nc_u32_e32 v71, v71, v17
	s_waitcnt lgkmcnt(0)
	v_max_f32_e32 v74, v18, v18
	s_delay_alu instid0(VALU_DEP_2) | instskip(NEXT) | instid1(VALU_DEP_2)
	v_mad_u64_u32 v[17:18], null, v71, s15, s[16:17]
	v_max_f32_e32 v10, v10, v74
	s_and_saveexec_b32 s4, s0
	s_cbranch_execz .LBB52_71
; %bb.67:
	v_cmp_ne_u32_e32 vcc_lo, 1, v99
	s_cbranch_vccnz .LBB52_69
; %bb.68:
	s_delay_alu instid0(VALU_DEP_3) | instskip(NEXT) | instid1(VALU_DEP_1)
	v_add_nc_u32_e32 v103, v17, v41
	v_ashrrev_i32_e32 v104, 31, v103
	s_delay_alu instid0(VALU_DEP_1) | instskip(NEXT) | instid1(VALU_DEP_1)
	v_lshlrev_b64 v[103:104], 1, v[103:104]
	v_add_co_u32 v103, vcc_lo, s40, v103
	s_delay_alu instid0(VALU_DEP_2) | instskip(SKIP_3) | instid1(VALU_DEP_1)
	v_add_co_ci_u32_e32 v104, vcc_lo, s41, v104, vcc_lo
	flat_load_u16 v18, v[103:104]
	s_waitcnt vmcnt(0) lgkmcnt(0)
	v_cvt_f32_f16_e32 v18, v18
	v_mul_f32_e32 v18, v24, v18
	s_branch .LBB52_70
.LBB52_69:
	v_mov_b32_e32 v18, 0
.LBB52_70:
	s_delay_alu instid0(VALU_DEP_1) | instskip(SKIP_1) | instid1(VALU_DEP_2)
	v_add_f32_e32 v95, v95, v18
	v_max_f32_e32 v11, v11, v11
	v_add_f32_e32 v18, 0x40051340, v95
	s_delay_alu instid0(VALU_DEP_1)
	v_max_f32_e32 v11, v11, v18
.LBB52_71:
	s_or_b32 exec_lo, exec_lo, s4
	s_and_saveexec_b32 s4, s1
	s_cbranch_execz .LBB52_76
; %bb.72:
	v_cmp_ne_u32_e32 vcc_lo, 1, v99
	s_cbranch_vccnz .LBB52_74
; %bb.73:
	v_ashrrev_i32_e32 v18, 31, v17
	v_add_co_u32 v17, vcc_lo, v17, v41
	s_delay_alu instid0(VALU_DEP_2) | instskip(NEXT) | instid1(VALU_DEP_1)
	v_add_co_ci_u32_e32 v18, vcc_lo, 0, v18, vcc_lo
	v_lshlrev_b64 v[17:18], 1, v[17:18]
	s_delay_alu instid0(VALU_DEP_1) | instskip(NEXT) | instid1(VALU_DEP_2)
	v_add_co_u32 v17, vcc_lo, s40, v17
	v_add_co_ci_u32_e32 v18, vcc_lo, s41, v18, vcc_lo
	flat_load_u16 v17, v[17:18] offset:64
	s_waitcnt vmcnt(0) lgkmcnt(0)
	v_cvt_f32_f16_e32 v17, v17
	s_delay_alu instid0(VALU_DEP_1)
	v_mul_f32_e32 v17, v24, v17
	s_branch .LBB52_75
.LBB52_74:
	v_mov_b32_e32 v17, 0
.LBB52_75:
	s_delay_alu instid0(VALU_DEP_1) | instskip(SKIP_1) | instid1(VALU_DEP_2)
	v_add_f32_e32 v85, v85, v17
	v_max_f32_e32 v11, v11, v11
	v_add_f32_e32 v17, 0x40051340, v85
	s_delay_alu instid0(VALU_DEP_1)
	v_max_f32_e32 v11, v11, v17
.LBB52_76:
	s_or_b32 exec_lo, exec_lo, s4
	ds_bpermute_b32 v17, v75, v11
	v_max_f32_e32 v11, v11, v11
	v_mul_hi_u32 v18, s36, v67
	s_waitcnt lgkmcnt(0)
	v_max_f32_e32 v17, v17, v17
	s_delay_alu instid0(VALU_DEP_1) | instskip(SKIP_3) | instid1(VALU_DEP_1)
	v_max_f32_e32 v11, v11, v17
	ds_bpermute_b32 v17, v76, v11
	s_waitcnt lgkmcnt(0)
	v_max_f32_e32 v17, v17, v17
	v_max_f32_e32 v11, v11, v17
	ds_bpermute_b32 v17, v100, v11
	s_waitcnt lgkmcnt(0)
	v_max_f32_e32 v17, v17, v17
	s_delay_alu instid0(VALU_DEP_1) | instskip(SKIP_3) | instid1(VALU_DEP_1)
	v_max_f32_e32 v11, v11, v17
	ds_bpermute_b32 v17, v101, v11
	s_waitcnt lgkmcnt(0)
	v_max_f32_e32 v17, v17, v17
	v_max_f32_e32 v11, v11, v17
	v_add_nc_u32_e32 v17, v67, v18
	ds_bpermute_b32 v18, v102, v11
	v_lshrrev_b32_e32 v17, s37, v17
	s_delay_alu instid0(VALU_DEP_1) | instskip(NEXT) | instid1(VALU_DEP_1)
	v_mul_lo_u32 v17, v17, s38
	v_sub_nc_u32_e32 v67, v67, v17
	s_waitcnt lgkmcnt(0)
	v_max_f32_e32 v71, v18, v18
	s_delay_alu instid0(VALU_DEP_2) | instskip(NEXT) | instid1(VALU_DEP_2)
	v_mad_u64_u32 v[17:18], null, v67, s15, s[16:17]
	v_max_f32_e32 v11, v11, v71
	s_and_saveexec_b32 s4, s0
	s_cbranch_execz .LBB52_81
; %bb.77:
	v_cmp_ne_u32_e32 vcc_lo, 1, v99
	s_cbranch_vccnz .LBB52_79
; %bb.78:
	s_delay_alu instid0(VALU_DEP_3) | instskip(NEXT) | instid1(VALU_DEP_1)
	v_add_nc_u32_e32 v103, v17, v41
	v_ashrrev_i32_e32 v104, 31, v103
	s_delay_alu instid0(VALU_DEP_1) | instskip(NEXT) | instid1(VALU_DEP_1)
	v_lshlrev_b64 v[103:104], 1, v[103:104]
	v_add_co_u32 v103, vcc_lo, s40, v103
	s_delay_alu instid0(VALU_DEP_2) | instskip(SKIP_3) | instid1(VALU_DEP_1)
	v_add_co_ci_u32_e32 v104, vcc_lo, s41, v104, vcc_lo
	flat_load_u16 v18, v[103:104]
	s_waitcnt vmcnt(0) lgkmcnt(0)
	v_cvt_f32_f16_e32 v18, v18
	v_mul_f32_e32 v18, v24, v18
	s_branch .LBB52_80
.LBB52_79:
	v_mov_b32_e32 v18, 0
.LBB52_80:
	s_delay_alu instid0(VALU_DEP_1) | instskip(SKIP_1) | instid1(VALU_DEP_2)
	v_add_f32_e32 v96, v96, v18
	v_max_f32_e32 v12, v12, v12
	v_add_f32_e32 v18, 0x40051340, v96
	s_delay_alu instid0(VALU_DEP_1)
	v_max_f32_e32 v12, v12, v18
.LBB52_81:
	s_or_b32 exec_lo, exec_lo, s4
	s_and_saveexec_b32 s4, s1
	s_cbranch_execz .LBB52_86
; %bb.82:
	v_cmp_ne_u32_e32 vcc_lo, 1, v99
	s_cbranch_vccnz .LBB52_84
; %bb.83:
	v_ashrrev_i32_e32 v18, 31, v17
	v_add_co_u32 v17, vcc_lo, v17, v41
	s_delay_alu instid0(VALU_DEP_2) | instskip(NEXT) | instid1(VALU_DEP_1)
	v_add_co_ci_u32_e32 v18, vcc_lo, 0, v18, vcc_lo
	v_lshlrev_b64 v[17:18], 1, v[17:18]
	s_delay_alu instid0(VALU_DEP_1) | instskip(NEXT) | instid1(VALU_DEP_2)
	v_add_co_u32 v17, vcc_lo, s40, v17
	v_add_co_ci_u32_e32 v18, vcc_lo, s41, v18, vcc_lo
	flat_load_u16 v17, v[17:18] offset:64
	s_waitcnt vmcnt(0) lgkmcnt(0)
	v_cvt_f32_f16_e32 v17, v17
	s_delay_alu instid0(VALU_DEP_1)
	v_mul_f32_e32 v17, v24, v17
	s_branch .LBB52_85
.LBB52_84:
	v_mov_b32_e32 v17, 0
.LBB52_85:
	s_delay_alu instid0(VALU_DEP_1) | instskip(NEXT) | instid1(VALU_DEP_1)
	v_add_f32_e32 v86, v86, v17
	v_dual_max_f32 v12, v12, v12 :: v_dual_add_f32 v17, 0x40051340, v86
	s_delay_alu instid0(VALU_DEP_1)
	v_max_f32_e32 v12, v12, v17
.LBB52_86:
	s_or_b32 exec_lo, exec_lo, s4
	ds_bpermute_b32 v17, v75, v12
	v_mul_hi_u32 v18, s36, v64
	s_waitcnt lgkmcnt(0)
	v_dual_max_f32 v12, v12, v12 :: v_dual_max_f32 v17, v17, v17
	s_delay_alu instid0(VALU_DEP_1) | instskip(SKIP_3) | instid1(VALU_DEP_1)
	v_max_f32_e32 v12, v12, v17
	ds_bpermute_b32 v17, v76, v12
	s_waitcnt lgkmcnt(0)
	v_max_f32_e32 v17, v17, v17
	v_max_f32_e32 v12, v12, v17
	ds_bpermute_b32 v17, v100, v12
	s_waitcnt lgkmcnt(0)
	v_max_f32_e32 v17, v17, v17
	s_delay_alu instid0(VALU_DEP_1) | instskip(SKIP_3) | instid1(VALU_DEP_1)
	v_max_f32_e32 v12, v12, v17
	ds_bpermute_b32 v17, v101, v12
	s_waitcnt lgkmcnt(0)
	v_max_f32_e32 v17, v17, v17
	v_max_f32_e32 v12, v12, v17
	v_add_nc_u32_e32 v17, v64, v18
	ds_bpermute_b32 v18, v102, v12
	v_lshrrev_b32_e32 v17, s37, v17
	s_delay_alu instid0(VALU_DEP_1) | instskip(NEXT) | instid1(VALU_DEP_1)
	v_mul_lo_u32 v17, v17, s38
	v_sub_nc_u32_e32 v64, v64, v17
	s_waitcnt lgkmcnt(0)
	v_max_f32_e32 v67, v18, v18
	s_delay_alu instid0(VALU_DEP_2) | instskip(NEXT) | instid1(VALU_DEP_2)
	v_mad_u64_u32 v[17:18], null, v64, s15, s[16:17]
	v_max_f32_e32 v12, v12, v67
	s_and_saveexec_b32 s4, s0
	s_cbranch_execz .LBB52_91
; %bb.87:
	v_cmp_ne_u32_e32 vcc_lo, 1, v99
	s_cbranch_vccnz .LBB52_89
; %bb.88:
	s_delay_alu instid0(VALU_DEP_3) | instskip(NEXT) | instid1(VALU_DEP_1)
	v_add_nc_u32_e32 v103, v17, v41
	v_ashrrev_i32_e32 v104, 31, v103
	s_delay_alu instid0(VALU_DEP_1) | instskip(NEXT) | instid1(VALU_DEP_1)
	v_lshlrev_b64 v[103:104], 1, v[103:104]
	v_add_co_u32 v103, vcc_lo, s40, v103
	s_delay_alu instid0(VALU_DEP_2) | instskip(SKIP_3) | instid1(VALU_DEP_1)
	v_add_co_ci_u32_e32 v104, vcc_lo, s41, v104, vcc_lo
	flat_load_u16 v18, v[103:104]
	s_waitcnt vmcnt(0) lgkmcnt(0)
	v_cvt_f32_f16_e32 v18, v18
	v_mul_f32_e32 v18, v24, v18
	s_branch .LBB52_90
.LBB52_89:
	v_mov_b32_e32 v18, 0
.LBB52_90:
	s_delay_alu instid0(VALU_DEP_1) | instskip(SKIP_1) | instid1(VALU_DEP_2)
	v_add_f32_e32 v97, v97, v18
	v_max_f32_e32 v13, v13, v13
	v_add_f32_e32 v18, 0x40051340, v97
	s_delay_alu instid0(VALU_DEP_1)
	v_max_f32_e32 v13, v13, v18
.LBB52_91:
	s_or_b32 exec_lo, exec_lo, s4
	s_and_saveexec_b32 s4, s1
	s_cbranch_execz .LBB52_96
; %bb.92:
	v_cmp_ne_u32_e32 vcc_lo, 1, v99
	s_cbranch_vccnz .LBB52_94
; %bb.93:
	v_ashrrev_i32_e32 v18, 31, v17
	v_add_co_u32 v17, vcc_lo, v17, v41
	s_delay_alu instid0(VALU_DEP_2) | instskip(NEXT) | instid1(VALU_DEP_1)
	v_add_co_ci_u32_e32 v18, vcc_lo, 0, v18, vcc_lo
	v_lshlrev_b64 v[17:18], 1, v[17:18]
	s_delay_alu instid0(VALU_DEP_1) | instskip(NEXT) | instid1(VALU_DEP_2)
	v_add_co_u32 v17, vcc_lo, s40, v17
	v_add_co_ci_u32_e32 v18, vcc_lo, s41, v18, vcc_lo
	flat_load_u16 v17, v[17:18] offset:64
	s_waitcnt vmcnt(0) lgkmcnt(0)
	v_cvt_f32_f16_e32 v17, v17
	s_delay_alu instid0(VALU_DEP_1)
	v_mul_f32_e32 v17, v24, v17
	s_branch .LBB52_95
.LBB52_94:
	v_mov_b32_e32 v17, 0
.LBB52_95:
	s_delay_alu instid0(VALU_DEP_1) | instskip(SKIP_1) | instid1(VALU_DEP_2)
	v_add_f32_e32 v92, v92, v17
	v_max_f32_e32 v13, v13, v13
	v_add_f32_e32 v17, 0x40051340, v92
	s_delay_alu instid0(VALU_DEP_1)
	v_max_f32_e32 v13, v13, v17
.LBB52_96:
	s_or_b32 exec_lo, exec_lo, s4
	ds_bpermute_b32 v17, v75, v13
	v_max_f32_e32 v13, v13, v13
	v_mul_hi_u32 v18, s36, v61
	s_waitcnt lgkmcnt(0)
	v_max_f32_e32 v17, v17, v17
	s_delay_alu instid0(VALU_DEP_1) | instskip(SKIP_3) | instid1(VALU_DEP_1)
	v_max_f32_e32 v13, v13, v17
	ds_bpermute_b32 v17, v76, v13
	s_waitcnt lgkmcnt(0)
	v_max_f32_e32 v17, v17, v17
	v_max_f32_e32 v13, v13, v17
	ds_bpermute_b32 v17, v100, v13
	s_waitcnt lgkmcnt(0)
	v_max_f32_e32 v17, v17, v17
	s_delay_alu instid0(VALU_DEP_1) | instskip(SKIP_3) | instid1(VALU_DEP_1)
	v_max_f32_e32 v13, v13, v17
	ds_bpermute_b32 v17, v101, v13
	s_waitcnt lgkmcnt(0)
	v_max_f32_e32 v17, v17, v17
	v_max_f32_e32 v13, v13, v17
	v_add_nc_u32_e32 v17, v61, v18
	ds_bpermute_b32 v18, v102, v13
	v_lshrrev_b32_e32 v17, s37, v17
	s_delay_alu instid0(VALU_DEP_1) | instskip(NEXT) | instid1(VALU_DEP_1)
	v_mul_lo_u32 v17, v17, s38
	v_sub_nc_u32_e32 v61, v61, v17
	s_waitcnt lgkmcnt(0)
	v_max_f32_e32 v64, v18, v18
	s_delay_alu instid0(VALU_DEP_2) | instskip(NEXT) | instid1(VALU_DEP_2)
	v_mad_u64_u32 v[17:18], null, v61, s15, s[16:17]
	v_max_f32_e32 v13, v13, v64
	s_and_saveexec_b32 s4, s0
	s_cbranch_execz .LBB52_101
; %bb.97:
	v_cmp_ne_u32_e32 vcc_lo, 1, v99
	s_cbranch_vccnz .LBB52_99
; %bb.98:
	s_delay_alu instid0(VALU_DEP_3) | instskip(NEXT) | instid1(VALU_DEP_1)
	v_add_nc_u32_e32 v103, v17, v41
	v_ashrrev_i32_e32 v104, 31, v103
	s_delay_alu instid0(VALU_DEP_1) | instskip(NEXT) | instid1(VALU_DEP_1)
	v_lshlrev_b64 v[103:104], 1, v[103:104]
	v_add_co_u32 v103, vcc_lo, s40, v103
	s_delay_alu instid0(VALU_DEP_2) | instskip(SKIP_3) | instid1(VALU_DEP_1)
	v_add_co_ci_u32_e32 v104, vcc_lo, s41, v104, vcc_lo
	flat_load_u16 v18, v[103:104]
	s_waitcnt vmcnt(0) lgkmcnt(0)
	v_cvt_f32_f16_e32 v18, v18
	v_mul_f32_e32 v18, v24, v18
	s_branch .LBB52_100
.LBB52_99:
	v_mov_b32_e32 v18, 0
.LBB52_100:
	s_delay_alu instid0(VALU_DEP_1) | instskip(SKIP_1) | instid1(VALU_DEP_2)
	v_add_f32_e32 v98, v98, v18
	v_max_f32_e32 v14, v14, v14
	v_add_f32_e32 v18, 0x40051340, v98
	s_delay_alu instid0(VALU_DEP_1)
	v_max_f32_e32 v14, v14, v18
.LBB52_101:
	s_or_b32 exec_lo, exec_lo, s4
	s_and_saveexec_b32 s4, s1
	s_cbranch_execz .LBB52_106
; %bb.102:
	v_cmp_ne_u32_e32 vcc_lo, 1, v99
	s_cbranch_vccnz .LBB52_104
; %bb.103:
	v_ashrrev_i32_e32 v18, 31, v17
	v_add_co_u32 v17, vcc_lo, v17, v41
	s_delay_alu instid0(VALU_DEP_2) | instskip(NEXT) | instid1(VALU_DEP_1)
	v_add_co_ci_u32_e32 v18, vcc_lo, 0, v18, vcc_lo
	v_lshlrev_b64 v[17:18], 1, v[17:18]
	s_delay_alu instid0(VALU_DEP_1) | instskip(NEXT) | instid1(VALU_DEP_2)
	v_add_co_u32 v17, vcc_lo, s40, v17
	v_add_co_ci_u32_e32 v18, vcc_lo, s41, v18, vcc_lo
	flat_load_u16 v17, v[17:18] offset:64
	s_waitcnt vmcnt(0) lgkmcnt(0)
	v_cvt_f32_f16_e32 v17, v17
	s_delay_alu instid0(VALU_DEP_1)
	v_mul_f32_e32 v17, v24, v17
	s_branch .LBB52_105
.LBB52_104:
	v_mov_b32_e32 v17, 0
.LBB52_105:
	s_delay_alu instid0(VALU_DEP_1) | instskip(NEXT) | instid1(VALU_DEP_1)
	v_dual_add_f32 v93, v93, v17 :: v_dual_max_f32 v14, v14, v14
	v_add_f32_e32 v17, 0x40051340, v93
	s_delay_alu instid0(VALU_DEP_1)
	v_max_f32_e32 v14, v14, v17
.LBB52_106:
	s_or_b32 exec_lo, exec_lo, s4
	ds_bpermute_b32 v17, v75, v14
	v_mul_hi_u32 v18, s36, v60
	s_waitcnt lgkmcnt(0)
	v_dual_max_f32 v14, v14, v14 :: v_dual_max_f32 v17, v17, v17
	s_delay_alu instid0(VALU_DEP_1) | instskip(SKIP_3) | instid1(VALU_DEP_1)
	v_max_f32_e32 v14, v14, v17
	ds_bpermute_b32 v17, v76, v14
	s_waitcnt lgkmcnt(0)
	v_max_f32_e32 v17, v17, v17
	v_max_f32_e32 v14, v14, v17
	ds_bpermute_b32 v17, v100, v14
	s_waitcnt lgkmcnt(0)
	v_max_f32_e32 v17, v17, v17
	s_delay_alu instid0(VALU_DEP_1) | instskip(SKIP_3) | instid1(VALU_DEP_1)
	v_max_f32_e32 v14, v14, v17
	ds_bpermute_b32 v17, v101, v14
	s_waitcnt lgkmcnt(0)
	v_max_f32_e32 v17, v17, v17
	v_dual_max_f32 v14, v14, v17 :: v_dual_add_nc_u32 v17, v60, v18
	ds_bpermute_b32 v18, v102, v14
	v_lshrrev_b32_e32 v17, s37, v17
	s_delay_alu instid0(VALU_DEP_1) | instskip(NEXT) | instid1(VALU_DEP_1)
	v_mul_lo_u32 v17, v17, s38
	v_sub_nc_u32_e32 v60, v60, v17
	s_waitcnt lgkmcnt(0)
	v_max_f32_e32 v61, v18, v18
	s_delay_alu instid0(VALU_DEP_2) | instskip(NEXT) | instid1(VALU_DEP_2)
	v_mad_u64_u32 v[17:18], null, v60, s15, s[16:17]
	v_max_f32_e32 v14, v14, v61
	s_and_saveexec_b32 s4, s0
	s_cbranch_execz .LBB52_111
; %bb.107:
	v_cmp_ne_u32_e32 vcc_lo, 1, v99
	s_cbranch_vccnz .LBB52_109
; %bb.108:
	s_delay_alu instid0(VALU_DEP_3) | instskip(NEXT) | instid1(VALU_DEP_1)
	v_add_nc_u32_e32 v60, v17, v41
	v_ashrrev_i32_e32 v61, 31, v60
	s_delay_alu instid0(VALU_DEP_1) | instskip(NEXT) | instid1(VALU_DEP_1)
	v_lshlrev_b64 v[60:61], 1, v[60:61]
	v_add_co_u32 v60, vcc_lo, s40, v60
	s_delay_alu instid0(VALU_DEP_2) | instskip(SKIP_3) | instid1(VALU_DEP_1)
	v_add_co_ci_u32_e32 v61, vcc_lo, s41, v61, vcc_lo
	flat_load_u16 v18, v[60:61]
	s_waitcnt vmcnt(0) lgkmcnt(0)
	v_cvt_f32_f16_e32 v18, v18
	v_mul_f32_e32 v18, v24, v18
	s_branch .LBB52_110
.LBB52_109:
	v_mov_b32_e32 v18, 0
.LBB52_110:
	s_delay_alu instid0(VALU_DEP_1) | instskip(NEXT) | instid1(VALU_DEP_1)
	v_add_f32_e32 v89, v89, v18
	v_dual_max_f32 v15, v15, v15 :: v_dual_add_f32 v18, 0x40051340, v89
	s_delay_alu instid0(VALU_DEP_1)
	v_max_f32_e32 v15, v15, v18
.LBB52_111:
	s_or_b32 exec_lo, exec_lo, s4
	s_and_saveexec_b32 s4, s1
	s_cbranch_execz .LBB52_116
; %bb.112:
	v_cmp_ne_u32_e32 vcc_lo, 1, v99
	s_cbranch_vccnz .LBB52_114
; %bb.113:
	v_ashrrev_i32_e32 v18, 31, v17
	v_add_co_u32 v17, vcc_lo, v17, v41
	s_delay_alu instid0(VALU_DEP_2) | instskip(NEXT) | instid1(VALU_DEP_1)
	v_add_co_ci_u32_e32 v18, vcc_lo, 0, v18, vcc_lo
	v_lshlrev_b64 v[17:18], 1, v[17:18]
	s_delay_alu instid0(VALU_DEP_1) | instskip(NEXT) | instid1(VALU_DEP_2)
	v_add_co_u32 v17, vcc_lo, s40, v17
	v_add_co_ci_u32_e32 v18, vcc_lo, s41, v18, vcc_lo
	flat_load_u16 v17, v[17:18] offset:64
	s_waitcnt vmcnt(0) lgkmcnt(0)
	v_cvt_f32_f16_e32 v17, v17
	s_delay_alu instid0(VALU_DEP_1)
	v_mul_f32_e32 v17, v24, v17
	s_branch .LBB52_115
.LBB52_114:
	v_mov_b32_e32 v17, 0
.LBB52_115:
	s_delay_alu instid0(VALU_DEP_1) | instskip(NEXT) | instid1(VALU_DEP_1)
	v_dual_add_f32 v94, v94, v17 :: v_dual_max_f32 v15, v15, v15
	v_add_f32_e32 v17, 0x40051340, v94
	s_delay_alu instid0(VALU_DEP_1)
	v_max_f32_e32 v15, v15, v17
.LBB52_116:
	s_or_b32 exec_lo, exec_lo, s4
	ds_bpermute_b32 v17, v75, v15
	v_max_f32_e32 v15, v15, v15
	v_mul_hi_u32 v18, s36, v59
	s_waitcnt lgkmcnt(0)
	v_max_f32_e32 v17, v17, v17
	s_delay_alu instid0(VALU_DEP_1) | instskip(SKIP_3) | instid1(VALU_DEP_1)
	v_max_f32_e32 v15, v15, v17
	ds_bpermute_b32 v17, v76, v15
	s_waitcnt lgkmcnt(0)
	v_max_f32_e32 v17, v17, v17
	v_max_f32_e32 v15, v15, v17
	ds_bpermute_b32 v17, v100, v15
	s_waitcnt lgkmcnt(0)
	v_max_f32_e32 v17, v17, v17
	s_delay_alu instid0(VALU_DEP_1) | instskip(SKIP_3) | instid1(VALU_DEP_1)
	v_max_f32_e32 v15, v15, v17
	ds_bpermute_b32 v17, v101, v15
	s_waitcnt lgkmcnt(0)
	v_max_f32_e32 v17, v17, v17
	v_max_f32_e32 v15, v15, v17
	v_add_nc_u32_e32 v17, v59, v18
	ds_bpermute_b32 v18, v102, v15
	v_lshrrev_b32_e32 v17, s37, v17
	s_delay_alu instid0(VALU_DEP_1) | instskip(NEXT) | instid1(VALU_DEP_1)
	v_mul_lo_u32 v17, v17, s38
	v_sub_nc_u32_e32 v59, v59, v17
	s_waitcnt lgkmcnt(0)
	v_max_f32_e32 v60, v18, v18
	s_delay_alu instid0(VALU_DEP_2) | instskip(NEXT) | instid1(VALU_DEP_2)
	v_mad_u64_u32 v[17:18], null, v59, s15, s[16:17]
	v_max_f32_e32 v15, v15, v60
	s_and_saveexec_b32 s4, s0
	s_cbranch_execz .LBB52_121
; %bb.117:
	v_cmp_ne_u32_e32 vcc_lo, 1, v99
	s_cbranch_vccnz .LBB52_119
; %bb.118:
	s_delay_alu instid0(VALU_DEP_3) | instskip(NEXT) | instid1(VALU_DEP_1)
	v_add_nc_u32_e32 v59, v17, v41
	v_ashrrev_i32_e32 v60, 31, v59
	s_delay_alu instid0(VALU_DEP_1) | instskip(NEXT) | instid1(VALU_DEP_1)
	v_lshlrev_b64 v[59:60], 1, v[59:60]
	v_add_co_u32 v59, vcc_lo, s40, v59
	s_delay_alu instid0(VALU_DEP_2) | instskip(SKIP_3) | instid1(VALU_DEP_1)
	v_add_co_ci_u32_e32 v60, vcc_lo, s41, v60, vcc_lo
	flat_load_u16 v18, v[59:60]
	s_waitcnt vmcnt(0) lgkmcnt(0)
	v_cvt_f32_f16_e32 v18, v18
	v_mul_f32_e32 v18, v24, v18
	s_branch .LBB52_120
.LBB52_119:
	v_mov_b32_e32 v18, 0
.LBB52_120:
	s_delay_alu instid0(VALU_DEP_1) | instskip(SKIP_1) | instid1(VALU_DEP_2)
	v_add_f32_e32 v90, v90, v18
	v_max_f32_e32 v16, v16, v16
	v_add_f32_e32 v18, 0x40051340, v90
	s_delay_alu instid0(VALU_DEP_1)
	v_max_f32_e32 v16, v16, v18
.LBB52_121:
	s_or_b32 exec_lo, exec_lo, s4
	s_and_saveexec_b32 s0, s1
	s_cbranch_execz .LBB52_126
; %bb.122:
	v_cmp_ne_u32_e32 vcc_lo, 1, v99
	s_cbranch_vccnz .LBB52_124
; %bb.123:
	v_ashrrev_i32_e32 v18, 31, v17
	v_add_co_u32 v17, vcc_lo, v17, v41
	s_delay_alu instid0(VALU_DEP_2) | instskip(NEXT) | instid1(VALU_DEP_1)
	v_add_co_ci_u32_e32 v18, vcc_lo, 0, v18, vcc_lo
	v_lshlrev_b64 v[17:18], 1, v[17:18]
	s_delay_alu instid0(VALU_DEP_1) | instskip(NEXT) | instid1(VALU_DEP_2)
	v_add_co_u32 v17, vcc_lo, s40, v17
	v_add_co_ci_u32_e32 v18, vcc_lo, s41, v18, vcc_lo
	flat_load_u16 v17, v[17:18] offset:64
	s_waitcnt vmcnt(0) lgkmcnt(0)
	v_cvt_f32_f16_e32 v17, v17
	s_delay_alu instid0(VALU_DEP_1)
	v_mul_f32_e32 v17, v24, v17
	s_branch .LBB52_125
.LBB52_124:
	v_mov_b32_e32 v17, 0
.LBB52_125:
	s_delay_alu instid0(VALU_DEP_1) | instskip(NEXT) | instid1(VALU_DEP_1)
	v_dual_add_f32 v91, v91, v17 :: v_dual_max_f32 v16, v16, v16
	v_add_f32_e32 v17, 0x40051340, v91
	s_delay_alu instid0(VALU_DEP_1)
	v_max_f32_e32 v16, v16, v17
.LBB52_126:
	s_or_b32 exec_lo, exec_lo, s0
	ds_bpermute_b32 v17, v75, v16
	v_dual_max_f32 v16, v16, v16 :: v_dual_sub_f32 v99, v1, v9
	s_waitcnt lgkmcnt(0)
	s_barrier
	buffer_gl0_inv
	s_mov_b64 s[18:19], src_shared_base
	v_sub_f32_e32 v105, v7, v15
	v_dual_sub_f32 v1, v95, v11 :: v_dual_sub_f32 v104, v6, v14
	v_sub_f32_e32 v0, v0, v9
	s_delay_alu instid0(VALU_DEP_3) | instskip(NEXT) | instid1(VALU_DEP_3)
	v_cmp_ngt_f32_e64 s13, 0xc2ce8ed0, v105
	v_cmp_ngt_f32_e32 vcc_lo, 0xc2ce8ed0, v1
	v_cmp_nlt_f32_e64 s0, 0x42b17218, v1
	v_cmp_nlt_f32_e64 s15, 0x42b17218, v105
	v_cmp_ngt_f32_e64 s11, 0xc2ce8ed0, v104
	v_cmp_nlt_f32_e64 s12, 0x42b17218, v104
	v_max_f32_e32 v17, v17, v17
	s_delay_alu instid0(VALU_DEP_1) | instskip(SKIP_3) | instid1(VALU_DEP_1)
	v_max_f32_e32 v16, v16, v17
	ds_bpermute_b32 v17, v76, v16
	s_waitcnt lgkmcnt(0)
	v_max_f32_e32 v17, v17, v17
	v_max_f32_e32 v16, v16, v17
	ds_bpermute_b32 v17, v100, v16
	v_sub_f32_e32 v100, v2, v10
	v_mul_f32_e32 v2, 0x3fb8aa3b, v1
	s_waitcnt lgkmcnt(0)
	v_max_f32_e32 v17, v17, v17
	s_delay_alu instid0(VALU_DEP_1) | instskip(SKIP_3) | instid1(VALU_DEP_1)
	v_max_f32_e32 v16, v16, v17
	ds_bpermute_b32 v17, v101, v16
	v_sub_f32_e32 v101, v3, v11
	v_fma_f32 v3, 0x3fb8aa3b, v1, -v2
	v_fmac_f32_e32 v3, 0x32a5705f, v1
	v_sub_f32_e32 v1, v96, v12
	s_delay_alu instid0(VALU_DEP_1) | instskip(SKIP_3) | instid1(VALU_DEP_1)
	v_cmp_ngt_f32_e64 s1, 0xc2ce8ed0, v1
	v_cmp_nlt_f32_e64 s4, 0x42b17218, v1
	s_waitcnt lgkmcnt(0)
	v_max_f32_e32 v17, v17, v17
	v_max_f32_e32 v16, v16, v17
	ds_bpermute_b32 v17, v102, v16
	v_sub_f32_e32 v102, v4, v12
	v_mul_f32_e32 v4, 0x3fb8aa3b, v1
	v_sub_f32_e32 v103, v5, v13
	s_delay_alu instid0(VALU_DEP_2) | instskip(NEXT) | instid1(VALU_DEP_1)
	v_fma_f32 v5, 0x3fb8aa3b, v1, -v4
	v_fmac_f32_e32 v5, 0x32a5705f, v1
	v_sub_f32_e32 v1, v97, v13
	s_delay_alu instid0(VALU_DEP_1)
	v_mul_f32_e32 v6, 0x3fb8aa3b, v1
	v_cmp_ngt_f32_e64 s5, 0xc2ce8ed0, v1
	v_cmp_nlt_f32_e64 s6, 0x42b17218, v1
	s_waitcnt lgkmcnt(0)
	v_max_f32_e32 v17, v17, v17
	v_fma_f32 v7, 0x3fb8aa3b, v1, -v6
	s_delay_alu instid0(VALU_DEP_1) | instskip(SKIP_1) | instid1(VALU_DEP_1)
	v_fmac_f32_e32 v7, 0x32a5705f, v1
	v_rndne_f32_e32 v1, v2
	v_sub_f32_e32 v2, v2, v1
	v_cvt_i32_f32_e32 v1, v1
	s_delay_alu instid0(VALU_DEP_2) | instskip(SKIP_1) | instid1(VALU_DEP_2)
	v_add_f32_e32 v2, v2, v3
	v_rndne_f32_e32 v3, v4
	v_exp_f32_e32 v2, v2
	s_delay_alu instid0(VALU_DEP_1) | instskip(SKIP_3) | instid1(VALU_DEP_4)
	v_sub_f32_e32 v4, v4, v3
	v_cvt_i32_f32_e32 v3, v3
	v_cmp_ngt_f32_e64 s9, 0xc2ce8ed0, v103
	v_cmp_nlt_f32_e64 s10, 0x42b17218, v103
	v_add_f32_e32 v4, v4, v5
	v_rndne_f32_e32 v5, v6
	s_delay_alu instid0(TRANS32_DEP_1) | instskip(NEXT) | instid1(VALU_DEP_3)
	v_ldexp_f32 v1, v2, v1
	v_exp_f32_e32 v2, v4
	s_delay_alu instid0(VALU_DEP_2) | instskip(SKIP_1) | instid1(VALU_DEP_3)
	v_sub_f32_e32 v6, v6, v5
	v_cvt_i32_f32_e32 v4, v5
	v_cndmask_b32_e32 v1, 0, v1, vcc_lo
	v_cmp_gt_u32_e32 vcc_lo, s26, v41
	s_delay_alu instid0(VALU_DEP_4) | instskip(SKIP_1) | instid1(VALU_DEP_4)
	v_add_f32_e32 v6, v6, v7
	v_dual_sub_f32 v7, v98, v14 :: v_dual_max_f32 v16, v16, v17
	v_cndmask_b32_e64 v1, 0x7f800000, v1, s0
	s_delay_alu instid0(TRANS32_DEP_1) | instskip(NEXT) | instid1(VALU_DEP_4)
	v_ldexp_f32 v2, v2, v3
	v_exp_f32_e32 v3, v6
	s_delay_alu instid0(VALU_DEP_3)
	v_cmp_ngt_f32_e64 s7, 0xc2ce8ed0, v7
	v_sub_f32_e32 v106, v8, v16
	v_mul_f32_e32 v8, 0x3fb8aa3b, v7
	v_cndmask_b32_e64 v2, 0, v2, s1
	v_cmp_nlt_f32_e64 s8, 0x42b17218, v7
	v_cndmask_b32_e32 v6, 0, v1, vcc_lo
	s_delay_alu instid0(VALU_DEP_4) | instskip(SKIP_1) | instid1(TRANS32_DEP_1)
	v_fma_f32 v17, 0x3fb8aa3b, v7, -v8
	v_rndne_f32_e32 v18, v8
	v_ldexp_f32 v3, v3, v4
	v_cndmask_b32_e64 v2, 0x7f800000, v2, s4
	v_cvt_f16_f32_e32 v1, v6
	s_delay_alu instid0(VALU_DEP_4) | instskip(SKIP_2) | instid1(VALU_DEP_3)
	v_dual_fmac_f32 v17, 0x32a5705f, v7 :: v_dual_sub_f32 v8, v8, v18
	v_cvt_i32_f32_e32 v5, v18
	v_cndmask_b32_e64 v3, 0, v3, s5
	v_dual_cndmask_b32 v7, 0, v2 :: v_dual_add_f32 v8, v8, v17
	s_delay_alu instid0(VALU_DEP_2) | instskip(NEXT) | instid1(VALU_DEP_2)
	v_cndmask_b32_e64 v3, 0x7f800000, v3, s6
	v_exp_f32_e32 v4, v8
	s_delay_alu instid0(VALU_DEP_2) | instskip(NEXT) | instid1(VALU_DEP_1)
	v_cvt_f16_f32_e32 v8, v7
	v_pack_b32_f16 v96, v1, v8
	v_sub_f32_e32 v1, v87, v9
	s_waitcnt_depctr 0xfff
	v_ldexp_f32 v4, v4, v5
	v_cndmask_b32_e32 v5, 0, v3, vcc_lo
	v_cmp_ngt_f32_e64 s0, 0xc2ce8ed0, v1
	v_cmp_nlt_f32_e64 s1, 0x42b17218, v1
	s_delay_alu instid0(VALU_DEP_4) | instskip(NEXT) | instid1(VALU_DEP_4)
	v_cndmask_b32_e64 v4, 0, v4, s7
	v_cvt_f16_f32_e32 v2, v5
	s_delay_alu instid0(VALU_DEP_2) | instskip(NEXT) | instid1(VALU_DEP_1)
	v_cndmask_b32_e64 v4, 0x7f800000, v4, s8
	v_cndmask_b32_e32 v4, 0, v4, vcc_lo
	s_delay_alu instid0(VALU_DEP_1) | instskip(NEXT) | instid1(VALU_DEP_1)
	v_cvt_f16_f32_e32 v3, v4
	v_pack_b32_f16 v97, v2, v3
	v_mul_f32_e32 v2, 0x3fb8aa3b, v1
	s_delay_alu instid0(VALU_DEP_1) | instskip(NEXT) | instid1(VALU_DEP_1)
	v_fma_f32 v3, 0x3fb8aa3b, v1, -v2
	v_fmac_f32_e32 v3, 0x32a5705f, v1
	v_rndne_f32_e32 v1, v2
	s_delay_alu instid0(VALU_DEP_1) | instskip(SKIP_1) | instid1(VALU_DEP_2)
	v_sub_f32_e32 v2, v2, v1
	v_cvt_i32_f32_e32 v1, v1
	v_dual_add_f32 v2, v2, v3 :: v_dual_sub_f32 v3, v88, v10
	s_delay_alu instid0(VALU_DEP_1) | instskip(NEXT) | instid1(VALU_DEP_1)
	v_exp_f32_e32 v2, v2
	v_mul_f32_e32 v8, 0x3fb8aa3b, v3
	v_cmp_ngt_f32_e64 s4, 0xc2ce8ed0, v3
	v_cmp_nlt_f32_e64 s5, 0x42b17218, v3
	s_delay_alu instid0(VALU_DEP_3) | instskip(SKIP_4) | instid1(VALU_DEP_2)
	v_fma_f32 v17, 0x3fb8aa3b, v3, -v8
	v_rndne_f32_e32 v18, v8
	s_waitcnt_depctr 0xfff
	v_ldexp_f32 v1, v2, v1
	v_dual_fmac_f32 v17, 0x32a5705f, v3 :: v_dual_sub_f32 v8, v8, v18
	v_cndmask_b32_e64 v1, 0, v1, s0
	s_delay_alu instid0(VALU_DEP_2) | instskip(NEXT) | instid1(VALU_DEP_2)
	v_add_f32_e32 v8, v8, v17
	v_cndmask_b32_e64 v1, 0x7f800000, v1, s1
	s_delay_alu instid0(VALU_DEP_2) | instskip(SKIP_3) | instid1(VALU_DEP_1)
	v_exp_f32_e32 v2, v8
	v_cvt_i32_f32_e32 v8, v18
	s_waitcnt_depctr 0xfff
	v_ldexp_f32 v2, v2, v8
	v_cndmask_b32_e64 v2, 0, v2, s4
	s_delay_alu instid0(VALU_DEP_1) | instskip(NEXT) | instid1(VALU_DEP_1)
	v_cndmask_b32_e64 v2, 0x7f800000, v2, s5
	v_dual_cndmask_b32 v17, 0, v1 :: v_dual_cndmask_b32 v8, 0, v2
	s_delay_alu instid0(VALU_DEP_1) | instskip(NEXT) | instid1(VALU_DEP_2)
	v_cvt_f16_f32_e32 v1, v17
	v_cvt_f16_f32_e32 v2, v8
	s_delay_alu instid0(VALU_DEP_1) | instskip(SKIP_2) | instid1(VALU_DEP_2)
	v_pack_b32_f16 v95, v1, v2
	v_sub_f32_e32 v1, v89, v15
	v_lshl_add_u32 v89, v21, 1, v23
	v_dual_mul_f32 v23, 0x3fb8aa3b, v100 :: v_dual_mul_f32 v2, 0x3fb8aa3b, v1
	v_cmp_ngt_f32_e64 s0, 0xc2ce8ed0, v1
	v_cmp_nlt_f32_e64 s1, 0x42b17218, v1
	s_delay_alu instid0(VALU_DEP_3) | instskip(NEXT) | instid1(VALU_DEP_1)
	v_fma_f32 v3, 0x3fb8aa3b, v1, -v2
	v_fmac_f32_e32 v3, 0x32a5705f, v1
	v_rndne_f32_e32 v1, v2
	s_delay_alu instid0(VALU_DEP_1) | instskip(SKIP_1) | instid1(VALU_DEP_2)
	v_sub_f32_e32 v2, v2, v1
	v_cvt_i32_f32_e32 v1, v1
	v_add_f32_e32 v2, v2, v3
	v_dual_sub_f32 v3, v90, v16 :: v_dual_add_nc_u32 v90, 0x9400, v77
	s_delay_alu instid0(VALU_DEP_2) | instskip(NEXT) | instid1(VALU_DEP_1)
	v_exp_f32_e32 v2, v2
	v_mul_f32_e32 v18, 0x3fb8aa3b, v3
	v_cmp_ngt_f32_e64 s4, 0xc2ce8ed0, v3
	v_cmp_nlt_f32_e64 s5, 0x42b17218, v3
	s_delay_alu instid0(VALU_DEP_3)
	v_fma_f32 v24, 0x3fb8aa3b, v3, -v18
	v_rndne_f32_e32 v59, v18
	s_waitcnt_depctr 0xfff
	v_ldexp_f32 v1, v2, v1
	v_fmac_f32_e32 v24, 0x32a5705f, v3
	v_sub_f32_e32 v18, v18, v59
	s_delay_alu instid0(VALU_DEP_3) | instskip(NEXT) | instid1(VALU_DEP_2)
	v_cndmask_b32_e64 v1, 0, v1, s0
	v_add_f32_e32 v18, v18, v24
	s_delay_alu instid0(VALU_DEP_2) | instskip(NEXT) | instid1(VALU_DEP_2)
	v_cndmask_b32_e64 v1, 0x7f800000, v1, s1
	v_exp_f32_e32 v2, v18
	v_cvt_i32_f32_e32 v18, v59
	v_lshlrev_b32_e32 v59, 10, v21
	s_delay_alu instid0(VALU_DEP_1) | instskip(NEXT) | instid1(VALU_DEP_1)
	v_dual_cndmask_b32 v24, 0, v1 :: v_dual_add_nc_u32 v87, 0x6400, v59
	v_cvt_f16_f32_e32 v1, v24
	s_waitcnt_depctr 0xfff
	v_ldexp_f32 v2, v2, v18
	s_delay_alu instid0(VALU_DEP_1) | instskip(NEXT) | instid1(VALU_DEP_1)
	v_cndmask_b32_e64 v2, 0, v2, s4
	v_cndmask_b32_e64 v2, 0x7f800000, v2, s5
	s_delay_alu instid0(VALU_DEP_1) | instskip(NEXT) | instid1(VALU_DEP_1)
	v_cndmask_b32_e32 v18, 0, v2, vcc_lo
	v_cvt_f16_f32_e32 v2, v18
	s_delay_alu instid0(VALU_DEP_1)
	v_pack_b32_f16 v98, v1, v2
	v_lshl_add_u32 v1, v41, 4, v87
	ds_store_b128 v1, v[95:98]
	v_sub_f32_e32 v1, v92, v13
	v_dual_mul_f32 v96, 0x3fb8aa3b, v103 :: v_dual_add_nc_u32 v95, 16, v89
	v_add_nc_u32_e32 v92, 0x9404, v77
	v_mul_f32_e32 v98, 0x3fb8aa3b, v104
	s_delay_alu instid0(VALU_DEP_4) | instskip(SKIP_3) | instid1(VALU_DEP_4)
	v_mul_f32_e32 v2, 0x3fb8aa3b, v1
	v_cmp_ngt_f32_e32 vcc_lo, 0xc2ce8ed0, v1
	v_cmp_nlt_f32_e64 s0, 0x42b17218, v1
	v_fma_f32 v97, 0x3fb8aa3b, v103, -v96
	v_fma_f32 v3, 0x3fb8aa3b, v1, -v2
	s_delay_alu instid0(VALU_DEP_2) | instskip(NEXT) | instid1(VALU_DEP_2)
	v_fmac_f32_e32 v97, 0x32a5705f, v103
	v_fmac_f32_e32 v3, 0x32a5705f, v1
	v_sub_f32_e32 v1, v93, v14
	s_delay_alu instid0(VALU_DEP_1) | instskip(SKIP_2) | instid1(VALU_DEP_3)
	v_mul_f32_e32 v60, 0x3fb8aa3b, v1
	v_cmp_ngt_f32_e64 s1, 0xc2ce8ed0, v1
	v_cmp_nlt_f32_e64 s4, 0x42b17218, v1
	v_fma_f32 v61, 0x3fb8aa3b, v1, -v60
	s_delay_alu instid0(VALU_DEP_1) | instskip(SKIP_1) | instid1(VALU_DEP_1)
	v_fmac_f32_e32 v61, 0x32a5705f, v1
	v_sub_f32_e32 v1, v94, v15
	v_mul_f32_e32 v64, 0x3fb8aa3b, v1
	v_cmp_ngt_f32_e64 s5, 0xc2ce8ed0, v1
	v_cmp_nlt_f32_e64 s6, 0x42b17218, v1
	s_delay_alu instid0(VALU_DEP_3) | instskip(NEXT) | instid1(VALU_DEP_1)
	v_fma_f32 v67, 0x3fb8aa3b, v1, -v64
	v_fmac_f32_e32 v67, 0x32a5705f, v1
	v_rndne_f32_e32 v1, v2
	s_delay_alu instid0(VALU_DEP_1) | instskip(SKIP_1) | instid1(VALU_DEP_2)
	v_sub_f32_e32 v2, v2, v1
	v_cvt_i32_f32_e32 v1, v1
	v_add_f32_e32 v2, v2, v3
	v_rndne_f32_e32 v3, v60
	s_delay_alu instid0(VALU_DEP_2) | instskip(NEXT) | instid1(VALU_DEP_1)
	v_exp_f32_e32 v2, v2
	v_sub_f32_e32 v60, v60, v3
	v_cvt_i32_f32_e32 v3, v3
	s_delay_alu instid0(VALU_DEP_2)
	v_add_f32_e32 v60, v60, v61
	v_rndne_f32_e32 v61, v64
	s_waitcnt_depctr 0xfff
	v_ldexp_f32 v1, v2, v1
	v_exp_f32_e32 v2, v60
	v_sub_f32_e32 v64, v64, v61
	v_cvt_i32_f32_e32 v61, v61
	s_delay_alu instid0(VALU_DEP_3) | instskip(SKIP_1) | instid1(VALU_DEP_4)
	v_cndmask_b32_e32 v1, 0, v1, vcc_lo
	v_cmp_gt_u32_e32 vcc_lo, s26, v70
	v_add_f32_e32 v64, v64, v67
	v_lshl_add_u32 v70, v70, 4, v87
	s_delay_alu instid0(VALU_DEP_4) | instskip(NEXT) | instid1(TRANS32_DEP_1)
	v_cndmask_b32_e64 v1, 0x7f800000, v1, s0
	v_ldexp_f32 v2, v2, v3
	v_sub_f32_e32 v3, v91, v16
	v_exp_f32_e32 v64, v64
	v_mov_b32_e32 v91, 0
	s_delay_alu instid0(VALU_DEP_3) | instskip(NEXT) | instid1(VALU_DEP_3)
	v_cndmask_b32_e64 v2, 0, v2, s1
	v_mul_f32_e32 v60, 0x3fb8aa3b, v3
	v_cmp_ngt_f32_e64 s7, 0xc2ce8ed0, v3
	v_cmp_nlt_f32_e64 s8, 0x42b17218, v3
	ds_store_b32 v77, v91 offset:37888
	v_cndmask_b32_e64 v2, 0x7f800000, v2, s4
	v_fma_f32 v67, 0x3fb8aa3b, v3, -v60
	v_rndne_f32_e32 v71, v60
	v_ldexp_f32 v61, v64, v61
	s_delay_alu instid0(VALU_DEP_3) | instskip(NEXT) | instid1(VALU_DEP_3)
	v_fmac_f32_e32 v67, 0x32a5705f, v3
	v_sub_f32_e32 v60, v60, v71
	v_cvt_i32_f32_e32 v64, v71
	s_delay_alu instid0(VALU_DEP_4) | instskip(NEXT) | instid1(VALU_DEP_3)
	v_cndmask_b32_e64 v3, 0, v61, s5
	v_dual_add_f32 v60, v60, v67 :: v_dual_cndmask_b32 v67, 0, v2
	s_delay_alu instid0(VALU_DEP_2) | instskip(SKIP_1) | instid1(VALU_DEP_3)
	v_cndmask_b32_e64 v3, 0x7f800000, v3, s6
	v_cmp_nlt_f32_e64 s6, 0x42b17218, v101
	v_exp_f32_e32 v60, v60
	s_delay_alu instid0(VALU_DEP_3) | instskip(NEXT) | instid1(VALU_DEP_3)
	v_cvt_f16_f32_e32 v71, v67
	v_cndmask_b32_e32 v61, 0, v3, vcc_lo
	s_delay_alu instid0(VALU_DEP_1) | instskip(SKIP_3) | instid1(VALU_DEP_2)
	v_cvt_f16_f32_e32 v2, v61
	s_waitcnt_depctr 0xfff
	v_ldexp_f32 v60, v60, v64
	v_cndmask_b32_e32 v64, 0, v1, vcc_lo
	v_cndmask_b32_e64 v60, 0, v60, s7
	s_delay_alu instid0(VALU_DEP_2) | instskip(SKIP_1) | instid1(VALU_DEP_3)
	v_cvt_f16_f32_e32 v1, v64
	v_cmp_ngt_f32_e64 s7, 0xc2ce8ed0, v102
	v_cndmask_b32_e64 v60, 0x7f800000, v60, s8
	v_cmp_nlt_f32_e64 s8, 0x42b17218, v102
	s_delay_alu instid0(VALU_DEP_2) | instskip(NEXT) | instid1(VALU_DEP_1)
	v_cndmask_b32_e32 v60, 0, v60, vcc_lo
	v_cvt_f16_f32_e32 v3, v60
	s_delay_alu instid0(VALU_DEP_1) | instskip(SKIP_2) | instid1(VALU_DEP_1)
	v_pack_b32_f16 v3, v2, v3
	v_pack_b32_f16 v2, v1, v71
	v_sub_f32_e32 v1, v85, v11
	v_mul_f32_e32 v71, 0x3fb8aa3b, v1
	v_cmp_ngt_f32_e64 s0, 0xc2ce8ed0, v1
	v_cmp_nlt_f32_e64 s1, 0x42b17218, v1
	s_delay_alu instid0(VALU_DEP_3) | instskip(SKIP_1) | instid1(VALU_DEP_1)
	v_fma_f32 v74, 0x3fb8aa3b, v1, -v71
	v_rndne_f32_e32 v75, v71
	v_dual_fmac_f32 v74, 0x32a5705f, v1 :: v_dual_sub_f32 v71, v71, v75
	v_cvt_i32_f32_e32 v75, v75
	s_delay_alu instid0(VALU_DEP_2) | instskip(NEXT) | instid1(VALU_DEP_1)
	v_dual_add_f32 v71, v71, v74 :: v_dual_sub_f32 v74, v86, v12
	v_exp_f32_e32 v71, v71
	s_delay_alu instid0(VALU_DEP_1) | instskip(SKIP_2) | instid1(VALU_DEP_3)
	v_mul_f32_e32 v76, 0x3fb8aa3b, v74
	v_cmp_ngt_f32_e64 s4, 0xc2ce8ed0, v74
	v_cmp_nlt_f32_e64 s5, 0x42b17218, v74
	v_fma_f32 v85, 0x3fb8aa3b, v74, -v76
	v_rndne_f32_e32 v86, v76
	s_waitcnt_depctr 0xfff
	v_ldexp_f32 v71, v71, v75
	v_fmac_f32_e32 v85, 0x32a5705f, v74
	v_sub_f32_e32 v76, v76, v86
	v_cvt_i32_f32_e32 v75, v86
	s_delay_alu instid0(VALU_DEP_4) | instskip(SKIP_1) | instid1(VALU_DEP_4)
	v_cndmask_b32_e64 v71, 0, v71, s0
	v_cmp_ngt_f32_e64 s0, 0xc2ce8ed0, v0
	v_add_f32_e32 v76, v76, v85
	s_delay_alu instid0(VALU_DEP_3) | instskip(SKIP_1) | instid1(VALU_DEP_3)
	v_cndmask_b32_e64 v71, 0x7f800000, v71, s1
	v_cmp_nlt_f32_e64 s1, 0x42b17218, v0
	v_exp_f32_e32 v1, v76
	s_delay_alu instid0(VALU_DEP_2) | instskip(SKIP_2) | instid1(VALU_DEP_1)
	v_cndmask_b32_e32 v74, 0, v71, vcc_lo
	s_waitcnt_depctr 0xfff
	v_ldexp_f32 v1, v1, v75
	v_cndmask_b32_e64 v1, 0, v1, s4
	s_delay_alu instid0(VALU_DEP_1) | instskip(NEXT) | instid1(VALU_DEP_1)
	v_cndmask_b32_e64 v1, 0x7f800000, v1, s5
	v_cndmask_b32_e32 v71, 0, v1, vcc_lo
	v_cvt_f16_f32_e32 v1, v74
	s_delay_alu instid0(VALU_DEP_2) | instskip(NEXT) | instid1(VALU_DEP_1)
	v_cvt_f16_f32_e32 v75, v71
	v_pack_b32_f16 v1, v1, v75
	v_mul_f32_e32 v75, 0x3fb8aa3b, v0
	s_delay_alu instid0(VALU_DEP_1) | instskip(SKIP_1) | instid1(VALU_DEP_1)
	v_fma_f32 v76, 0x3fb8aa3b, v0, -v75
	v_rndne_f32_e32 v85, v75
	v_dual_fmac_f32 v76, 0x32a5705f, v0 :: v_dual_sub_f32 v75, v75, v85
	v_cvt_i32_f32_e32 v85, v85
	s_delay_alu instid0(VALU_DEP_2) | instskip(NEXT) | instid1(VALU_DEP_1)
	v_dual_add_f32 v75, v75, v76 :: v_dual_sub_f32 v76, v84, v10
	v_exp_f32_e32 v75, v75
	s_delay_alu instid0(VALU_DEP_1) | instskip(SKIP_2) | instid1(VALU_DEP_3)
	v_mul_f32_e32 v84, 0x3fb8aa3b, v76
	v_cmp_ngt_f32_e64 s4, 0xc2ce8ed0, v76
	v_cmp_nlt_f32_e64 s5, 0x42b17218, v76
	v_fma_f32 v86, 0x3fb8aa3b, v76, -v84
	v_rndne_f32_e32 v88, v84
	s_waitcnt_depctr 0xfff
	v_ldexp_f32 v75, v75, v85
	v_fmac_f32_e32 v86, 0x32a5705f, v76
	v_sub_f32_e32 v84, v84, v88
	s_delay_alu instid0(VALU_DEP_3) | instskip(SKIP_1) | instid1(VALU_DEP_2)
	v_cndmask_b32_e64 v75, 0, v75, s0
	s_mul_i32 s0, s16, s17
	v_add_f32_e32 v84, v84, v86
	s_delay_alu instid0(VALU_DEP_2) | instskip(SKIP_1) | instid1(VALU_DEP_2)
	v_cndmask_b32_e64 v75, 0x7f800000, v75, s1
	s_mul_hi_i32 s1, s16, s17
	v_exp_f32_e32 v0, v84
	v_cvt_i32_f32_e32 v84, v88
	s_lshl_b64 s[0:1], s[0:1], 2
	v_cndmask_b32_e32 v76, 0, v75, vcc_lo
	v_lshlrev_b32_e32 v88, 2, v22
	s_delay_alu instid0(VALU_DEP_1) | instskip(SKIP_3) | instid1(VALU_DEP_2)
	v_lshl_or_b32 v93, v89, 8, v88
	s_waitcnt_depctr 0xfff
	v_ldexp_f32 v0, v0, v84
	v_lshl_or_b32 v94, v95, 8, v88
	v_cndmask_b32_e64 v0, 0, v0, s4
	s_add_u32 s4, s20, s0
	s_delay_alu instid0(VALU_DEP_1) | instskip(SKIP_1) | instid1(VALU_DEP_1)
	v_cndmask_b32_e64 v0, 0x7f800000, v0, s5
	s_addc_u32 s5, s21, s1
	v_cndmask_b32_e32 v75, 0, v0, vcc_lo
	v_cvt_f16_f32_e32 v0, v76
	v_cmp_gt_i32_e32 vcc_lo, s26, v89
	s_delay_alu instid0(VALU_DEP_3) | instskip(NEXT) | instid1(VALU_DEP_1)
	v_cvt_f16_f32_e32 v84, v75
	v_pack_b32_f16 v0, v0, v84
	ds_store_b128 v70, v[0:3]
	v_mul_lo_u32 v2, s17, v89
	ds_store_2addr_b32 v92, v91, v91 offset1:1
	ds_store_b32 v77, v91 offset:37900
	v_fma_f32 v70, 0x3fb8aa3b, v100, -v23
	s_delay_alu instid0(VALU_DEP_1) | instskip(SKIP_1) | instid1(VALU_DEP_1)
	v_fmac_f32_e32 v70, 0x32a5705f, v100
	v_ashrrev_i32_e32 v3, 31, v2
	v_lshlrev_b64 v[0:1], 2, v[2:3]
	v_lshl_add_u32 v2, s17, 4, v2
	s_delay_alu instid0(VALU_DEP_2) | instskip(NEXT) | instid1(VALU_DEP_1)
	v_add_co_u32 v3, s0, s4, v0
	v_add_co_ci_u32_e64 v21, s0, s5, v1, s0
	s_delay_alu instid0(VALU_DEP_2) | instskip(NEXT) | instid1(VALU_DEP_1)
	v_add_co_u32 v3, s1, v3, v88
	v_add_co_ci_u32_e64 v21, s0, 0, v21, s1
	s_delay_alu instid0(VALU_DEP_1) | instskip(NEXT) | instid1(VALU_DEP_3)
	v_cndmask_b32_e32 v22, s19, v21, vcc_lo
	v_cndmask_b32_e32 v21, v90, v3, vcc_lo
	v_ashrrev_i32_e32 v3, 31, v2
	v_cmp_gt_i32_e32 vcc_lo, s26, v95
	v_add_f32_e32 v5, v5, v64
	flat_load_b128 v[84:87], v[21:22]
	v_lshlrev_b64 v[2:3], 2, v[2:3]
	s_delay_alu instid0(VALU_DEP_1) | instskip(NEXT) | instid1(VALU_DEP_1)
	v_add_co_u32 v21, s0, s4, v2
	v_add_co_ci_u32_e64 v22, s0, s5, v3, s0
	v_cmp_nlt_f32_e64 s4, 0x42b17218, v100
	s_delay_alu instid0(VALU_DEP_3) | instskip(NEXT) | instid1(VALU_DEP_1)
	v_add_co_u32 v21, s1, v21, v88
	v_add_co_ci_u32_e64 v22, s0, 0, v22, s1
	v_cmp_nlt_f32_e64 s0, 0x42b17218, v99
	s_delay_alu instid0(VALU_DEP_3) | instskip(SKIP_1) | instid1(VALU_DEP_4)
	v_cndmask_b32_e32 v21, v90, v21, vcc_lo
	v_cmp_ngt_f32_e64 s1, 0xc2ce8ed0, v100
	v_cndmask_b32_e32 v22, s19, v22, vcc_lo
	v_cmp_ngt_f32_e32 vcc_lo, 0xc2ce8ed0, v99
	v_mul_f32_e32 v100, 0x3fb8aa3b, v105
	v_cmp_ngt_f32_e64 s5, 0xc2ce8ed0, v101
	s_waitcnt vmcnt(0) lgkmcnt(0)
	ds_store_b128 v93, v[84:87] offset:16384
	ds_store_b32 v77, v91 offset:37888
	ds_store_2addr_b32 v92, v91, v91 offset1:1
	ds_store_b32 v77, v91 offset:37900
	flat_load_b128 v[84:87], v[21:22]
	v_mul_f32_e32 v21, 0x3fb8aa3b, v99
	s_delay_alu instid0(VALU_DEP_1) | instskip(NEXT) | instid1(VALU_DEP_1)
	v_fma_f32 v22, 0x3fb8aa3b, v99, -v21
	v_fmac_f32_e32 v22, 0x32a5705f, v99
	v_fma_f32 v99, 0x3fb8aa3b, v104, -v98
	s_delay_alu instid0(VALU_DEP_1)
	v_fmac_f32_e32 v99, 0x32a5705f, v104
	s_waitcnt vmcnt(0) lgkmcnt(0)
	ds_store_b128 v94, v[84:87] offset:16384
	v_mul_f32_e32 v86, 0x3fb8aa3b, v102
	v_mul_f32_e32 v84, 0x3fb8aa3b, v101
	s_waitcnt lgkmcnt(0)
	s_barrier
	buffer_gl0_inv
	v_fma_f32 v87, 0x3fb8aa3b, v102, -v86
	v_fma_f32 v85, 0x3fb8aa3b, v101, -v84
	s_delay_alu instid0(VALU_DEP_2) | instskip(SKIP_1) | instid1(VALU_DEP_3)
	v_fmac_f32_e32 v87, 0x32a5705f, v102
	v_rndne_f32_e32 v102, v21
	v_fmac_f32_e32 v85, 0x32a5705f, v101
	v_fma_f32 v101, 0x3fb8aa3b, v105, -v100
	s_delay_alu instid0(VALU_DEP_3) | instskip(NEXT) | instid1(VALU_DEP_2)
	v_sub_f32_e32 v21, v21, v102
	v_fmac_f32_e32 v101, 0x32a5705f, v105
	s_delay_alu instid0(VALU_DEP_2) | instskip(SKIP_1) | instid1(VALU_DEP_2)
	v_add_f32_e32 v21, v21, v22
	v_rndne_f32_e32 v22, v23
	v_exp_f32_e32 v21, v21
	s_delay_alu instid0(VALU_DEP_1) | instskip(SKIP_1) | instid1(VALU_DEP_2)
	v_sub_f32_e32 v23, v23, v22
	v_cvt_i32_f32_e32 v22, v22
	v_add_f32_e32 v23, v23, v70
	v_rndne_f32_e32 v70, v84
	s_delay_alu instid0(VALU_DEP_2) | instskip(NEXT) | instid1(VALU_DEP_1)
	v_exp_f32_e32 v23, v23
	v_sub_f32_e32 v84, v84, v70
	v_cvt_i32_f32_e32 v70, v70
	s_delay_alu instid0(VALU_DEP_2)
	v_add_f32_e32 v84, v84, v85
	v_rndne_f32_e32 v85, v86
	s_waitcnt_depctr 0xfff
	v_ldexp_f32 v22, v23, v22
	v_exp_f32_e32 v23, v84
	v_sub_f32_e32 v86, v86, v85
	v_cvt_i32_f32_e32 v84, v85
	s_delay_alu instid0(VALU_DEP_3) | instskip(NEXT) | instid1(VALU_DEP_3)
	v_cndmask_b32_e64 v22, 0, v22, s1
	v_add_f32_e32 v86, v86, v87
	v_rndne_f32_e32 v87, v96
	s_delay_alu instid0(VALU_DEP_3) | instskip(NEXT) | instid1(TRANS32_DEP_1)
	v_cndmask_b32_e64 v22, 0x7f800000, v22, s4
	v_ldexp_f32 v23, v23, v70
	s_delay_alu instid0(VALU_DEP_4) | instskip(NEXT) | instid1(VALU_DEP_3)
	v_exp_f32_e32 v70, v86
	v_sub_f32_e32 v96, v96, v87
	v_cvt_i32_f32_e32 v85, v87
	s_delay_alu instid0(VALU_DEP_3) | instskip(NEXT) | instid1(VALU_DEP_3)
	v_cndmask_b32_e64 v23, 0, v23, s5
	v_add_f32_e32 v96, v96, v97
	v_rndne_f32_e32 v97, v98
	s_delay_alu instid0(VALU_DEP_3) | instskip(NEXT) | instid1(TRANS32_DEP_1)
	v_cndmask_b32_e64 v23, 0x7f800000, v23, s6
	v_ldexp_f32 v70, v70, v84
	s_delay_alu instid0(VALU_DEP_4) | instskip(NEXT) | instid1(VALU_DEP_3)
	;; [unrolled: 11-line block ×3, first 2 shown]
	v_exp_f32_e32 v85, v98
	v_sub_f32_e32 v100, v100, v99
	v_cvt_i32_f32_e32 v87, v99
	s_delay_alu instid0(VALU_DEP_2)
	v_add_f32_e32 v100, v100, v101
	v_cvt_i32_f32_e32 v101, v102
	s_waitcnt_depctr 0xfff
	v_ldexp_f32 v85, v85, v86
	v_exp_f32_e32 v86, v100
	v_ldexp_f32 v21, v21, v101
	s_delay_alu instid0(VALU_DEP_1)
	v_cndmask_b32_e32 v21, 0, v21, vcc_lo
	v_cmp_ngt_f32_e32 vcc_lo, 0xc2ce8ed0, v106
	s_waitcnt_depctr 0xfff
	v_ldexp_f32 v86, v86, v87
	v_cndmask_b32_e64 v21, 0x7f800000, v21, s0
	v_cmp_nlt_f32_e64 s0, 0x42b17218, v106
	s_delay_alu instid0(VALU_DEP_2) | instskip(NEXT) | instid1(VALU_DEP_1)
	v_cvt_f16_f32_e32 v87, v21
	v_pk_mul_f16 v57, v87, v57 op_sel_hi:[0,1]
	v_pk_mul_f16 v58, v87, v58 op_sel_hi:[0,1]
	v_cvt_f16_f32_e32 v87, v22
	s_delay_alu instid0(VALU_DEP_1) | instskip(SKIP_2) | instid1(VALU_DEP_1)
	v_pk_mul_f16 v55, v87, v55 op_sel_hi:[0,1]
	v_pk_mul_f16 v56, v87, v56 op_sel_hi:[0,1]
	v_cvt_f16_f32_e32 v87, v23
	v_pk_mul_f16 v53, v87, v53 op_sel_hi:[0,1]
	v_pk_mul_f16 v54, v87, v54 op_sel_hi:[0,1]
	v_cvt_f16_f32_e32 v87, v70
	s_delay_alu instid0(VALU_DEP_1) | instskip(SKIP_2) | instid1(VALU_DEP_2)
	v_pk_mul_f16 v96, v87, v51 op_sel_hi:[0,1]
	v_cndmask_b32_e64 v51, 0, v84, s9
	v_pk_mul_f16 v52, v87, v52 op_sel_hi:[0,1]
	v_cndmask_b32_e64 v84, 0x7f800000, v51, s10
	s_delay_alu instid0(VALU_DEP_1) | instskip(SKIP_1) | instid1(VALU_DEP_2)
	v_cvt_f16_f32_e32 v51, v84
	v_fmac_f32_e32 v5, v68, v84
	v_pk_mul_f16 v98, v51, v49 op_sel_hi:[0,1]
	v_cndmask_b32_e64 v49, 0, v85, s11
	v_pk_mul_f16 v97, v51, v50 op_sel_hi:[0,1]
	s_delay_alu instid0(VALU_DEP_4) | instskip(NEXT) | instid1(VALU_DEP_3)
	v_mov_b32_e32 v68, v5
	v_cndmask_b32_e64 v85, 0x7f800000, v49, s12
	s_delay_alu instid0(VALU_DEP_1) | instskip(NEXT) | instid1(VALU_DEP_1)
	v_cvt_f16_f32_e32 v49, v85
	v_pk_mul_f16 v99, v49, v47 op_sel_hi:[0,1]
	v_mul_f32_e32 v47, 0x3fb8aa3b, v106
	v_pk_mul_f16 v100, v49, v48 op_sel_hi:[0,1]
	s_delay_alu instid0(VALU_DEP_2) | instskip(SKIP_1) | instid1(VALU_DEP_1)
	v_fma_f32 v48, 0x3fb8aa3b, v106, -v47
	v_rndne_f32_e32 v49, v47
	v_dual_fmac_f32 v48, 0x32a5705f, v106 :: v_dual_sub_f32 v47, v47, v49
	s_delay_alu instid0(VALU_DEP_1) | instskip(SKIP_1) | instid1(VALU_DEP_1)
	v_add_f32_e32 v47, v47, v48
	v_cndmask_b32_e64 v48, 0, v86, s13
	v_cndmask_b32_e64 v86, 0x7f800000, v48, s15
	s_delay_alu instid0(VALU_DEP_1) | instskip(NEXT) | instid1(VALU_DEP_1)
	v_cvt_f16_f32_e32 v48, v86
	v_pk_mul_f16 v101, v48, v45 op_sel_hi:[0,1]
	v_exp_f32_e32 v45, v47
	v_pk_mul_f16 v102, v48, v46 op_sel_hi:[0,1]
	v_cvt_i32_f32_e32 v46, v49
	s_waitcnt_depctr 0xfff
	v_ldexp_f32 v45, v45, v46
	s_delay_alu instid0(VALU_DEP_1) | instskip(NEXT) | instid1(VALU_DEP_1)
	v_cndmask_b32_e32 v45, 0, v45, vcc_lo
	v_cndmask_b32_e64 v87, 0x7f800000, v45, s0
	s_or_b32 s0, s16, 32
	s_delay_alu instid0(SALU_CYCLE_1) | instskip(SKIP_1) | instid1(VALU_DEP_1)
	s_mul_hi_i32 s1, s0, s17
	s_mul_i32 s0, s0, s17
	v_cvt_f16_f32_e32 v45, v87
	s_lshl_b64 s[0:1], s[0:1], 2
	s_delay_alu instid0(SALU_CYCLE_1) | instskip(SKIP_1) | instid1(VALU_DEP_1)
	s_add_u32 s4, s20, s0
	s_addc_u32 s1, s21, s1
	v_pk_mul_f16 v104, v45, v43 op_sel_hi:[0,1]
	v_add_nc_u32_e32 v43, 0x4000, v20
	v_pk_mul_f16 v103, v45, v44 op_sel_hi:[0,1]
	ds_load_2addr_b64 v[44:47], v43 offset1:32
	ds_load_b128 v[48:51], v59 offset:25600
	v_add_co_u32 v0, vcc_lo, s4, v0
	v_add_co_ci_u32_e32 v1, vcc_lo, s1, v1, vcc_lo
	s_sub_i32 s5, s26, 32
	s_delay_alu instid0(VALU_DEP_2) | instskip(SKIP_1) | instid1(VALU_DEP_3)
	v_add_co_u32 v0, s0, v0, v88
	v_cmp_gt_i32_e32 vcc_lo, s5, v89
	v_add_co_ci_u32_e64 v1, s0, 0, v1, s0
	s_delay_alu instid0(VALU_DEP_3) | instskip(NEXT) | instid1(VALU_DEP_2)
	v_cndmask_b32_e32 v0, v90, v0, vcc_lo
	v_cndmask_b32_e32 v1, s19, v1, vcc_lo
	s_waitcnt lgkmcnt(0)
	v_pk_fma_f16 v57, v44, v48, v57 op_sel_hi:[1,0,1]
	v_pk_fma_f16 v55, v44, v48, v55 op_sel:[0,1,0]
	v_pk_fma_f16 v53, v44, v49, v53 op_sel_hi:[1,0,1]
	v_pk_fma_f16 v96, v44, v49, v96 op_sel:[0,1,0]
	;; [unrolled: 2-line block ×8, first 2 shown]
	ds_load_b128 v[48:51], v59 offset:25616
	s_waitcnt lgkmcnt(0)
	v_pk_fma_f16 v57, v46, v48, v57 op_sel_hi:[1,0,1]
	v_pk_fma_f16 v55, v46, v48, v55 op_sel:[0,1,0]
	v_pk_fma_f16 v53, v46, v49, v53 op_sel_hi:[1,0,1]
	v_pk_fma_f16 v96, v46, v49, v96 op_sel:[0,1,0]
	;; [unrolled: 2-line block ×8, first 2 shown]
	ds_load_b128 v[44:47], v59 offset:25632
	ds_load_2addr_b64 v[48:51], v43 offset0:64 offset1:96
	s_waitcnt lgkmcnt(0)
	v_pk_fma_f16 v57, v48, v44, v57 op_sel_hi:[1,0,1]
	v_pk_fma_f16 v55, v48, v44, v55 op_sel:[0,1,0]
	v_pk_fma_f16 v53, v48, v45, v53 op_sel_hi:[1,0,1]
	v_pk_fma_f16 v96, v48, v45, v96 op_sel:[0,1,0]
	;; [unrolled: 2-line block ×8, first 2 shown]
	ds_load_b128 v[44:47], v59 offset:25648
	s_waitcnt lgkmcnt(0)
	v_pk_fma_f16 v57, v50, v44, v57 op_sel_hi:[1,0,1]
	v_pk_fma_f16 v55, v50, v44, v55 op_sel:[0,1,0]
	v_pk_fma_f16 v53, v50, v45, v53 op_sel_hi:[1,0,1]
	v_pk_fma_f16 v96, v50, v45, v96 op_sel:[0,1,0]
	;; [unrolled: 2-line block ×8, first 2 shown]
	ds_load_2addr_b64 v[44:47], v43 offset0:128 offset1:160
	ds_load_b128 v[48:51], v59 offset:25664
	s_waitcnt lgkmcnt(0)
	v_pk_fma_f16 v57, v44, v48, v57 op_sel_hi:[1,0,1]
	v_pk_fma_f16 v55, v44, v48, v55 op_sel:[0,1,0]
	v_pk_fma_f16 v53, v44, v49, v53 op_sel_hi:[1,0,1]
	v_pk_fma_f16 v96, v44, v49, v96 op_sel:[0,1,0]
	;; [unrolled: 2-line block ×8, first 2 shown]
	ds_load_b128 v[48:51], v59 offset:25680
	s_waitcnt lgkmcnt(0)
	v_pk_fma_f16 v57, v46, v48, v57 op_sel_hi:[1,0,1]
	v_pk_fma_f16 v55, v46, v48, v55 op_sel:[0,1,0]
	v_pk_fma_f16 v53, v46, v49, v53 op_sel_hi:[1,0,1]
	v_pk_fma_f16 v96, v46, v49, v96 op_sel:[0,1,0]
	;; [unrolled: 2-line block ×8, first 2 shown]
	ds_load_2addr_b64 v[44:47], v43 offset0:192 offset1:224
	ds_load_b128 v[48:51], v59 offset:25696
	s_waitcnt lgkmcnt(0)
	v_pk_fma_f16 v57, v44, v48, v57 op_sel_hi:[1,0,1]
	v_pk_fma_f16 v55, v44, v48, v55 op_sel:[0,1,0]
	v_pk_fma_f16 v53, v44, v49, v53 op_sel_hi:[1,0,1]
	v_pk_fma_f16 v96, v44, v49, v96 op_sel:[0,1,0]
	;; [unrolled: 2-line block ×8, first 2 shown]
	ds_load_b128 v[48:51], v59 offset:25712
	s_waitcnt lgkmcnt(0)
	v_pk_fma_f16 v103, v46, v51, v44 op_sel:[0,1,0]
	v_add_nc_u32_e32 v44, 0x4800, v20
	v_pk_fma_f16 v57, v46, v48, v57 op_sel_hi:[1,0,1]
	v_pk_fma_f16 v55, v46, v48, v55 op_sel:[0,1,0]
	v_pk_fma_f16 v53, v46, v49, v53 op_sel_hi:[1,0,1]
	v_pk_fma_f16 v96, v46, v49, v96 op_sel:[0,1,0]
	;; [unrolled: 2-line block ×3, first 2 shown]
	v_pk_fma_f16 v101, v46, v51, v101 op_sel_hi:[1,0,1]
	v_pk_fma_f16 v58, v47, v48, v58 op_sel_hi:[1,0,1]
	v_pk_fma_f16 v56, v47, v48, v56 op_sel:[0,1,0]
	v_pk_fma_f16 v54, v47, v49, v54 op_sel_hi:[1,0,1]
	v_pk_fma_f16 v104, v47, v49, v52 op_sel:[0,1,0]
	v_pk_fma_f16 v98, v47, v50, v98 op_sel_hi:[1,0,1]
	v_pk_fma_f16 v100, v47, v50, v100 op_sel:[0,1,0]
	v_pk_fma_f16 v102, v47, v51, v102 op_sel_hi:[1,0,1]
	v_pk_fma_f16 v105, v47, v51, v45 op_sel:[0,1,0]
	ds_load_2addr_b64 v[45:48], v44 offset1:32
	ds_load_b128 v[49:52], v59 offset:25728
	s_waitcnt lgkmcnt(0)
	v_pk_fma_f16 v57, v45, v49, v57 op_sel_hi:[1,0,1]
	v_pk_fma_f16 v55, v45, v49, v55 op_sel:[0,1,0]
	v_pk_fma_f16 v53, v45, v50, v53 op_sel_hi:[1,0,1]
	v_pk_fma_f16 v96, v45, v50, v96 op_sel:[0,1,0]
	v_pk_fma_f16 v97, v45, v51, v97 op_sel_hi:[1,0,1]
	v_pk_fma_f16 v99, v45, v51, v99 op_sel:[0,1,0]
	v_pk_fma_f16 v101, v45, v52, v101 op_sel_hi:[1,0,1]
	v_pk_fma_f16 v45, v45, v52, v103 op_sel:[0,1,0]
	v_pk_fma_f16 v58, v46, v49, v58 op_sel_hi:[1,0,1]
	v_pk_fma_f16 v56, v46, v49, v56 op_sel:[0,1,0]
	v_pk_fma_f16 v54, v46, v50, v54 op_sel_hi:[1,0,1]
	v_pk_fma_f16 v103, v46, v50, v104 op_sel:[0,1,0]
	v_pk_fma_f16 v98, v46, v51, v98 op_sel_hi:[1,0,1]
	v_pk_fma_f16 v100, v46, v51, v100 op_sel:[0,1,0]
	v_pk_fma_f16 v102, v46, v52, v102 op_sel_hi:[1,0,1]
	v_pk_fma_f16 v46, v46, v52, v105 op_sel:[0,1,0]
	ds_load_b128 v[49:52], v59 offset:25744
	s_waitcnt lgkmcnt(0)
	v_pk_fma_f16 v57, v47, v49, v57 op_sel_hi:[1,0,1]
	v_pk_fma_f16 v55, v47, v49, v55 op_sel:[0,1,0]
	v_pk_fma_f16 v53, v47, v50, v53 op_sel_hi:[1,0,1]
	v_pk_fma_f16 v96, v47, v50, v96 op_sel:[0,1,0]
	v_pk_fma_f16 v97, v47, v51, v97 op_sel_hi:[1,0,1]
	v_pk_fma_f16 v99, v47, v51, v99 op_sel:[0,1,0]
	v_pk_fma_f16 v101, v47, v52, v101 op_sel_hi:[1,0,1]
	v_pk_fma_f16 v104, v47, v52, v45 op_sel:[0,1,0]
	v_pk_fma_f16 v58, v48, v49, v58 op_sel_hi:[1,0,1]
	v_pk_fma_f16 v56, v48, v49, v56 op_sel:[0,1,0]
	v_pk_fma_f16 v54, v48, v50, v54 op_sel_hi:[1,0,1]
	v_pk_fma_f16 v103, v48, v50, v103 op_sel:[0,1,0]
	v_pk_fma_f16 v98, v48, v51, v98 op_sel_hi:[1,0,1]
	v_pk_fma_f16 v100, v48, v51, v100 op_sel:[0,1,0]
	v_pk_fma_f16 v102, v48, v52, v102 op_sel_hi:[1,0,1]
	v_pk_fma_f16 v105, v48, v52, v46 op_sel:[0,1,0]
	ds_load_2addr_b64 v[45:48], v44 offset0:64 offset1:96
	ds_load_b128 v[49:52], v59 offset:25760
	s_waitcnt lgkmcnt(0)
	v_pk_fma_f16 v57, v45, v49, v57 op_sel_hi:[1,0,1]
	v_pk_fma_f16 v55, v45, v49, v55 op_sel:[0,1,0]
	v_pk_fma_f16 v53, v45, v50, v53 op_sel_hi:[1,0,1]
	v_pk_fma_f16 v96, v45, v50, v96 op_sel:[0,1,0]
	v_pk_fma_f16 v97, v45, v51, v97 op_sel_hi:[1,0,1]
	v_pk_fma_f16 v99, v45, v51, v99 op_sel:[0,1,0]
	v_pk_fma_f16 v101, v45, v52, v101 op_sel_hi:[1,0,1]
	v_pk_fma_f16 v45, v45, v52, v104 op_sel:[0,1,0]
	v_pk_fma_f16 v58, v46, v49, v58 op_sel_hi:[1,0,1]
	v_pk_fma_f16 v56, v46, v49, v56 op_sel:[0,1,0]
	v_pk_fma_f16 v54, v46, v50, v54 op_sel_hi:[1,0,1]
	v_pk_fma_f16 v103, v46, v50, v103 op_sel:[0,1,0]
	v_pk_fma_f16 v98, v46, v51, v98 op_sel_hi:[1,0,1]
	v_pk_fma_f16 v100, v46, v51, v100 op_sel:[0,1,0]
	v_pk_fma_f16 v102, v46, v52, v102 op_sel_hi:[1,0,1]
	v_pk_fma_f16 v46, v46, v52, v105 op_sel:[0,1,0]
	ds_load_b128 v[49:52], v59 offset:25776
	s_waitcnt lgkmcnt(0)
	v_pk_fma_f16 v57, v47, v49, v57 op_sel_hi:[1,0,1]
	v_pk_fma_f16 v55, v47, v49, v55 op_sel:[0,1,0]
	v_pk_fma_f16 v53, v47, v50, v53 op_sel_hi:[1,0,1]
	v_pk_fma_f16 v96, v47, v50, v96 op_sel:[0,1,0]
	v_pk_fma_f16 v97, v47, v51, v97 op_sel_hi:[1,0,1]
	v_pk_fma_f16 v99, v47, v51, v99 op_sel:[0,1,0]
	v_pk_fma_f16 v101, v47, v52, v101 op_sel_hi:[1,0,1]
	v_pk_fma_f16 v104, v47, v52, v45 op_sel:[0,1,0]
	v_pk_fma_f16 v58, v48, v49, v58 op_sel_hi:[1,0,1]
	v_pk_fma_f16 v56, v48, v49, v56 op_sel:[0,1,0]
	v_pk_fma_f16 v54, v48, v50, v54 op_sel_hi:[1,0,1]
	v_pk_fma_f16 v103, v48, v50, v103 op_sel:[0,1,0]
	v_pk_fma_f16 v98, v48, v51, v98 op_sel_hi:[1,0,1]
	v_pk_fma_f16 v100, v48, v51, v100 op_sel:[0,1,0]
	v_pk_fma_f16 v102, v48, v52, v102 op_sel_hi:[1,0,1]
	v_pk_fma_f16 v105, v48, v52, v46 op_sel:[0,1,0]
	ds_load_2addr_b64 v[45:48], v44 offset0:128 offset1:160
	;; [unrolled: 37-line block ×3, first 2 shown]
	ds_load_b128 v[49:52], v59 offset:25824
	s_waitcnt lgkmcnt(0)
	v_pk_fma_f16 v57, v45, v49, v57 op_sel_hi:[1,0,1]
	v_pk_fma_f16 v55, v45, v49, v55 op_sel:[0,1,0]
	v_pk_fma_f16 v53, v45, v50, v53 op_sel_hi:[1,0,1]
	v_pk_fma_f16 v96, v45, v50, v96 op_sel:[0,1,0]
	;; [unrolled: 2-line block ×8, first 2 shown]
	ds_load_b128 v[49:52], v59 offset:25840
	s_waitcnt lgkmcnt(0)
	v_pk_fma_f16 v105, v47, v52, v45 op_sel:[0,1,0]
	v_add_nc_u32_e32 v45, 0x5000, v20
	v_pk_fma_f16 v57, v47, v49, v57 op_sel_hi:[1,0,1]
	v_pk_fma_f16 v55, v47, v49, v55 op_sel:[0,1,0]
	v_pk_fma_f16 v104, v47, v50, v53 op_sel_hi:[1,0,1]
	v_pk_fma_f16 v96, v47, v50, v96 op_sel:[0,1,0]
	;; [unrolled: 2-line block ×3, first 2 shown]
	v_pk_fma_f16 v101, v47, v52, v101 op_sel_hi:[1,0,1]
	v_pk_fma_f16 v58, v48, v49, v58 op_sel_hi:[1,0,1]
	v_pk_fma_f16 v56, v48, v49, v56 op_sel:[0,1,0]
	v_pk_fma_f16 v54, v48, v50, v54 op_sel_hi:[1,0,1]
	v_pk_fma_f16 v103, v48, v50, v103 op_sel:[0,1,0]
	;; [unrolled: 2-line block ×4, first 2 shown]
	ds_load_2addr_b64 v[46:49], v45 offset1:32
	ds_load_b128 v[50:53], v59 offset:25856
	v_add_nc_u32_e32 v20, 0x5800, v20
	s_waitcnt lgkmcnt(0)
	v_pk_fma_f16 v57, v46, v50, v57 op_sel_hi:[1,0,1]
	v_pk_fma_f16 v55, v46, v50, v55 op_sel:[0,1,0]
	v_pk_fma_f16 v104, v46, v51, v104 op_sel_hi:[1,0,1]
	v_pk_fma_f16 v96, v46, v51, v96 op_sel:[0,1,0]
	v_pk_fma_f16 v97, v46, v52, v97 op_sel_hi:[1,0,1]
	v_pk_fma_f16 v99, v46, v52, v99 op_sel:[0,1,0]
	v_pk_fma_f16 v101, v46, v53, v101 op_sel_hi:[1,0,1]
	v_pk_fma_f16 v46, v46, v53, v105 op_sel:[0,1,0]
	v_pk_fma_f16 v58, v47, v50, v58 op_sel_hi:[1,0,1]
	v_pk_fma_f16 v56, v47, v50, v56 op_sel:[0,1,0]
	v_pk_fma_f16 v54, v47, v51, v54 op_sel_hi:[1,0,1]
	v_pk_fma_f16 v103, v47, v51, v103 op_sel:[0,1,0]
	v_pk_fma_f16 v98, v47, v52, v98 op_sel_hi:[1,0,1]
	v_pk_fma_f16 v100, v47, v52, v100 op_sel:[0,1,0]
	v_pk_fma_f16 v102, v47, v53, v102 op_sel_hi:[1,0,1]
	v_pk_fma_f16 v47, v47, v53, v106 op_sel:[0,1,0]
	ds_load_b128 v[50:53], v59 offset:25872
	s_waitcnt lgkmcnt(0)
	v_pk_fma_f16 v57, v48, v50, v57 op_sel_hi:[1,0,1]
	v_pk_fma_f16 v55, v48, v50, v55 op_sel:[0,1,0]
	v_pk_fma_f16 v104, v48, v51, v104 op_sel_hi:[1,0,1]
	v_pk_fma_f16 v96, v48, v51, v96 op_sel:[0,1,0]
	v_pk_fma_f16 v97, v48, v52, v97 op_sel_hi:[1,0,1]
	v_pk_fma_f16 v99, v48, v52, v99 op_sel:[0,1,0]
	v_pk_fma_f16 v101, v48, v53, v101 op_sel_hi:[1,0,1]
	v_pk_fma_f16 v105, v48, v53, v46 op_sel:[0,1,0]
	v_pk_fma_f16 v58, v49, v50, v58 op_sel_hi:[1,0,1]
	v_pk_fma_f16 v56, v49, v50, v56 op_sel:[0,1,0]
	v_pk_fma_f16 v54, v49, v51, v54 op_sel_hi:[1,0,1]
	v_pk_fma_f16 v103, v49, v51, v103 op_sel:[0,1,0]
	v_pk_fma_f16 v98, v49, v52, v98 op_sel_hi:[1,0,1]
	v_pk_fma_f16 v100, v49, v52, v100 op_sel:[0,1,0]
	v_pk_fma_f16 v102, v49, v53, v102 op_sel_hi:[1,0,1]
	v_pk_fma_f16 v106, v49, v53, v47 op_sel:[0,1,0]
	ds_load_2addr_b64 v[46:49], v45 offset0:64 offset1:96
	ds_load_b128 v[50:53], v59 offset:25888
	s_waitcnt lgkmcnt(0)
	v_pk_fma_f16 v57, v46, v50, v57 op_sel_hi:[1,0,1]
	v_pk_fma_f16 v55, v46, v50, v55 op_sel:[0,1,0]
	v_pk_fma_f16 v104, v46, v51, v104 op_sel_hi:[1,0,1]
	v_pk_fma_f16 v96, v46, v51, v96 op_sel:[0,1,0]
	v_pk_fma_f16 v97, v46, v52, v97 op_sel_hi:[1,0,1]
	v_pk_fma_f16 v99, v46, v52, v99 op_sel:[0,1,0]
	v_pk_fma_f16 v101, v46, v53, v101 op_sel_hi:[1,0,1]
	v_pk_fma_f16 v46, v46, v53, v105 op_sel:[0,1,0]
	v_pk_fma_f16 v58, v47, v50, v58 op_sel_hi:[1,0,1]
	v_pk_fma_f16 v56, v47, v50, v56 op_sel:[0,1,0]
	v_pk_fma_f16 v54, v47, v51, v54 op_sel_hi:[1,0,1]
	v_pk_fma_f16 v103, v47, v51, v103 op_sel:[0,1,0]
	v_pk_fma_f16 v98, v47, v52, v98 op_sel_hi:[1,0,1]
	v_pk_fma_f16 v100, v47, v52, v100 op_sel:[0,1,0]
	v_pk_fma_f16 v102, v47, v53, v102 op_sel_hi:[1,0,1]
	v_pk_fma_f16 v47, v47, v53, v106 op_sel:[0,1,0]
	ds_load_b128 v[50:53], v59 offset:25904
	s_waitcnt lgkmcnt(0)
	v_pk_fma_f16 v57, v48, v50, v57 op_sel_hi:[1,0,1]
	v_pk_fma_f16 v55, v48, v50, v55 op_sel:[0,1,0]
	v_pk_fma_f16 v104, v48, v51, v104 op_sel_hi:[1,0,1]
	v_pk_fma_f16 v96, v48, v51, v96 op_sel:[0,1,0]
	v_pk_fma_f16 v97, v48, v52, v97 op_sel_hi:[1,0,1]
	v_pk_fma_f16 v99, v48, v52, v99 op_sel:[0,1,0]
	v_pk_fma_f16 v101, v48, v53, v101 op_sel_hi:[1,0,1]
	v_pk_fma_f16 v105, v48, v53, v46 op_sel:[0,1,0]
	v_pk_fma_f16 v58, v49, v50, v58 op_sel_hi:[1,0,1]
	v_pk_fma_f16 v56, v49, v50, v56 op_sel:[0,1,0]
	v_pk_fma_f16 v54, v49, v51, v54 op_sel_hi:[1,0,1]
	v_pk_fma_f16 v103, v49, v51, v103 op_sel:[0,1,0]
	v_pk_fma_f16 v98, v49, v52, v98 op_sel_hi:[1,0,1]
	v_pk_fma_f16 v100, v49, v52, v100 op_sel:[0,1,0]
	v_pk_fma_f16 v102, v49, v53, v102 op_sel_hi:[1,0,1]
	v_pk_fma_f16 v106, v49, v53, v47 op_sel:[0,1,0]
	ds_load_2addr_b64 v[46:49], v45 offset0:128 offset1:160
	ds_load_b128 v[50:53], v59 offset:25920
	;; [unrolled: 37-line block ×3, first 2 shown]
	s_waitcnt lgkmcnt(0)
	v_pk_fma_f16 v57, v46, v50, v57 op_sel_hi:[1,0,1]
	v_pk_fma_f16 v55, v46, v50, v55 op_sel:[0,1,0]
	v_pk_fma_f16 v104, v46, v51, v104 op_sel_hi:[1,0,1]
	v_pk_fma_f16 v96, v46, v51, v96 op_sel:[0,1,0]
	;; [unrolled: 2-line block ×8, first 2 shown]
	ds_load_b128 v[50:53], v59 offset:25968
	s_waitcnt lgkmcnt(0)
	v_pk_fma_f16 v57, v48, v50, v57 op_sel_hi:[1,0,1]
	v_pk_fma_f16 v55, v48, v50, v55 op_sel:[0,1,0]
	v_pk_fma_f16 v104, v48, v51, v104 op_sel_hi:[1,0,1]
	v_pk_fma_f16 v96, v48, v51, v96 op_sel:[0,1,0]
	;; [unrolled: 2-line block ×8, first 2 shown]
	ds_load_2addr_b64 v[46:49], v20 offset1:32
	ds_load_b128 v[50:53], v59 offset:25984
	s_waitcnt lgkmcnt(0)
	v_pk_fma_f16 v57, v46, v50, v57 op_sel_hi:[1,0,1]
	v_pk_fma_f16 v55, v46, v50, v55 op_sel:[0,1,0]
	v_pk_fma_f16 v104, v46, v51, v104 op_sel_hi:[1,0,1]
	v_pk_fma_f16 v96, v46, v51, v96 op_sel:[0,1,0]
	v_pk_fma_f16 v97, v46, v52, v97 op_sel_hi:[1,0,1]
	v_pk_fma_f16 v99, v46, v52, v99 op_sel:[0,1,0]
	v_pk_fma_f16 v101, v46, v53, v101 op_sel_hi:[1,0,1]
	v_pk_fma_f16 v46, v46, v53, v105 op_sel:[0,1,0]
	v_pk_fma_f16 v58, v47, v50, v58 op_sel_hi:[1,0,1]
	v_pk_fma_f16 v56, v47, v50, v56 op_sel:[0,1,0]
	v_pk_fma_f16 v54, v47, v51, v54 op_sel_hi:[1,0,1]
	v_pk_fma_f16 v103, v47, v51, v103 op_sel:[0,1,0]
	v_pk_fma_f16 v98, v47, v52, v98 op_sel_hi:[1,0,1]
	v_pk_fma_f16 v100, v47, v52, v100 op_sel:[0,1,0]
	v_pk_fma_f16 v102, v47, v53, v102 op_sel_hi:[1,0,1]
	v_pk_fma_f16 v47, v47, v53, v106 op_sel:[0,1,0]
	ds_load_b128 v[50:53], v59 offset:26000
	s_waitcnt lgkmcnt(0)
	v_pk_fma_f16 v57, v48, v50, v57 op_sel_hi:[1,0,1]
	v_pk_fma_f16 v55, v48, v50, v55 op_sel:[0,1,0]
	v_pk_fma_f16 v104, v48, v51, v104 op_sel_hi:[1,0,1]
	v_pk_fma_f16 v96, v48, v51, v96 op_sel:[0,1,0]
	v_pk_fma_f16 v97, v48, v52, v97 op_sel_hi:[1,0,1]
	v_pk_fma_f16 v99, v48, v52, v99 op_sel:[0,1,0]
	v_pk_fma_f16 v101, v48, v53, v101 op_sel_hi:[1,0,1]
	v_pk_fma_f16 v105, v48, v53, v46 op_sel:[0,1,0]
	v_pk_fma_f16 v58, v49, v50, v58 op_sel_hi:[1,0,1]
	v_pk_fma_f16 v56, v49, v50, v56 op_sel:[0,1,0]
	v_pk_fma_f16 v54, v49, v51, v54 op_sel_hi:[1,0,1]
	v_pk_fma_f16 v103, v49, v51, v103 op_sel:[0,1,0]
	v_pk_fma_f16 v98, v49, v52, v98 op_sel_hi:[1,0,1]
	v_pk_fma_f16 v100, v49, v52, v100 op_sel:[0,1,0]
	v_pk_fma_f16 v102, v49, v53, v102 op_sel_hi:[1,0,1]
	v_pk_fma_f16 v106, v49, v53, v47 op_sel:[0,1,0]
	ds_load_2addr_b64 v[46:49], v20 offset0:64 offset1:96
	ds_load_b128 v[50:53], v59 offset:26016
	s_waitcnt lgkmcnt(0)
	v_pk_fma_f16 v57, v46, v50, v57 op_sel_hi:[1,0,1]
	v_pk_fma_f16 v55, v46, v50, v55 op_sel:[0,1,0]
	v_pk_fma_f16 v104, v46, v51, v104 op_sel_hi:[1,0,1]
	v_pk_fma_f16 v96, v46, v51, v96 op_sel:[0,1,0]
	v_pk_fma_f16 v97, v46, v52, v97 op_sel_hi:[1,0,1]
	v_pk_fma_f16 v99, v46, v52, v99 op_sel:[0,1,0]
	v_pk_fma_f16 v101, v46, v53, v101 op_sel_hi:[1,0,1]
	v_pk_fma_f16 v46, v46, v53, v105 op_sel:[0,1,0]
	v_pk_fma_f16 v58, v47, v50, v58 op_sel_hi:[1,0,1]
	v_pk_fma_f16 v56, v47, v50, v56 op_sel:[0,1,0]
	v_pk_fma_f16 v54, v47, v51, v54 op_sel_hi:[1,0,1]
	v_pk_fma_f16 v103, v47, v51, v103 op_sel:[0,1,0]
	v_pk_fma_f16 v98, v47, v52, v98 op_sel_hi:[1,0,1]
	v_pk_fma_f16 v100, v47, v52, v100 op_sel:[0,1,0]
	v_pk_fma_f16 v102, v47, v53, v102 op_sel_hi:[1,0,1]
	v_pk_fma_f16 v47, v47, v53, v106 op_sel:[0,1,0]
	ds_load_b128 v[50:53], v59 offset:26032
	s_waitcnt lgkmcnt(0)
	v_pk_fma_f16 v57, v48, v50, v57 op_sel_hi:[1,0,1]
	v_pk_fma_f16 v55, v48, v50, v55 op_sel:[0,1,0]
	v_pk_fma_f16 v104, v48, v51, v104 op_sel_hi:[1,0,1]
	v_pk_fma_f16 v96, v48, v51, v96 op_sel:[0,1,0]
	v_pk_fma_f16 v97, v48, v52, v97 op_sel_hi:[1,0,1]
	v_pk_fma_f16 v99, v48, v52, v99 op_sel:[0,1,0]
	v_pk_fma_f16 v101, v48, v53, v101 op_sel_hi:[1,0,1]
	v_pk_fma_f16 v105, v48, v53, v46 op_sel:[0,1,0]
	v_pk_fma_f16 v58, v49, v50, v58 op_sel_hi:[1,0,1]
	v_pk_fma_f16 v56, v49, v50, v56 op_sel:[0,1,0]
	v_pk_fma_f16 v54, v49, v51, v54 op_sel_hi:[1,0,1]
	v_pk_fma_f16 v103, v49, v51, v103 op_sel:[0,1,0]
	v_pk_fma_f16 v98, v49, v52, v98 op_sel_hi:[1,0,1]
	v_pk_fma_f16 v100, v49, v52, v100 op_sel:[0,1,0]
	v_pk_fma_f16 v102, v49, v53, v102 op_sel_hi:[1,0,1]
	v_pk_fma_f16 v106, v49, v53, v47 op_sel:[0,1,0]
	ds_load_2addr_b64 v[46:49], v20 offset0:128 offset1:160
	;; [unrolled: 37-line block ×3, first 2 shown]
	ds_load_b128 v[50:53], v59 offset:26080
	s_waitcnt lgkmcnt(0)
	v_pk_fma_f16 v57, v46, v50, v57 op_sel_hi:[1,0,1]
	v_pk_fma_f16 v55, v46, v50, v55 op_sel:[0,1,0]
	v_pk_fma_f16 v104, v46, v51, v104 op_sel_hi:[1,0,1]
	v_pk_fma_f16 v96, v46, v51, v96 op_sel:[0,1,0]
	;; [unrolled: 2-line block ×8, first 2 shown]
	ds_load_b128 v[50:53], v59 offset:26096
	s_waitcnt lgkmcnt(0)
	s_barrier
	buffer_gl0_inv
	ds_store_b32 v77, v91 offset:37888
	ds_store_2addr_b32 v92, v91, v91 offset1:1
	ds_store_b32 v77, v91 offset:37900
	v_pk_fma_f16 v57, v48, v50, v57 op_sel_hi:[1,0,1]
	v_pk_fma_f16 v55, v48, v50, v55 op_sel:[0,1,0]
	v_pk_fma_f16 v104, v48, v51, v104 op_sel_hi:[1,0,1]
	v_pk_fma_f16 v96, v48, v51, v96 op_sel:[0,1,0]
	;; [unrolled: 2-line block ×8, first 2 shown]
	flat_load_b128 v[46:49], v[0:1]
	v_add_co_u32 v0, vcc_lo, s4, v2
	v_add_co_ci_u32_e32 v1, vcc_lo, s1, v3, vcc_lo
	v_cmp_gt_i32_e32 vcc_lo, s5, v95
	s_delay_alu instid0(VALU_DEP_3) | instskip(NEXT) | instid1(VALU_DEP_1)
	v_add_co_u32 v0, s0, v0, v88
	v_add_co_ci_u32_e64 v1, s0, 0, v1, s0
	s_waitcnt vmcnt(0) lgkmcnt(0)
	ds_store_b128 v93, v[46:49] offset:16384
	ds_store_2addr_b32 v92, v91, v91 offset1:1
	ds_store_b32 v77, v91 offset:37888
	ds_store_b32 v77, v91 offset:37900
	v_cndmask_b32_e32 v0, v90, v0, vcc_lo
	v_cndmask_b32_e32 v1, s19, v1, vcc_lo
	flat_load_b128 v[0:3], v[0:1]
	s_waitcnt vmcnt(0) lgkmcnt(0)
	ds_store_b128 v94, v[0:3] offset:16384
	s_waitcnt lgkmcnt(0)
	s_barrier
	buffer_gl0_inv
	ds_load_2addr_b64 v[0:3], v43 offset1:32
	ds_load_b128 v[46:49], v59 offset:26112
	s_waitcnt lgkmcnt(0)
	v_pk_fma_f16 v57, v0, v46, v57 op_sel_hi:[1,0,1]
	v_pk_fma_f16 v55, v0, v46, v55 op_sel:[0,1,0]
	v_pk_fma_f16 v77, v0, v47, v104 op_sel_hi:[1,0,1]
	v_pk_fma_f16 v88, v0, v47, v96 op_sel:[0,1,0]
	;; [unrolled: 2-line block ×8, first 2 shown]
	ds_load_b128 v[46:49], v59 offset:26128
	s_waitcnt lgkmcnt(0)
	v_pk_fma_f16 v53, v2, v46, v57 op_sel_hi:[1,0,1]
	v_pk_fma_f16 v55, v2, v46, v55 op_sel:[0,1,0]
	v_pk_fma_f16 v57, v2, v47, v77 op_sel_hi:[1,0,1]
	v_pk_fma_f16 v77, v2, v47, v88 op_sel:[0,1,0]
	;; [unrolled: 2-line block ×8, first 2 shown]
	ds_load_b128 v[0:3], v59 offset:26144
	ds_load_2addr_b64 v[46:49], v43 offset0:64 offset1:96
	s_waitcnt lgkmcnt(0)
	v_pk_fma_f16 v53, v46, v0, v53 op_sel_hi:[1,0,1]
	v_pk_fma_f16 v55, v46, v0, v55 op_sel:[0,1,0]
	v_pk_fma_f16 v57, v46, v1, v57 op_sel_hi:[1,0,1]
	v_pk_fma_f16 v77, v46, v1, v77 op_sel:[0,1,0]
	;; [unrolled: 2-line block ×8, first 2 shown]
	ds_load_b128 v[0:3], v59 offset:26160
	s_waitcnt lgkmcnt(0)
	v_pk_fma_f16 v53, v48, v0, v53 op_sel_hi:[1,0,1]
	v_pk_fma_f16 v55, v48, v0, v55 op_sel:[0,1,0]
	v_pk_fma_f16 v57, v48, v1, v57 op_sel_hi:[1,0,1]
	v_pk_fma_f16 v77, v48, v1, v77 op_sel:[0,1,0]
	;; [unrolled: 2-line block ×8, first 2 shown]
	ds_load_2addr_b64 v[0:3], v43 offset0:128 offset1:160
	ds_load_b128 v[46:49], v59 offset:26176
	s_waitcnt lgkmcnt(0)
	v_pk_fma_f16 v53, v0, v46, v53 op_sel_hi:[1,0,1]
	v_pk_fma_f16 v55, v0, v46, v55 op_sel:[0,1,0]
	v_pk_fma_f16 v57, v0, v47, v57 op_sel_hi:[1,0,1]
	v_pk_fma_f16 v77, v0, v47, v77 op_sel:[0,1,0]
	;; [unrolled: 2-line block ×8, first 2 shown]
	ds_load_b128 v[46:49], v59 offset:26192
	s_waitcnt lgkmcnt(0)
	v_pk_fma_f16 v53, v2, v46, v53 op_sel_hi:[1,0,1]
	v_pk_fma_f16 v55, v2, v46, v55 op_sel:[0,1,0]
	v_pk_fma_f16 v57, v2, v47, v57 op_sel_hi:[1,0,1]
	v_pk_fma_f16 v77, v2, v47, v77 op_sel:[0,1,0]
	;; [unrolled: 2-line block ×8, first 2 shown]
	ds_load_2addr_b64 v[0:3], v43 offset0:192 offset1:224
	ds_load_b128 v[46:49], v59 offset:26208
	s_waitcnt lgkmcnt(0)
	v_pk_fma_f16 v43, v0, v46, v53 op_sel_hi:[1,0,1]
	v_pk_fma_f16 v53, v0, v46, v55 op_sel:[0,1,0]
	v_pk_fma_f16 v55, v0, v47, v57 op_sel_hi:[1,0,1]
	v_pk_fma_f16 v57, v0, v47, v77 op_sel:[0,1,0]
	;; [unrolled: 2-line block ×8, first 2 shown]
	ds_load_b128 v[46:49], v59 offset:26224
	s_waitcnt lgkmcnt(0)
	v_pk_fma_f16 v43, v2, v46, v43 op_sel_hi:[1,0,1]
	v_pk_fma_f16 v53, v2, v46, v53 op_sel:[0,1,0]
	v_pk_fma_f16 v55, v2, v47, v55 op_sel_hi:[1,0,1]
	v_pk_fma_f16 v57, v2, v47, v57 op_sel:[0,1,0]
	;; [unrolled: 2-line block ×8, first 2 shown]
	ds_load_2addr_b64 v[0:3], v44 offset1:32
	ds_load_b128 v[46:49], v59 offset:26240
	s_waitcnt lgkmcnt(0)
	v_pk_fma_f16 v43, v0, v46, v43 op_sel_hi:[1,0,1]
	v_pk_fma_f16 v53, v0, v46, v53 op_sel:[0,1,0]
	v_pk_fma_f16 v55, v0, v47, v55 op_sel_hi:[1,0,1]
	v_pk_fma_f16 v57, v0, v47, v57 op_sel:[0,1,0]
	v_pk_fma_f16 v77, v0, v48, v77 op_sel_hi:[1,0,1]
	v_pk_fma_f16 v88, v0, v48, v88 op_sel:[0,1,0]
	v_pk_fma_f16 v89, v0, v49, v89 op_sel_hi:[1,0,1]
	v_pk_fma_f16 v0, v0, v49, v91 op_sel:[0,1,0]
	v_pk_fma_f16 v58, v1, v46, v58 op_sel_hi:[1,0,1]
	v_pk_fma_f16 v50, v1, v46, v50 op_sel:[0,1,0]
	v_pk_fma_f16 v54, v1, v47, v54 op_sel_hi:[1,0,1]
	v_pk_fma_f16 v51, v1, v47, v51 op_sel:[0,1,0]
	v_pk_fma_f16 v56, v1, v48, v56 op_sel_hi:[1,0,1]
	v_pk_fma_f16 v52, v1, v48, v52 op_sel:[0,1,0]
	v_pk_fma_f16 v90, v1, v49, v90 op_sel_hi:[1,0,1]
	v_pk_fma_f16 v1, v1, v49, v92 op_sel:[0,1,0]
	ds_load_b128 v[46:49], v59 offset:26256
	s_waitcnt lgkmcnt(0)
	v_pk_fma_f16 v43, v2, v46, v43 op_sel_hi:[1,0,1]
	v_pk_fma_f16 v53, v2, v46, v53 op_sel:[0,1,0]
	v_pk_fma_f16 v55, v2, v47, v55 op_sel_hi:[1,0,1]
	v_pk_fma_f16 v57, v2, v47, v57 op_sel:[0,1,0]
	v_pk_fma_f16 v77, v2, v48, v77 op_sel_hi:[1,0,1]
	v_pk_fma_f16 v88, v2, v48, v88 op_sel:[0,1,0]
	v_pk_fma_f16 v89, v2, v49, v89 op_sel_hi:[1,0,1]
	v_pk_fma_f16 v91, v2, v49, v0 op_sel:[0,1,0]
	v_pk_fma_f16 v58, v3, v46, v58 op_sel_hi:[1,0,1]
	v_pk_fma_f16 v50, v3, v46, v50 op_sel:[0,1,0]
	v_pk_fma_f16 v54, v3, v47, v54 op_sel_hi:[1,0,1]
	v_pk_fma_f16 v51, v3, v47, v51 op_sel:[0,1,0]
	v_pk_fma_f16 v56, v3, v48, v56 op_sel_hi:[1,0,1]
	v_pk_fma_f16 v52, v3, v48, v52 op_sel:[0,1,0]
	v_pk_fma_f16 v90, v3, v49, v90 op_sel_hi:[1,0,1]
	v_pk_fma_f16 v92, v3, v49, v1 op_sel:[0,1,0]
	ds_load_2addr_b64 v[0:3], v44 offset0:64 offset1:96
	ds_load_b128 v[46:49], v59 offset:26272
	s_waitcnt lgkmcnt(0)
	v_pk_fma_f16 v43, v0, v46, v43 op_sel_hi:[1,0,1]
	v_pk_fma_f16 v53, v0, v46, v53 op_sel:[0,1,0]
	v_pk_fma_f16 v55, v0, v47, v55 op_sel_hi:[1,0,1]
	v_pk_fma_f16 v57, v0, v47, v57 op_sel:[0,1,0]
	v_pk_fma_f16 v77, v0, v48, v77 op_sel_hi:[1,0,1]
	v_pk_fma_f16 v88, v0, v48, v88 op_sel:[0,1,0]
	v_pk_fma_f16 v89, v0, v49, v89 op_sel_hi:[1,0,1]
	v_pk_fma_f16 v0, v0, v49, v91 op_sel:[0,1,0]
	v_pk_fma_f16 v58, v1, v46, v58 op_sel_hi:[1,0,1]
	v_pk_fma_f16 v50, v1, v46, v50 op_sel:[0,1,0]
	v_pk_fma_f16 v54, v1, v47, v54 op_sel_hi:[1,0,1]
	v_pk_fma_f16 v51, v1, v47, v51 op_sel:[0,1,0]
	v_pk_fma_f16 v56, v1, v48, v56 op_sel_hi:[1,0,1]
	v_pk_fma_f16 v52, v1, v48, v52 op_sel:[0,1,0]
	v_pk_fma_f16 v90, v1, v49, v90 op_sel_hi:[1,0,1]
	v_pk_fma_f16 v1, v1, v49, v92 op_sel:[0,1,0]
	ds_load_b128 v[46:49], v59 offset:26288
	s_waitcnt lgkmcnt(0)
	v_pk_fma_f16 v43, v2, v46, v43 op_sel_hi:[1,0,1]
	v_pk_fma_f16 v53, v2, v46, v53 op_sel:[0,1,0]
	v_pk_fma_f16 v55, v2, v47, v55 op_sel_hi:[1,0,1]
	v_pk_fma_f16 v57, v2, v47, v57 op_sel:[0,1,0]
	v_pk_fma_f16 v77, v2, v48, v77 op_sel_hi:[1,0,1]
	v_pk_fma_f16 v88, v2, v48, v88 op_sel:[0,1,0]
	v_pk_fma_f16 v89, v2, v49, v89 op_sel_hi:[1,0,1]
	v_pk_fma_f16 v91, v2, v49, v0 op_sel:[0,1,0]
	v_pk_fma_f16 v58, v3, v46, v58 op_sel_hi:[1,0,1]
	v_pk_fma_f16 v50, v3, v46, v50 op_sel:[0,1,0]
	v_pk_fma_f16 v54, v3, v47, v54 op_sel_hi:[1,0,1]
	v_pk_fma_f16 v51, v3, v47, v51 op_sel:[0,1,0]
	v_pk_fma_f16 v56, v3, v48, v56 op_sel_hi:[1,0,1]
	v_pk_fma_f16 v52, v3, v48, v52 op_sel:[0,1,0]
	v_pk_fma_f16 v90, v3, v49, v90 op_sel_hi:[1,0,1]
	v_pk_fma_f16 v92, v3, v49, v1 op_sel:[0,1,0]
	ds_load_2addr_b64 v[0:3], v44 offset0:128 offset1:160
	ds_load_b128 v[46:49], v59 offset:26304
	s_waitcnt lgkmcnt(0)
	v_pk_fma_f16 v43, v0, v46, v43 op_sel_hi:[1,0,1]
	v_pk_fma_f16 v53, v0, v46, v53 op_sel:[0,1,0]
	v_pk_fma_f16 v55, v0, v47, v55 op_sel_hi:[1,0,1]
	v_pk_fma_f16 v57, v0, v47, v57 op_sel:[0,1,0]
	v_pk_fma_f16 v77, v0, v48, v77 op_sel_hi:[1,0,1]
	v_pk_fma_f16 v88, v0, v48, v88 op_sel:[0,1,0]
	v_pk_fma_f16 v89, v0, v49, v89 op_sel_hi:[1,0,1]
	v_pk_fma_f16 v0, v0, v49, v91 op_sel:[0,1,0]
	v_pk_fma_f16 v58, v1, v46, v58 op_sel_hi:[1,0,1]
	v_pk_fma_f16 v50, v1, v46, v50 op_sel:[0,1,0]
	v_pk_fma_f16 v54, v1, v47, v54 op_sel_hi:[1,0,1]
	v_pk_fma_f16 v51, v1, v47, v51 op_sel:[0,1,0]
	v_pk_fma_f16 v56, v1, v48, v56 op_sel_hi:[1,0,1]
	v_pk_fma_f16 v52, v1, v48, v52 op_sel:[0,1,0]
	v_pk_fma_f16 v90, v1, v49, v90 op_sel_hi:[1,0,1]
	v_pk_fma_f16 v1, v1, v49, v92 op_sel:[0,1,0]
	ds_load_b128 v[46:49], v59 offset:26320
	s_waitcnt lgkmcnt(0)
	v_pk_fma_f16 v43, v2, v46, v43 op_sel_hi:[1,0,1]
	v_pk_fma_f16 v53, v2, v46, v53 op_sel:[0,1,0]
	v_pk_fma_f16 v55, v2, v47, v55 op_sel_hi:[1,0,1]
	v_pk_fma_f16 v57, v2, v47, v57 op_sel:[0,1,0]
	v_pk_fma_f16 v77, v2, v48, v77 op_sel_hi:[1,0,1]
	v_pk_fma_f16 v88, v2, v48, v88 op_sel:[0,1,0]
	v_pk_fma_f16 v89, v2, v49, v89 op_sel_hi:[1,0,1]
	v_pk_fma_f16 v91, v2, v49, v0 op_sel:[0,1,0]
	v_pk_fma_f16 v58, v3, v46, v58 op_sel_hi:[1,0,1]
	v_pk_fma_f16 v50, v3, v46, v50 op_sel:[0,1,0]
	v_pk_fma_f16 v54, v3, v47, v54 op_sel_hi:[1,0,1]
	v_pk_fma_f16 v51, v3, v47, v51 op_sel:[0,1,0]
	v_pk_fma_f16 v56, v3, v48, v56 op_sel_hi:[1,0,1]
	v_pk_fma_f16 v52, v3, v48, v52 op_sel:[0,1,0]
	v_pk_fma_f16 v90, v3, v49, v90 op_sel_hi:[1,0,1]
	v_pk_fma_f16 v92, v3, v49, v1 op_sel:[0,1,0]
	ds_load_2addr_b64 v[0:3], v44 offset0:192 offset1:224
	ds_load_b128 v[46:49], v59 offset:26336
	s_waitcnt lgkmcnt(0)
	v_pk_fma_f16 v43, v0, v46, v43 op_sel_hi:[1,0,1]
	v_pk_fma_f16 v44, v0, v46, v53 op_sel:[0,1,0]
	v_pk_fma_f16 v53, v0, v47, v55 op_sel_hi:[1,0,1]
	v_pk_fma_f16 v55, v0, v47, v57 op_sel:[0,1,0]
	;; [unrolled: 2-line block ×8, first 2 shown]
	ds_load_b128 v[46:49], v59 offset:26352
	s_waitcnt lgkmcnt(0)
	v_pk_fma_f16 v43, v2, v46, v43 op_sel_hi:[1,0,1]
	v_pk_fma_f16 v44, v2, v46, v44 op_sel:[0,1,0]
	v_pk_fma_f16 v53, v2, v47, v53 op_sel_hi:[1,0,1]
	v_pk_fma_f16 v55, v2, v47, v55 op_sel:[0,1,0]
	;; [unrolled: 2-line block ×8, first 2 shown]
	ds_load_2addr_b64 v[0:3], v45 offset1:32
	ds_load_b128 v[46:49], v59 offset:26368
	s_waitcnt lgkmcnt(0)
	v_pk_fma_f16 v43, v0, v46, v43 op_sel_hi:[1,0,1]
	v_pk_fma_f16 v44, v0, v46, v44 op_sel:[0,1,0]
	v_pk_fma_f16 v53, v0, v47, v53 op_sel_hi:[1,0,1]
	v_pk_fma_f16 v55, v0, v47, v55 op_sel:[0,1,0]
	v_pk_fma_f16 v57, v0, v48, v57 op_sel_hi:[1,0,1]
	v_pk_fma_f16 v77, v0, v48, v77 op_sel:[0,1,0]
	v_pk_fma_f16 v88, v0, v49, v88 op_sel_hi:[1,0,1]
	v_pk_fma_f16 v0, v0, v49, v90 op_sel:[0,1,0]
	v_pk_fma_f16 v58, v1, v46, v58 op_sel_hi:[1,0,1]
	v_pk_fma_f16 v50, v1, v46, v50 op_sel:[0,1,0]
	v_pk_fma_f16 v54, v1, v47, v54 op_sel_hi:[1,0,1]
	v_pk_fma_f16 v51, v1, v47, v51 op_sel:[0,1,0]
	v_pk_fma_f16 v56, v1, v48, v56 op_sel_hi:[1,0,1]
	v_pk_fma_f16 v52, v1, v48, v52 op_sel:[0,1,0]
	v_pk_fma_f16 v89, v1, v49, v89 op_sel_hi:[1,0,1]
	v_pk_fma_f16 v1, v1, v49, v91 op_sel:[0,1,0]
	ds_load_b128 v[46:49], v59 offset:26384
	s_waitcnt lgkmcnt(0)
	v_pk_fma_f16 v43, v2, v46, v43 op_sel_hi:[1,0,1]
	v_pk_fma_f16 v44, v2, v46, v44 op_sel:[0,1,0]
	v_pk_fma_f16 v53, v2, v47, v53 op_sel_hi:[1,0,1]
	v_pk_fma_f16 v55, v2, v47, v55 op_sel:[0,1,0]
	v_pk_fma_f16 v57, v2, v48, v57 op_sel_hi:[1,0,1]
	v_pk_fma_f16 v77, v2, v48, v77 op_sel:[0,1,0]
	v_pk_fma_f16 v88, v2, v49, v88 op_sel_hi:[1,0,1]
	v_pk_fma_f16 v90, v2, v49, v0 op_sel:[0,1,0]
	v_pk_fma_f16 v58, v3, v46, v58 op_sel_hi:[1,0,1]
	v_pk_fma_f16 v50, v3, v46, v50 op_sel:[0,1,0]
	v_pk_fma_f16 v54, v3, v47, v54 op_sel_hi:[1,0,1]
	v_pk_fma_f16 v51, v3, v47, v51 op_sel:[0,1,0]
	v_pk_fma_f16 v56, v3, v48, v56 op_sel_hi:[1,0,1]
	v_pk_fma_f16 v52, v3, v48, v52 op_sel:[0,1,0]
	v_pk_fma_f16 v89, v3, v49, v89 op_sel_hi:[1,0,1]
	v_pk_fma_f16 v91, v3, v49, v1 op_sel:[0,1,0]
	ds_load_2addr_b64 v[0:3], v45 offset0:64 offset1:96
	ds_load_b128 v[46:49], v59 offset:26400
	s_waitcnt lgkmcnt(0)
	v_pk_fma_f16 v43, v0, v46, v43 op_sel_hi:[1,0,1]
	v_pk_fma_f16 v44, v0, v46, v44 op_sel:[0,1,0]
	v_pk_fma_f16 v53, v0, v47, v53 op_sel_hi:[1,0,1]
	v_pk_fma_f16 v55, v0, v47, v55 op_sel:[0,1,0]
	v_pk_fma_f16 v57, v0, v48, v57 op_sel_hi:[1,0,1]
	v_pk_fma_f16 v77, v0, v48, v77 op_sel:[0,1,0]
	v_pk_fma_f16 v88, v0, v49, v88 op_sel_hi:[1,0,1]
	v_pk_fma_f16 v0, v0, v49, v90 op_sel:[0,1,0]
	v_pk_fma_f16 v58, v1, v46, v58 op_sel_hi:[1,0,1]
	v_pk_fma_f16 v50, v1, v46, v50 op_sel:[0,1,0]
	v_pk_fma_f16 v54, v1, v47, v54 op_sel_hi:[1,0,1]
	v_pk_fma_f16 v51, v1, v47, v51 op_sel:[0,1,0]
	v_pk_fma_f16 v56, v1, v48, v56 op_sel_hi:[1,0,1]
	v_pk_fma_f16 v52, v1, v48, v52 op_sel:[0,1,0]
	v_pk_fma_f16 v89, v1, v49, v89 op_sel_hi:[1,0,1]
	v_pk_fma_f16 v1, v1, v49, v91 op_sel:[0,1,0]
	ds_load_b128 v[46:49], v59 offset:26416
	s_waitcnt lgkmcnt(0)
	v_pk_fma_f16 v43, v2, v46, v43 op_sel_hi:[1,0,1]
	v_pk_fma_f16 v44, v2, v46, v44 op_sel:[0,1,0]
	v_pk_fma_f16 v53, v2, v47, v53 op_sel_hi:[1,0,1]
	v_pk_fma_f16 v55, v2, v47, v55 op_sel:[0,1,0]
	v_pk_fma_f16 v57, v2, v48, v57 op_sel_hi:[1,0,1]
	v_pk_fma_f16 v77, v2, v48, v77 op_sel:[0,1,0]
	v_pk_fma_f16 v88, v2, v49, v88 op_sel_hi:[1,0,1]
	v_pk_fma_f16 v90, v2, v49, v0 op_sel:[0,1,0]
	v_pk_fma_f16 v58, v3, v46, v58 op_sel_hi:[1,0,1]
	v_pk_fma_f16 v50, v3, v46, v50 op_sel:[0,1,0]
	v_pk_fma_f16 v54, v3, v47, v54 op_sel_hi:[1,0,1]
	v_pk_fma_f16 v51, v3, v47, v51 op_sel:[0,1,0]
	v_pk_fma_f16 v56, v3, v48, v56 op_sel_hi:[1,0,1]
	v_pk_fma_f16 v52, v3, v48, v52 op_sel:[0,1,0]
	v_pk_fma_f16 v89, v3, v49, v89 op_sel_hi:[1,0,1]
	v_pk_fma_f16 v91, v3, v49, v1 op_sel:[0,1,0]
	ds_load_2addr_b64 v[0:3], v45 offset0:128 offset1:160
	;; [unrolled: 37-line block ×3, first 2 shown]
	ds_load_b128 v[43:46], v59 offset:26464
	s_waitcnt lgkmcnt(0)
	v_pk_fma_f16 v56, v0, v43, v90 op_sel_hi:[1,0,1]
	v_pk_fma_f16 v89, v0, v43, v91 op_sel:[0,1,0]
	v_pk_fma_f16 v53, v0, v44, v53 op_sel_hi:[1,0,1]
	v_pk_fma_f16 v55, v0, v44, v55 op_sel:[0,1,0]
	;; [unrolled: 2-line block ×8, first 2 shown]
	ds_load_b128 v[43:46], v59 offset:26480
	s_waitcnt lgkmcnt(0)
	v_pk_fma_f16 v49, v2, v43, v56 op_sel_hi:[1,0,1]
	v_pk_fma_f16 v56, v2, v43, v89 op_sel:[0,1,0]
	v_pk_fma_f16 v53, v2, v44, v53 op_sel_hi:[1,0,1]
	v_pk_fma_f16 v55, v2, v44, v55 op_sel:[0,1,0]
	;; [unrolled: 2-line block ×8, first 2 shown]
	ds_load_2addr_b64 v[0:3], v20 offset1:32
	ds_load_b128 v[43:46], v59 offset:26496
	s_waitcnt lgkmcnt(0)
	v_pk_fma_f16 v49, v0, v43, v49 op_sel_hi:[1,0,1]
	v_pk_fma_f16 v56, v0, v43, v56 op_sel:[0,1,0]
	v_pk_fma_f16 v53, v0, v44, v53 op_sel_hi:[1,0,1]
	v_pk_fma_f16 v55, v0, v44, v55 op_sel:[0,1,0]
	v_pk_fma_f16 v57, v0, v45, v57 op_sel_hi:[1,0,1]
	v_pk_fma_f16 v77, v0, v45, v77 op_sel:[0,1,0]
	v_pk_fma_f16 v88, v0, v46, v88 op_sel_hi:[1,0,1]
	v_pk_fma_f16 v0, v0, v46, v89 op_sel:[0,1,0]
	v_pk_fma_f16 v58, v1, v43, v58 op_sel_hi:[1,0,1]
	v_pk_fma_f16 v50, v1, v43, v50 op_sel:[0,1,0]
	v_pk_fma_f16 v54, v1, v44, v54 op_sel_hi:[1,0,1]
	v_pk_fma_f16 v47, v1, v44, v47 op_sel:[0,1,0]
	v_pk_fma_f16 v51, v1, v45, v51 op_sel_hi:[1,0,1]
	v_pk_fma_f16 v48, v1, v45, v48 op_sel:[0,1,0]
	v_pk_fma_f16 v52, v1, v46, v52 op_sel_hi:[1,0,1]
	v_pk_fma_f16 v1, v1, v46, v90 op_sel:[0,1,0]
	ds_load_b128 v[43:46], v59 offset:26512
	s_waitcnt lgkmcnt(0)
	v_pk_fma_f16 v49, v2, v43, v49 op_sel_hi:[1,0,1]
	v_pk_fma_f16 v56, v2, v43, v56 op_sel:[0,1,0]
	v_pk_fma_f16 v53, v2, v44, v53 op_sel_hi:[1,0,1]
	v_pk_fma_f16 v55, v2, v44, v55 op_sel:[0,1,0]
	v_pk_fma_f16 v57, v2, v45, v57 op_sel_hi:[1,0,1]
	v_pk_fma_f16 v77, v2, v45, v77 op_sel:[0,1,0]
	v_pk_fma_f16 v88, v2, v46, v88 op_sel_hi:[1,0,1]
	v_pk_fma_f16 v89, v2, v46, v0 op_sel:[0,1,0]
	v_pk_fma_f16 v58, v3, v43, v58 op_sel_hi:[1,0,1]
	v_pk_fma_f16 v50, v3, v43, v50 op_sel:[0,1,0]
	v_pk_fma_f16 v54, v3, v44, v54 op_sel_hi:[1,0,1]
	v_pk_fma_f16 v47, v3, v44, v47 op_sel:[0,1,0]
	v_pk_fma_f16 v51, v3, v45, v51 op_sel_hi:[1,0,1]
	v_pk_fma_f16 v48, v3, v45, v48 op_sel:[0,1,0]
	v_pk_fma_f16 v52, v3, v46, v52 op_sel_hi:[1,0,1]
	v_pk_fma_f16 v90, v3, v46, v1 op_sel:[0,1,0]
	ds_load_2addr_b64 v[0:3], v20 offset0:64 offset1:96
	ds_load_b128 v[43:46], v59 offset:26528
	s_waitcnt lgkmcnt(0)
	v_pk_fma_f16 v49, v0, v43, v49 op_sel_hi:[1,0,1]
	v_pk_fma_f16 v56, v0, v43, v56 op_sel:[0,1,0]
	v_pk_fma_f16 v53, v0, v44, v53 op_sel_hi:[1,0,1]
	v_pk_fma_f16 v55, v0, v44, v55 op_sel:[0,1,0]
	v_pk_fma_f16 v57, v0, v45, v57 op_sel_hi:[1,0,1]
	v_pk_fma_f16 v77, v0, v45, v77 op_sel:[0,1,0]
	v_pk_fma_f16 v88, v0, v46, v88 op_sel_hi:[1,0,1]
	v_pk_fma_f16 v0, v0, v46, v89 op_sel:[0,1,0]
	v_pk_fma_f16 v58, v1, v43, v58 op_sel_hi:[1,0,1]
	v_pk_fma_f16 v50, v1, v43, v50 op_sel:[0,1,0]
	v_pk_fma_f16 v54, v1, v44, v54 op_sel_hi:[1,0,1]
	v_pk_fma_f16 v47, v1, v44, v47 op_sel:[0,1,0]
	v_pk_fma_f16 v51, v1, v45, v51 op_sel_hi:[1,0,1]
	v_pk_fma_f16 v48, v1, v45, v48 op_sel:[0,1,0]
	v_pk_fma_f16 v52, v1, v46, v52 op_sel_hi:[1,0,1]
	v_pk_fma_f16 v1, v1, v46, v90 op_sel:[0,1,0]
	ds_load_b128 v[43:46], v59 offset:26544
	s_waitcnt lgkmcnt(0)
	v_pk_fma_f16 v49, v2, v43, v49 op_sel_hi:[1,0,1]
	v_pk_fma_f16 v56, v2, v43, v56 op_sel:[0,1,0]
	v_pk_fma_f16 v53, v2, v44, v53 op_sel_hi:[1,0,1]
	v_pk_fma_f16 v55, v2, v44, v55 op_sel:[0,1,0]
	v_pk_fma_f16 v57, v2, v45, v57 op_sel_hi:[1,0,1]
	v_pk_fma_f16 v77, v2, v45, v77 op_sel:[0,1,0]
	v_pk_fma_f16 v88, v2, v46, v88 op_sel_hi:[1,0,1]
	v_pk_fma_f16 v89, v2, v46, v0 op_sel:[0,1,0]
	v_pk_fma_f16 v58, v3, v43, v58 op_sel_hi:[1,0,1]
	v_pk_fma_f16 v50, v3, v43, v50 op_sel:[0,1,0]
	v_pk_fma_f16 v54, v3, v44, v54 op_sel_hi:[1,0,1]
	v_pk_fma_f16 v47, v3, v44, v47 op_sel:[0,1,0]
	v_pk_fma_f16 v51, v3, v45, v51 op_sel_hi:[1,0,1]
	v_pk_fma_f16 v48, v3, v45, v48 op_sel:[0,1,0]
	v_pk_fma_f16 v52, v3, v46, v52 op_sel_hi:[1,0,1]
	v_pk_fma_f16 v90, v3, v46, v1 op_sel:[0,1,0]
	ds_load_2addr_b64 v[0:3], v20 offset0:128 offset1:160
	;; [unrolled: 37-line block ×3, first 2 shown]
	ds_load_b128 v[43:46], v59 offset:26592
	s_waitcnt lgkmcnt(0)
	v_pk_fma_f16 v20, v0, v43, v49 op_sel_hi:[1,0,1]
	v_pk_fma_f16 v49, v0, v43, v56 op_sel:[0,1,0]
	v_pk_fma_f16 v53, v0, v44, v53 op_sel_hi:[1,0,1]
	v_pk_fma_f16 v56, v0, v44, v55 op_sel:[0,1,0]
	;; [unrolled: 2-line block ×8, first 2 shown]
	ds_load_b128 v[88:91], v59 offset:26608
	s_waitcnt lgkmcnt(0)
	s_barrier
	buffer_gl0_inv
	v_pk_fma_f16 v57, v2, v88, v20 op_sel_hi:[1,0,1]
	v_pk_fma_f16 v55, v2, v88, v49 op_sel:[0,1,0]
	v_pk_fma_f16 v53, v2, v89, v53 op_sel_hi:[1,0,1]
	v_pk_fma_f16 v51, v2, v89, v56 op_sel:[0,1,0]
	;; [unrolled: 2-line block ×8, first 2 shown]
	v_dual_add_f32 v1, v8, v75 :: v_dual_add_f32 v2, v6, v74
	v_add_f32_e32 v3, v7, v71
	v_add_f32_e32 v6, v4, v67
	v_dual_add_f32 v7, v24, v61 :: v_dual_add_f32 v4, v18, v60
	s_delay_alu instid0(VALU_DEP_4) | instskip(NEXT) | instid1(VALU_DEP_4)
	v_dual_add_f32 v0, v17, v76 :: v_dual_fmac_f32 v1, v63, v22
	v_dual_fmac_f32 v2, v65, v23 :: v_dual_fmac_f32 v3, v66, v70
	s_delay_alu instid0(VALU_DEP_4) | instskip(NEXT) | instid1(VALU_DEP_4)
	v_fmac_f32_e32 v6, v69, v85
	v_dual_fmac_f32 v7, v73, v86 :: v_dual_fmac_f32 v4, v72, v87
	s_delay_alu instid0(VALU_DEP_4) | instskip(NEXT) | instid1(VALU_DEP_3)
	v_fmac_f32_e32 v0, v62, v21
	v_dual_mov_b32 v66, v3 :: v_dual_mov_b32 v69, v6
	s_delay_alu instid0(VALU_DEP_3)
	v_mov_b32_e32 v73, v7
	v_mov_b32_e32 v65, v2
	v_dual_mov_b32 v63, v1 :: v_dual_mov_b32 v72, v4
	v_dual_mov_b32 v1, v9 :: v_dual_mov_b32 v62, v0
	;; [unrolled: 1-line block ×6, first 2 shown]
.LBB52_127:
	v_cmp_lt_i32_e32 vcc_lo, v83, v80
	s_cmp_eq_u64 s[24:25], 0
	s_cselect_b32 s0, -1, 0
	s_cmp_lg_u32 s14, 0
	v_cndmask_b32_e32 v0, v9, v83, vcc_lo
	v_cmp_lt_i32_e32 vcc_lo, v82, v80
	s_cselect_b32 s1, -1, 0
	s_delay_alu instid0(SALU_CYCLE_1) | instskip(SKIP_2) | instid1(VALU_DEP_2)
	s_or_b32 s0, s1, s0
	v_cndmask_b32_e32 v17, v9, v82, vcc_lo
	v_cmp_lt_i32_e32 vcc_lo, v81, v80
	v_lshlrev_b32_e32 v17, 2, v17
	v_dual_cndmask_b32 v59, v9, v81 :: v_dual_lshlrev_b32 v0, 2, v0
	v_cmp_lt_i32_e32 vcc_lo, v79, v80
	ds_bpermute_b32 v11, v0, v63
	v_lshlrev_b32_e32 v59, 2, v59
	s_waitcnt lgkmcnt(0)
	v_add_f32_e32 v11, v63, v11
	ds_bpermute_b32 v10, v0, v62
	ds_bpermute_b32 v14, v0, v68
	;; [unrolled: 1-line block ×8, first 2 shown]
	s_waitcnt lgkmcnt(7)
	v_add_f32_e32 v10, v62, v10
	s_waitcnt lgkmcnt(6)
	v_add_f32_e32 v14, v68, v14
	s_waitcnt lgkmcnt(4)
	v_dual_add_f32 v12, v65, v12 :: v_dual_add_f32 v13, v66, v13
	s_waitcnt lgkmcnt(3)
	v_add_f32_e32 v15, v69, v15
	s_waitcnt lgkmcnt(2)
	v_add_f32_e32 v16, v73, v16
	;; [unrolled: 2-line block ×3, first 2 shown]
	ds_bpermute_b32 v18, v17, v10
	ds_bpermute_b32 v22, v17, v14
	ds_bpermute_b32 v20, v17, v12
	ds_bpermute_b32 v21, v17, v13
	ds_bpermute_b32 v23, v17, v15
	ds_bpermute_b32 v24, v17, v16
	ds_bpermute_b32 v17, v17, v0
	s_waitcnt lgkmcnt(6)
	v_dual_add_f32 v11, v11, v19 :: v_dual_add_f32 v10, v10, v18
	s_waitcnt lgkmcnt(5)
	v_add_f32_e32 v14, v14, v22
	s_waitcnt lgkmcnt(3)
	v_dual_add_f32 v12, v12, v20 :: v_dual_add_f32 v13, v13, v21
	s_waitcnt lgkmcnt(1)
	v_dual_add_f32 v15, v15, v23 :: v_dual_add_f32 v16, v16, v24
	s_waitcnt lgkmcnt(0)
	v_add_f32_e32 v0, v0, v17
	ds_bpermute_b32 v17, v59, v10
	ds_bpermute_b32 v21, v59, v14
	;; [unrolled: 1-line block ×8, first 2 shown]
	v_cndmask_b32_e32 v59, v9, v79, vcc_lo
	v_cmp_lt_i32_e32 vcc_lo, v78, v80
	s_delay_alu instid0(VALU_DEP_2) | instskip(SKIP_2) | instid1(VALU_DEP_1)
	v_lshlrev_b32_e32 v59, 2, v59
	v_cndmask_b32_e32 v9, v9, v78, vcc_lo
	s_and_b32 vcc_lo, exec_lo, s0
	v_lshlrev_b32_e32 v9, 2, v9
	s_waitcnt lgkmcnt(7)
	v_add_f32_e32 v10, v10, v17
	s_waitcnt lgkmcnt(5)
	v_dual_add_f32 v14, v14, v21 :: v_dual_add_f32 v11, v11, v18
	s_waitcnt lgkmcnt(3)
	v_dual_add_f32 v12, v12, v19 :: v_dual_add_f32 v13, v13, v20
	;; [unrolled: 2-line block ×3, first 2 shown]
	s_waitcnt lgkmcnt(0)
	v_add_f32_e32 v0, v0, v24
	ds_bpermute_b32 v17, v59, v10
	ds_bpermute_b32 v21, v59, v14
	;; [unrolled: 1-line block ×8, first 2 shown]
	s_waitcnt lgkmcnt(7)
	v_add_f32_e32 v10, v10, v17
	s_waitcnt lgkmcnt(5)
	v_dual_add_f32 v14, v14, v21 :: v_dual_add_f32 v11, v11, v18
	s_waitcnt lgkmcnt(3)
	v_dual_add_f32 v12, v12, v19 :: v_dual_add_f32 v13, v13, v20
	s_waitcnt lgkmcnt(2)
	v_add_f32_e32 v15, v15, v22
	ds_bpermute_b32 v17, v9, v10
	s_waitcnt lgkmcnt(2)
	v_add_f32_e32 v16, v16, v23
	ds_bpermute_b32 v21, v9, v14
	;; [unrolled: 3-line block ×3, first 2 shown]
	ds_bpermute_b32 v19, v9, v12
	ds_bpermute_b32 v20, v9, v13
	;; [unrolled: 1-line block ×5, first 2 shown]
	s_waitcnt lgkmcnt(5)
	v_dual_add_f32 v9, v10, v17 :: v_dual_add_f32 v10, v11, v18
	s_waitcnt lgkmcnt(3)
	v_dual_add_f32 v11, v12, v19 :: v_dual_add_f32 v12, v13, v20
	;; [unrolled: 2-line block ×3, first 2 shown]
	s_waitcnt lgkmcnt(1)
	v_add_f32_e32 v15, v16, v23
	s_waitcnt lgkmcnt(0)
	v_add_f32_e32 v16, v0, v24
	s_cbranch_vccnz .LBB52_130
; %bb.128:
	s_lshl_b64 s[0:1], s[34:35], 2
	v_dual_mov_b32 v0, 0 :: v_dual_max_f32 v17, v1, v1
	s_add_u32 s0, s24, s0
	s_addc_u32 s1, s25, s1
	v_dual_max_f32 v18, v2, v2 :: v_dual_max_f32 v19, v3, v3
	global_load_b32 v0, v0, s[0:1]
	v_dual_max_f32 v20, v4, v4 :: v_dual_max_f32 v23, v6, v6
	s_waitcnt vmcnt(0)
	v_dual_max_f32 v22, v5, v5 :: v_dual_max_f32 v21, v0, v0
	v_max_f32_e32 v24, v7, v7
	s_delay_alu instid0(VALU_DEP_2) | instskip(SKIP_2) | instid1(VALU_DEP_2)
	v_dual_max_f32 v66, v8, v8 :: v_dual_max_f32 v61, v19, v21
	v_max_f32_e32 v59, v17, v21
	v_max_f32_e32 v60, v18, v21
	v_dual_max_f32 v64, v23, v21 :: v_dual_sub_f32 v17, v0, v59
	v_sub_f32_e32 v1, v1, v59
	s_delay_alu instid0(VALU_DEP_3) | instskip(SKIP_2) | instid1(VALU_DEP_3)
	v_dual_max_f32 v63, v22, v21 :: v_dual_sub_f32 v18, v0, v60
	v_max_f32_e32 v62, v20, v21
	v_dual_max_f32 v65, v24, v21 :: v_dual_sub_f32 v2, v2, v60
	v_dual_max_f32 v66, v66, v21 :: v_dual_sub_f32 v21, v0, v63
	v_sub_f32_e32 v5, v5, v63
	s_delay_alu instid0(VALU_DEP_4) | instskip(SKIP_4) | instid1(VALU_DEP_4)
	v_dual_sub_f32 v3, v3, v61 :: v_dual_sub_f32 v4, v4, v62
	v_dual_sub_f32 v22, v0, v64 :: v_dual_mul_f32 v67, 0x3fb8aa3b, v17
	v_dual_mul_f32 v24, 0x3fb8aa3b, v1 :: v_dual_mul_f32 v69, 0x3fb8aa3b, v18
	v_dual_sub_f32 v19, v0, v61 :: v_dual_sub_f32 v6, v6, v64
	v_sub_f32_e32 v8, v8, v66
	v_dual_mul_f32 v72, 0x3fb8aa3b, v4 :: v_dual_mul_f32 v77, 0x3fb8aa3b, v22
	s_delay_alu instid0(VALU_DEP_4) | instskip(SKIP_3) | instid1(VALU_DEP_3)
	v_fma_f32 v88, 0x3fb8aa3b, v18, -v69
	v_rndne_f32_e32 v89, v69
	v_dual_sub_f32 v20, v0, v62 :: v_dual_sub_f32 v7, v7, v65
	v_dual_mul_f32 v71, 0x3fb8aa3b, v19 :: v_dual_mul_f32 v80, 0x3fb8aa3b, v8
	v_sub_f32_e32 v69, v69, v89
	v_fma_f32 v82, 0x3fb8aa3b, v1, -v24
	v_rndne_f32_e32 v83, v24
	v_fma_f32 v84, 0x3fb8aa3b, v17, -v67
	v_rndne_f32_e32 v85, v67
	v_rndne_f32_e32 v105, v77
	v_dual_fmac_f32 v88, 0x32a5705f, v18 :: v_dual_sub_f32 v23, v0, v65
	v_mul_f32_e32 v68, 0x3fb8aa3b, v2
	s_delay_alu instid0(VALU_DEP_4)
	v_dual_mul_f32 v78, 0x3fb8aa3b, v7 :: v_dual_sub_f32 v67, v67, v85
	v_rndne_f32_e32 v93, v71
	v_fma_f32 v104, 0x3fb8aa3b, v22, -v77
	v_dual_sub_f32 v24, v24, v83 :: v_dual_sub_f32 v77, v77, v105
	v_dual_fmac_f32 v84, 0x32a5705f, v17 :: v_dual_add_f32 v69, v69, v88
	v_fmac_f32_e32 v82, 0x32a5705f, v1
	v_dual_sub_f32 v0, v0, v66 :: v_dual_mul_f32 v73, 0x3fb8aa3b, v20
	v_dual_mul_f32 v70, 0x3fb8aa3b, v3 :: v_dual_mul_f32 v75, 0x3fb8aa3b, v21
	v_fma_f32 v86, 0x3fb8aa3b, v2, -v68
	v_rndne_f32_e32 v87, v68
	v_fma_f32 v92, 0x3fb8aa3b, v19, -v71
	v_sub_f32_e32 v71, v71, v93
	v_dual_add_f32 v67, v67, v84 :: v_dual_add_f32 v24, v24, v82
	v_rndne_f32_e32 v97, v73
	v_rndne_f32_e32 v101, v75
	v_fmac_f32_e32 v86, 0x32a5705f, v2
	v_sub_f32_e32 v68, v68, v87
	v_exp_f32_e32 v24, v24
	v_fma_f32 v96, 0x3fb8aa3b, v20, -v73
	v_fma_f32 v100, 0x3fb8aa3b, v21, -v75
	v_sub_f32_e32 v75, v75, v101
	v_cvt_i32_f32_e32 v83, v83
	v_dual_sub_f32 v73, v73, v97 :: v_dual_add_f32 v68, v68, v86
	v_exp_f32_e32 v67, v67
	v_cvt_i32_f32_e32 v85, v85
	v_cmp_ngt_f32_e32 vcc_lo, 0xc2ce8ed0, v1
	s_delay_alu instid0(TRANS32_DEP_2)
	v_ldexp_f32 v24, v24, v83
	v_exp_f32_e32 v68, v68
	v_fma_f32 v94, 0x3fb8aa3b, v4, -v72
	v_cvt_i32_f32_e32 v87, v87
	v_exp_f32_e32 v69, v69
	v_cndmask_b32_e32 v24, 0, v24, vcc_lo
	v_cmp_ngt_f32_e32 vcc_lo, 0xc2ce8ed0, v17
	v_ldexp_f32 v67, v67, v85
	v_dual_mul_f32 v74, 0x3fb8aa3b, v5 :: v_dual_mul_f32 v79, 0x3fb8aa3b, v23
	v_dual_mul_f32 v76, 0x3fb8aa3b, v6 :: v_dual_mul_f32 v81, 0x3fb8aa3b, v0
	v_fma_f32 v90, 0x3fb8aa3b, v3, -v70
	v_rndne_f32_e32 v91, v70
	v_cvt_i32_f32_e32 v89, v89
	v_dual_fmac_f32 v94, 0x32a5705f, v4 :: v_dual_cndmask_b32 v67, 0, v67
	v_ldexp_f32 v68, v68, v87
	v_cmp_ngt_f32_e32 vcc_lo, 0xc2ce8ed0, v2
	v_rndne_f32_e32 v109, v79
	v_rndne_f32_e32 v113, v81
	v_fmac_f32_e32 v90, 0x32a5705f, v3
	v_sub_f32_e32 v70, v70, v91
	v_ldexp_f32 v69, v69, v89
	v_cndmask_b32_e32 v68, 0, v68, vcc_lo
	v_cmp_ngt_f32_e32 vcc_lo, 0xc2ce8ed0, v18
	v_rndne_f32_e32 v95, v72
	v_fma_f32 v108, 0x3fb8aa3b, v23, -v79
	v_fma_f32 v112, 0x3fb8aa3b, v0, -v81
	v_dual_fmac_f32 v96, 0x32a5705f, v20 :: v_dual_cndmask_b32 v69, 0, v69
	v_dual_fmac_f32 v92, 0x32a5705f, v19 :: v_dual_sub_f32 v79, v79, v109
	v_sub_f32_e32 v81, v81, v113
	s_delay_alu instid0(VALU_DEP_3) | instskip(NEXT) | instid1(VALU_DEP_3)
	v_dual_add_f32 v73, v73, v96 :: v_dual_add_f32 v70, v70, v90
	v_dual_sub_f32 v72, v72, v95 :: v_dual_add_f32 v71, v71, v92
	v_cvt_i32_f32_e32 v91, v91
	v_cvt_i32_f32_e32 v93, v93
	s_delay_alu instid0(VALU_DEP_4)
	v_exp_f32_e32 v70, v70
	v_fmac_f32_e32 v108, 0x32a5705f, v23
	v_exp_f32_e32 v71, v71
	v_add_f32_e32 v72, v72, v94
	v_cmp_ngt_f32_e32 vcc_lo, 0xc2ce8ed0, v3
	v_fma_f32 v98, 0x3fb8aa3b, v5, -v74
	v_rndne_f32_e32 v99, v74
	v_dual_fmac_f32 v100, 0x32a5705f, v21 :: v_dual_add_f32 v79, v79, v108
	v_exp_f32_e32 v72, v72
	s_delay_alu instid0(TRANS32_DEP_3) | instskip(SKIP_1) | instid1(TRANS32_DEP_2)
	v_ldexp_f32 v70, v70, v91
	v_cvt_i32_f32_e32 v95, v95
	v_ldexp_f32 v71, v71, v93
	v_dual_fmac_f32 v98, 0x32a5705f, v5 :: v_dual_add_f32 v75, v75, v100
	s_delay_alu instid0(VALU_DEP_4)
	v_cndmask_b32_e32 v70, 0, v70, vcc_lo
	v_cmp_ngt_f32_e32 vcc_lo, 0xc2ce8ed0, v19
	v_fmac_f32_e32 v104, 0x32a5705f, v22
	v_exp_f32_e32 v73, v73
	v_exp_f32_e32 v79, v79
	v_fma_f32 v102, 0x3fb8aa3b, v6, -v76
	v_cndmask_b32_e32 v71, 0, v71, vcc_lo
	v_dual_sub_f32 v74, v74, v99 :: v_dual_add_f32 v77, v77, v104
	v_rndne_f32_e32 v103, v76
	v_cvt_i32_f32_e32 v97, v97
	v_cvt_i32_f32_e32 v109, v109
	s_delay_alu instid0(VALU_DEP_4)
	v_add_f32_e32 v74, v74, v98
	v_ldexp_f32 v72, v72, v95
	v_cmp_ngt_f32_e32 vcc_lo, 0xc2ce8ed0, v4
	v_ldexp_f32 v73, v73, v97
	v_ldexp_f32 v79, v79, v109
	v_fmac_f32_e32 v112, 0x32a5705f, v0
	v_fmac_f32_e32 v102, 0x32a5705f, v6
	v_exp_f32_e32 v74, v74
	v_cndmask_b32_e32 v72, 0, v72, vcc_lo
	v_cmp_ngt_f32_e32 vcc_lo, 0xc2ce8ed0, v20
	v_sub_f32_e32 v76, v76, v103
	v_cvt_i32_f32_e32 v99, v99
	v_add_f32_e32 v81, v81, v112
	v_exp_f32_e32 v75, v75
	s_delay_alu instid0(VALU_DEP_3) | instskip(SKIP_1) | instid1(TRANS32_DEP_2)
	v_dual_cndmask_b32 v73, 0, v73 :: v_dual_add_f32 v76, v76, v102
	v_cvt_i32_f32_e32 v101, v101
	v_ldexp_f32 v74, v74, v99
	v_cmp_ngt_f32_e32 vcc_lo, 0xc2ce8ed0, v5
	v_fma_f32 v110, 0x3fb8aa3b, v8, -v80
	v_exp_f32_e32 v76, v76
	v_cvt_i32_f32_e32 v103, v103
	v_exp_f32_e32 v77, v77
	v_exp_f32_e32 v81, v81
	v_ldexp_f32 v75, v75, v101
	v_cndmask_b32_e32 v74, 0, v74, vcc_lo
	v_cmp_ngt_f32_e32 vcc_lo, 0xc2ce8ed0, v21
	v_fma_f32 v106, 0x3fb8aa3b, v7, -v78
	v_rndne_f32_e32 v107, v78
	v_cvt_i32_f32_e32 v105, v105
	v_dual_fmac_f32 v110, 0x32a5705f, v8 :: v_dual_cndmask_b32 v75, 0, v75
	v_cvt_i32_f32_e32 v113, v113
	v_ldexp_f32 v76, v76, v103
	v_cmp_ngt_f32_e32 vcc_lo, 0xc2ce8ed0, v6
	v_ldexp_f32 v77, v77, v105
	v_rndne_f32_e32 v111, v80
	v_ldexp_f32 v81, v81, v113
	v_sub_f32_e32 v78, v78, v107
	v_cndmask_b32_e32 v76, 0, v76, vcc_lo
	v_cmp_ngt_f32_e32 vcc_lo, 0xc2ce8ed0, v22
	v_fmac_f32_e32 v106, 0x32a5705f, v7
	v_sub_f32_e32 v80, v80, v111
	v_cvt_i32_f32_e32 v107, v107
	v_cvt_i32_f32_e32 v111, v111
	s_delay_alu instid0(VALU_DEP_4) | instskip(NEXT) | instid1(VALU_DEP_4)
	v_dual_cndmask_b32 v77, 0, v77 :: v_dual_add_f32 v78, v78, v106
	v_add_f32_e32 v80, v80, v110
	v_cmp_ngt_f32_e32 vcc_lo, 0xc2ce8ed0, v7
	s_delay_alu instid0(VALU_DEP_3) | instskip(NEXT) | instid1(VALU_DEP_2)
	v_exp_f32_e32 v78, v78
	v_exp_f32_e32 v80, v80
	s_waitcnt_depctr 0xfff
	v_ldexp_f32 v78, v78, v107
	v_ldexp_f32 v80, v80, v111
	s_delay_alu instid0(VALU_DEP_2)
	v_cndmask_b32_e32 v78, 0, v78, vcc_lo
	v_cmp_ngt_f32_e32 vcc_lo, 0xc2ce8ed0, v23
	v_cndmask_b32_e32 v79, 0, v79, vcc_lo
	v_cmp_ngt_f32_e32 vcc_lo, 0xc2ce8ed0, v8
	;; [unrolled: 2-line block ×3, first 2 shown]
	v_cndmask_b32_e32 v81, 0, v81, vcc_lo
	v_cmp_nlt_f32_e32 vcc_lo, 0x42b17218, v1
	v_cndmask_b32_e32 v1, 0x7f800000, v24, vcc_lo
	v_cmp_nlt_f32_e32 vcc_lo, 0x42b17218, v17
	;; [unrolled: 2-line block ×3, first 2 shown]
	s_delay_alu instid0(VALU_DEP_2) | instskip(SKIP_3) | instid1(VALU_DEP_2)
	v_dual_fmac_f32 v17, v9, v1 :: v_dual_cndmask_b32 v2, 0x7f800000, v68
	v_cmp_nlt_f32_e32 vcc_lo, 0x42b17218, v18
	v_cndmask_b32_e32 v18, 0x7f800000, v69, vcc_lo
	v_cmp_nlt_f32_e32 vcc_lo, 0x42b17218, v3
	v_fmac_f32_e32 v18, v10, v2
	v_cndmask_b32_e32 v3, 0x7f800000, v70, vcc_lo
	v_cmp_nlt_f32_e32 vcc_lo, 0x42b17218, v19
	v_cndmask_b32_e32 v19, 0x7f800000, v71, vcc_lo
	v_cmp_nlt_f32_e32 vcc_lo, 0x42b17218, v4
	;; [unrolled: 2-line block ×4, first 2 shown]
	s_delay_alu instid0(VALU_DEP_2)
	v_dual_fmac_f32 v20, v12, v4 :: v_dual_cndmask_b32 v5, 0x7f800000, v74
	v_cmp_nlt_f32_e32 vcc_lo, 0x42b17218, v21
	v_fmac_f32_e32 v19, v11, v3
	v_cndmask_b32_e32 v21, 0x7f800000, v75, vcc_lo
	v_cmp_nlt_f32_e32 vcc_lo, 0x42b17218, v6
	v_cndmask_b32_e32 v6, 0x7f800000, v76, vcc_lo
	v_cmp_nlt_f32_e32 vcc_lo, 0x42b17218, v22
	;; [unrolled: 2-line block ×3, first 2 shown]
	s_delay_alu instid0(VALU_DEP_2) | instskip(SKIP_4) | instid1(VALU_DEP_2)
	v_fmac_f32_e32 v22, v14, v6
	v_cndmask_b32_e32 v7, 0x7f800000, v78, vcc_lo
	v_cmp_nlt_f32_e32 vcc_lo, 0x42b17218, v23
	v_cndmask_b32_e32 v23, 0x7f800000, v79, vcc_lo
	v_cmp_nlt_f32_e32 vcc_lo, 0x42b17218, v8
	v_dual_fmac_f32 v23, v15, v7 :: v_dual_cndmask_b32 v8, 0x7f800000, v80
	v_cmp_nlt_f32_e32 vcc_lo, 0x42b17218, v0
	v_cvt_f16_f32_e32 v0, v1
	v_cvt_f16_f32_e32 v1, v2
	;; [unrolled: 1-line block ×4, first 2 shown]
	v_cndmask_b32_e32 v24, 0x7f800000, v81, vcc_lo
	v_pk_mul_f16 v57, v0, v57 op_sel_hi:[0,1]
	v_pk_mul_f16 v55, v1, v55 op_sel_hi:[0,1]
	;; [unrolled: 1-line block ×4, first 2 shown]
	v_dual_fmac_f32 v24, v16, v8 :: v_dual_fmac_f32 v21, v13, v5
	v_dual_mov_b32 v9, v17 :: v_dual_mov_b32 v10, v18
	v_cvt_f16_f32_e32 v4, v5
	v_cvt_f16_f32_e32 v5, v6
	;; [unrolled: 1-line block ×4, first 2 shown]
	v_pk_mul_f16 v54, v2, v54 op_sel_hi:[0,1]
	v_pk_mul_f16 v51, v3, v51 op_sel_hi:[0,1]
	;; [unrolled: 1-line block ×11, first 2 shown]
	v_mov_b32_e32 v1, v59
	v_pk_mul_f16 v58, v0, v58 op_sel_hi:[0,1]
	v_dual_mov_b32 v11, v19 :: v_dual_mov_b32 v12, v20
	v_dual_mov_b32 v13, v21 :: v_dual_mov_b32 v14, v22
	;; [unrolled: 1-line block ×6, first 2 shown]
	v_mov_b32_e32 v8, v66
	s_mov_b32 s0, exec_lo
	v_cmpx_gt_i32_e64 s38, v26
	s_cbranch_execnz .LBB52_131
.LBB52_129:
	s_nop 0
	s_sendmsg sendmsg(MSG_DEALLOC_VGPRS)
	s_endpgm
.LBB52_130:
	v_dual_mov_b32 v17, v9 :: v_dual_mov_b32 v18, v10
	v_dual_mov_b32 v19, v11 :: v_dual_mov_b32 v20, v12
	;; [unrolled: 1-line block ×4, first 2 shown]
	s_mov_b32 s0, exec_lo
	v_cmpx_gt_i32_e64 s38, v26
	s_cbranch_execz .LBB52_129
.LBB52_131:
	s_load_b32 s1, s[2:3], 0xd4
	v_mov_b32_e32 v0, 1.0
	s_waitcnt lgkmcnt(0)
	s_cmp_lg_u32 s1, 1
	s_cselect_b32 s4, -1, 0
	s_cmp_eq_u32 s1, 1
	s_cselect_b32 s3, -1, 0
	s_and_b32 vcc_lo, exec_lo, s4
	s_cbranch_vccnz .LBB52_133
; %bb.132:
	v_div_scale_f32 v0, null, v17, v17, 1.0
	s_delay_alu instid0(VALU_DEP_1) | instskip(SKIP_2) | instid1(VALU_DEP_1)
	v_rcp_f32_e32 v26, v0
	s_waitcnt_depctr 0xfff
	v_fma_f32 v59, -v0, v26, 1.0
	v_fmac_f32_e32 v26, v59, v26
	v_div_scale_f32 v59, vcc_lo, 1.0, v17, 1.0
	s_delay_alu instid0(VALU_DEP_1) | instskip(NEXT) | instid1(VALU_DEP_1)
	v_mul_f32_e32 v60, v59, v26
	v_fma_f32 v61, -v0, v60, v59
	s_delay_alu instid0(VALU_DEP_1) | instskip(NEXT) | instid1(VALU_DEP_1)
	v_fmac_f32_e32 v60, v61, v26
	v_fma_f32 v0, -v0, v60, v59
	s_delay_alu instid0(VALU_DEP_1) | instskip(NEXT) | instid1(VALU_DEP_1)
	v_div_fmas_f32 v0, v0, v26, v60
	v_div_fixup_f32 v0, v0, v17, 1.0
.LBB52_133:
	s_mul_i32 s2, s33, s38
	v_cmp_eq_u32_e32 vcc_lo, 0, v41
	s_add_i32 s2, s2, s22
	v_cvt_f32_f16_e32 v41, v57
	v_add_nc_u32_e32 v17, s2, v25
	s_delay_alu instid0(VALU_DEP_1) | instskip(SKIP_3) | instid1(VALU_DEP_2)
	v_mad_u64_u32 v[59:60], null, v17, s39, s[34:35]
	v_mov_b32_e32 v60, 0
	v_lshrrev_b32_e32 v17, 16, v57
	v_mul_f32_e32 v57, v0, v41
	v_cvt_f32_f16_e32 v17, v17
	v_mad_u64_u32 v[25:26], null, s1, v59, s[14:15]
	v_lshrrev_b32_e32 v26, 16, v58
	v_cvt_f32_f16_e32 v58, v58
	s_delay_alu instid0(VALU_DEP_2) | instskip(NEXT) | instid1(VALU_DEP_4)
	v_cvt_f32_f16_e32 v26, v26
	v_lshl_add_u32 v59, v25, 7, v34
	s_delay_alu instid0(VALU_DEP_1) | instskip(NEXT) | instid1(VALU_DEP_4)
	v_lshlrev_b64 v[61:62], 2, v[59:60]
	v_mul_f32_e32 v59, v0, v58
	v_mul_f32_e32 v58, v0, v17
	;; [unrolled: 1-line block ×3, first 2 shown]
	s_delay_alu instid0(VALU_DEP_4) | instskip(NEXT) | instid1(VALU_DEP_1)
	v_add_co_u32 v61, s0, s28, v61
	v_add_co_ci_u32_e64 v62, s0, s29, v62, s0
	s_and_b32 s0, vcc_lo, s4
	global_store_b128 v[61:62], v[57:60], off
	s_and_saveexec_b32 s4, s0
	s_cbranch_execz .LBB52_135
; %bb.134:
	v_ashrrev_i32_e32 v26, 31, v25
	v_mov_b32_e32 v0, v1
	v_mov_b32_e32 v1, v9
	s_delay_alu instid0(VALU_DEP_3) | instskip(NEXT) | instid1(VALU_DEP_1)
	v_lshlrev_b64 v[25:26], 3, v[25:26]
	v_add_co_u32 v25, vcc_lo, s30, v25
	s_delay_alu instid0(VALU_DEP_2)
	v_add_co_ci_u32_e32 v26, vcc_lo, s31, v26, vcc_lo
	global_store_b64 v[25:26], v[0:1], off
.LBB52_135:
	s_or_b32 exec_lo, exec_lo, s4
	v_cmp_gt_i32_e32 vcc_lo, s38, v42
	s_and_b32 exec_lo, exec_lo, vcc_lo
	s_cbranch_execz .LBB52_129
; %bb.136:
	v_cndmask_b32_e64 v17, 0, 1, s3
	v_mov_b32_e32 v9, 1.0
	s_and_not1_b32 vcc_lo, exec_lo, s3
	s_cbranch_vccnz .LBB52_138
; %bb.137:
	v_div_scale_f32 v0, null, v18, v18, 1.0
	s_delay_alu instid0(VALU_DEP_1) | instskip(SKIP_2) | instid1(VALU_DEP_1)
	v_rcp_f32_e32 v1, v0
	s_waitcnt_depctr 0xfff
	v_fma_f32 v9, -v0, v1, 1.0
	v_fmac_f32_e32 v1, v9, v1
	v_div_scale_f32 v9, vcc_lo, 1.0, v18, 1.0
	s_delay_alu instid0(VALU_DEP_1) | instskip(NEXT) | instid1(VALU_DEP_1)
	v_mul_f32_e32 v25, v9, v1
	v_fma_f32 v26, -v0, v25, v9
	s_delay_alu instid0(VALU_DEP_1) | instskip(NEXT) | instid1(VALU_DEP_1)
	v_fmac_f32_e32 v25, v26, v1
	v_fma_f32 v0, -v0, v25, v9
	s_delay_alu instid0(VALU_DEP_1) | instskip(NEXT) | instid1(VALU_DEP_1)
	v_div_fmas_f32 v0, v0, v1, v25
	v_div_fixup_f32 v9, v0, v18, 1.0
.LBB52_138:
	v_cvt_f32_f16_e32 v41, v56
	v_add_nc_u32_e32 v0, s2, v39
	v_cvt_f32_f16_e32 v39, v55
	v_lshrrev_b32_e32 v18, 16, v56
	s_delay_alu instid0(VALU_DEP_4) | instskip(NEXT) | instid1(VALU_DEP_4)
	v_mul_f32_e32 v57, v9, v41
	v_mad_u64_u32 v[25:26], null, v0, s39, s[34:35]
	v_mov_b32_e32 v26, 0
	s_delay_alu instid0(VALU_DEP_4) | instskip(NEXT) | instid1(VALU_DEP_1)
	v_cvt_f32_f16_e32 v18, v18
	v_mul_f32_e32 v58, v9, v18
	s_delay_alu instid0(VALU_DEP_4) | instskip(SKIP_2) | instid1(VALU_DEP_2)
	v_mad_u64_u32 v[0:1], null, s1, v25, s[14:15]
	v_lshrrev_b32_e32 v1, 16, v55
	v_mul_f32_e32 v55, v9, v39
	v_cvt_f32_f16_e32 v1, v1
	s_delay_alu instid0(VALU_DEP_4) | instskip(NEXT) | instid1(VALU_DEP_2)
	v_lshl_add_u32 v25, v0, 7, v34
	v_mul_f32_e32 v56, v9, v1
	s_delay_alu instid0(VALU_DEP_2) | instskip(NEXT) | instid1(VALU_DEP_1)
	v_lshlrev_b64 v[25:26], 2, v[25:26]
	v_add_co_u32 v25, vcc_lo, s28, v25
	s_delay_alu instid0(VALU_DEP_2)
	v_add_co_ci_u32_e32 v26, vcc_lo, s29, v26, vcc_lo
	global_store_b128 v[25:26], v[55:58], off
	s_and_saveexec_b32 s3, s0
	s_cbranch_execz .LBB52_140
; %bb.139:
	v_ashrrev_i32_e32 v1, 31, v0
	v_mov_b32_e32 v9, v2
	s_delay_alu instid0(VALU_DEP_2) | instskip(NEXT) | instid1(VALU_DEP_1)
	v_lshlrev_b64 v[0:1], 3, v[0:1]
	v_add_co_u32 v0, vcc_lo, s30, v0
	s_delay_alu instid0(VALU_DEP_2)
	v_add_co_ci_u32_e32 v1, vcc_lo, s31, v1, vcc_lo
	global_store_b64 v[0:1], v[9:10], off
.LBB52_140:
	s_or_b32 exec_lo, exec_lo, s3
	v_cmp_gt_i32_e32 vcc_lo, s38, v40
	s_and_b32 exec_lo, exec_lo, vcc_lo
	s_cbranch_execz .LBB52_129
; %bb.141:
	v_cmp_ne_u32_e32 vcc_lo, 1, v17
	v_mov_b32_e32 v2, 1.0
	s_cbranch_vccnz .LBB52_143
; %bb.142:
	v_div_scale_f32 v0, null, v19, v19, 1.0
	s_delay_alu instid0(VALU_DEP_1) | instskip(SKIP_2) | instid1(VALU_DEP_1)
	v_rcp_f32_e32 v1, v0
	s_waitcnt_depctr 0xfff
	v_fma_f32 v2, -v0, v1, 1.0
	v_fmac_f32_e32 v1, v2, v1
	v_div_scale_f32 v2, vcc_lo, 1.0, v19, 1.0
	s_delay_alu instid0(VALU_DEP_1) | instskip(NEXT) | instid1(VALU_DEP_1)
	v_mul_f32_e32 v9, v2, v1
	v_fma_f32 v10, -v0, v9, v2
	s_delay_alu instid0(VALU_DEP_1) | instskip(NEXT) | instid1(VALU_DEP_1)
	v_fmac_f32_e32 v9, v10, v1
	v_fma_f32 v0, -v0, v9, v2
	s_delay_alu instid0(VALU_DEP_1) | instskip(NEXT) | instid1(VALU_DEP_1)
	v_div_fmas_f32 v0, v0, v1, v9
	v_div_fixup_f32 v2, v0, v19, 1.0
.LBB52_143:
	v_cvt_f32_f16_e32 v19, v53
	v_add_nc_u32_e32 v0, s2, v37
	v_cvt_f32_f16_e32 v25, v54
	v_lshrrev_b32_e32 v18, 16, v54
	s_delay_alu instid0(VALU_DEP_4) | instskip(NEXT) | instid1(VALU_DEP_4)
	v_mul_f32_e32 v39, v2, v19
	v_mad_u64_u32 v[9:10], null, v0, s39, s[34:35]
	s_delay_alu instid0(VALU_DEP_4) | instskip(NEXT) | instid1(VALU_DEP_4)
	v_dual_mov_b32 v10, 0 :: v_dual_mul_f32 v41, v2, v25
	v_cvt_f32_f16_e32 v18, v18
	s_delay_alu instid0(VALU_DEP_3) | instskip(SKIP_1) | instid1(VALU_DEP_3)
	v_mad_u64_u32 v[0:1], null, s1, v9, s[14:15]
	v_lshrrev_b32_e32 v1, 16, v53
	v_mul_f32_e32 v42, v2, v18
	s_delay_alu instid0(VALU_DEP_2) | instskip(NEXT) | instid1(VALU_DEP_4)
	v_cvt_f32_f16_e32 v1, v1
	v_lshl_add_u32 v9, v0, 7, v34
	s_delay_alu instid0(VALU_DEP_2) | instskip(NEXT) | instid1(VALU_DEP_2)
	v_mul_f32_e32 v40, v2, v1
	v_lshlrev_b64 v[9:10], 2, v[9:10]
	s_delay_alu instid0(VALU_DEP_1) | instskip(NEXT) | instid1(VALU_DEP_2)
	v_add_co_u32 v1, vcc_lo, s28, v9
	v_add_co_ci_u32_e32 v2, vcc_lo, s29, v10, vcc_lo
	global_store_b128 v[1:2], v[39:42], off
	s_and_saveexec_b32 s3, s0
	s_cbranch_execz .LBB52_145
; %bb.144:
	v_ashrrev_i32_e32 v1, 31, v0
	v_mov_b32_e32 v10, v3
	s_delay_alu instid0(VALU_DEP_2) | instskip(NEXT) | instid1(VALU_DEP_1)
	v_lshlrev_b64 v[0:1], 3, v[0:1]
	v_add_co_u32 v0, vcc_lo, s30, v0
	s_delay_alu instid0(VALU_DEP_2)
	v_add_co_ci_u32_e32 v1, vcc_lo, s31, v1, vcc_lo
	global_store_b64 v[0:1], v[10:11], off
.LBB52_145:
	s_or_b32 exec_lo, exec_lo, s3
	v_cmp_gt_i32_e32 vcc_lo, s38, v38
	s_and_b32 exec_lo, exec_lo, vcc_lo
	s_cbranch_execz .LBB52_129
; %bb.146:
	v_cmp_ne_u32_e32 vcc_lo, 1, v17
	v_mov_b32_e32 v2, 1.0
	s_cbranch_vccnz .LBB52_148
; %bb.147:
	v_div_scale_f32 v0, null, v20, v20, 1.0
	s_delay_alu instid0(VALU_DEP_1) | instskip(SKIP_2) | instid1(VALU_DEP_1)
	v_rcp_f32_e32 v1, v0
	s_waitcnt_depctr 0xfff
	v_fma_f32 v2, -v0, v1, 1.0
	v_fmac_f32_e32 v1, v2, v1
	v_div_scale_f32 v2, vcc_lo, 1.0, v20, 1.0
	s_delay_alu instid0(VALU_DEP_1) | instskip(NEXT) | instid1(VALU_DEP_1)
	v_mul_f32_e32 v3, v2, v1
	v_fma_f32 v9, -v0, v3, v2
	s_delay_alu instid0(VALU_DEP_1) | instskip(NEXT) | instid1(VALU_DEP_1)
	v_fmac_f32_e32 v3, v9, v1
	v_fma_f32 v0, -v0, v3, v2
	s_delay_alu instid0(VALU_DEP_1) | instskip(NEXT) | instid1(VALU_DEP_1)
	v_div_fmas_f32 v0, v0, v1, v3
	v_div_fixup_f32 v2, v0, v20, 1.0
.LBB52_148:
	v_cvt_f32_f16_e32 v18, v52
	v_add_nc_u32_e32 v0, s2, v35
	v_cvt_f32_f16_e32 v11, v51
	v_lshrrev_b32_e32 v3, 16, v52
	s_delay_alu instid0(VALU_DEP_4) | instskip(NEXT) | instid1(VALU_DEP_4)
	v_mul_f32_e32 v39, v2, v18
	v_mad_u64_u32 v[9:10], null, v0, s39, s[34:35]
	s_delay_alu instid0(VALU_DEP_4) | instskip(NEXT) | instid1(VALU_DEP_4)
	v_dual_mov_b32 v10, 0 :: v_dual_mul_f32 v37, v2, v11
	v_cvt_f32_f16_e32 v3, v3
	s_delay_alu instid0(VALU_DEP_3) | instskip(SKIP_1) | instid1(VALU_DEP_3)
	v_mad_u64_u32 v[0:1], null, s1, v9, s[14:15]
	v_lshrrev_b32_e32 v1, 16, v51
	v_mul_f32_e32 v40, v2, v3
	s_delay_alu instid0(VALU_DEP_2) | instskip(NEXT) | instid1(VALU_DEP_4)
	v_cvt_f32_f16_e32 v1, v1
	v_lshl_add_u32 v9, v0, 7, v34
	s_delay_alu instid0(VALU_DEP_2) | instskip(NEXT) | instid1(VALU_DEP_2)
	v_mul_f32_e32 v38, v2, v1
	v_lshlrev_b64 v[9:10], 2, v[9:10]
	s_delay_alu instid0(VALU_DEP_1) | instskip(NEXT) | instid1(VALU_DEP_2)
	v_add_co_u32 v1, vcc_lo, s28, v9
	v_add_co_ci_u32_e32 v2, vcc_lo, s29, v10, vcc_lo
	global_store_b128 v[1:2], v[37:40], off
	s_and_saveexec_b32 s3, s0
	s_cbranch_execz .LBB52_150
; %bb.149:
	v_ashrrev_i32_e32 v1, 31, v0
	v_mov_b32_e32 v11, v4
	s_delay_alu instid0(VALU_DEP_2) | instskip(NEXT) | instid1(VALU_DEP_1)
	v_lshlrev_b64 v[0:1], 3, v[0:1]
	v_add_co_u32 v0, vcc_lo, s30, v0
	s_delay_alu instid0(VALU_DEP_2)
	v_add_co_ci_u32_e32 v1, vcc_lo, s31, v1, vcc_lo
	global_store_b64 v[0:1], v[11:12], off
.LBB52_150:
	s_or_b32 exec_lo, exec_lo, s3
	v_cmp_gt_i32_e32 vcc_lo, s38, v36
	s_and_b32 exec_lo, exec_lo, vcc_lo
	s_cbranch_execz .LBB52_129
; %bb.151:
	v_cmp_ne_u32_e32 vcc_lo, 1, v17
	v_mov_b32_e32 v2, 1.0
	s_cbranch_vccnz .LBB52_153
; %bb.152:
	v_div_scale_f32 v0, null, v21, v21, 1.0
	s_delay_alu instid0(VALU_DEP_1) | instskip(SKIP_2) | instid1(VALU_DEP_1)
	v_rcp_f32_e32 v1, v0
	s_waitcnt_depctr 0xfff
	v_fma_f32 v2, -v0, v1, 1.0
	v_fmac_f32_e32 v1, v2, v1
	v_div_scale_f32 v2, vcc_lo, 1.0, v21, 1.0
	s_delay_alu instid0(VALU_DEP_1) | instskip(NEXT) | instid1(VALU_DEP_1)
	v_mul_f32_e32 v3, v2, v1
	v_fma_f32 v4, -v0, v3, v2
	s_delay_alu instid0(VALU_DEP_1) | instskip(NEXT) | instid1(VALU_DEP_1)
	v_fmac_f32_e32 v3, v4, v1
	v_fma_f32 v0, -v0, v3, v2
	s_delay_alu instid0(VALU_DEP_1) | instskip(NEXT) | instid1(VALU_DEP_1)
	v_div_fmas_f32 v0, v0, v1, v3
	v_div_fixup_f32 v2, v0, v21, 1.0
.LBB52_153:
	v_lshrrev_b32_e32 v9, 16, v49
	v_cvt_f32_f16_e32 v10, v50
	v_add_nc_u32_e32 v0, s2, v33
	v_cvt_f32_f16_e32 v11, v49
	s_delay_alu instid0(VALU_DEP_4) | instskip(NEXT) | instid1(VALU_DEP_4)
	v_cvt_f32_f16_e32 v12, v9
	v_mul_f32_e32 v9, v2, v10
	s_delay_alu instid0(VALU_DEP_4) | instskip(NEXT) | instid1(VALU_DEP_4)
	v_mad_u64_u32 v[3:4], null, v0, s39, s[34:35]
	v_dual_mov_b32 v4, 0 :: v_dual_mul_f32 v11, v2, v11
	s_delay_alu instid0(VALU_DEP_4) | instskip(NEXT) | instid1(VALU_DEP_3)
	v_mul_f32_e32 v12, v2, v12
	v_mad_u64_u32 v[0:1], null, s1, v3, s[14:15]
	v_lshrrev_b32_e32 v1, 16, v50
	s_delay_alu instid0(VALU_DEP_1) | instskip(NEXT) | instid1(VALU_DEP_3)
	v_cvt_f32_f16_e32 v1, v1
	v_lshl_add_u32 v3, v0, 7, v34
	s_delay_alu instid0(VALU_DEP_2) | instskip(NEXT) | instid1(VALU_DEP_2)
	v_mul_f32_e32 v10, v2, v1
	v_lshlrev_b64 v[3:4], 2, v[3:4]
	s_delay_alu instid0(VALU_DEP_1) | instskip(NEXT) | instid1(VALU_DEP_2)
	v_add_co_u32 v1, vcc_lo, s28, v3
	v_add_co_ci_u32_e32 v2, vcc_lo, s29, v4, vcc_lo
	global_store_b128 v[1:2], v[9:12], off
	s_and_saveexec_b32 s3, s0
	s_cbranch_execz .LBB52_155
; %bb.154:
	v_ashrrev_i32_e32 v1, 31, v0
	v_mov_b32_e32 v12, v5
	s_delay_alu instid0(VALU_DEP_2) | instskip(NEXT) | instid1(VALU_DEP_1)
	v_lshlrev_b64 v[0:1], 3, v[0:1]
	v_add_co_u32 v0, vcc_lo, s30, v0
	s_delay_alu instid0(VALU_DEP_2)
	v_add_co_ci_u32_e32 v1, vcc_lo, s31, v1, vcc_lo
	global_store_b64 v[0:1], v[12:13], off
.LBB52_155:
	s_or_b32 exec_lo, exec_lo, s3
	v_cmp_gt_i32_e32 vcc_lo, s38, v32
	s_and_b32 exec_lo, exec_lo, vcc_lo
	s_cbranch_execz .LBB52_129
; %bb.156:
	v_cmp_ne_u32_e32 vcc_lo, 1, v17
	v_mov_b32_e32 v2, 1.0
	s_cbranch_vccnz .LBB52_158
; %bb.157:
	v_div_scale_f32 v0, null, v22, v22, 1.0
	s_delay_alu instid0(VALU_DEP_1) | instskip(SKIP_2) | instid1(VALU_DEP_1)
	v_rcp_f32_e32 v1, v0
	s_waitcnt_depctr 0xfff
	v_fma_f32 v2, -v0, v1, 1.0
	v_fmac_f32_e32 v1, v2, v1
	v_div_scale_f32 v2, vcc_lo, 1.0, v22, 1.0
	s_delay_alu instid0(VALU_DEP_1) | instskip(NEXT) | instid1(VALU_DEP_1)
	v_mul_f32_e32 v3, v2, v1
	v_fma_f32 v4, -v0, v3, v2
	s_delay_alu instid0(VALU_DEP_1) | instskip(NEXT) | instid1(VALU_DEP_1)
	v_fmac_f32_e32 v3, v4, v1
	v_fma_f32 v0, -v0, v3, v2
	s_delay_alu instid0(VALU_DEP_1) | instskip(NEXT) | instid1(VALU_DEP_1)
	v_div_fmas_f32 v0, v0, v1, v3
	v_div_fixup_f32 v2, v0, v22, 1.0
.LBB52_158:
	v_cvt_f32_f16_e32 v9, v47
	v_add_nc_u32_e32 v0, s2, v30
	v_cvt_f32_f16_e32 v10, v48
	v_lshrrev_b32_e32 v5, 16, v48
	s_delay_alu instid0(VALU_DEP_4) | instskip(NEXT) | instid1(VALU_DEP_4)
	v_mul_f32_e32 v9, v2, v9
	v_mad_u64_u32 v[3:4], null, v0, s39, s[34:35]
	s_delay_alu instid0(VALU_DEP_4) | instskip(NEXT) | instid1(VALU_DEP_4)
	v_dual_mov_b32 v4, 0 :: v_dual_mul_f32 v11, v2, v10
	v_cvt_f32_f16_e32 v5, v5
	s_delay_alu instid0(VALU_DEP_3) | instskip(SKIP_1) | instid1(VALU_DEP_3)
	v_mad_u64_u32 v[0:1], null, s1, v3, s[14:15]
	v_lshrrev_b32_e32 v1, 16, v47
	v_mul_f32_e32 v12, v2, v5
	s_delay_alu instid0(VALU_DEP_2) | instskip(NEXT) | instid1(VALU_DEP_4)
	v_cvt_f32_f16_e32 v1, v1
	v_lshl_add_u32 v3, v0, 7, v34
	s_delay_alu instid0(VALU_DEP_2) | instskip(NEXT) | instid1(VALU_DEP_2)
	v_mul_f32_e32 v10, v2, v1
	v_lshlrev_b64 v[3:4], 2, v[3:4]
	s_delay_alu instid0(VALU_DEP_1) | instskip(NEXT) | instid1(VALU_DEP_2)
	v_add_co_u32 v1, vcc_lo, s28, v3
	v_add_co_ci_u32_e32 v2, vcc_lo, s29, v4, vcc_lo
	global_store_b128 v[1:2], v[9:12], off
	s_and_saveexec_b32 s3, s0
	s_cbranch_execz .LBB52_160
; %bb.159:
	v_ashrrev_i32_e32 v1, 31, v0
	v_mov_b32_e32 v13, v6
	s_delay_alu instid0(VALU_DEP_2) | instskip(NEXT) | instid1(VALU_DEP_1)
	v_lshlrev_b64 v[0:1], 3, v[0:1]
	v_add_co_u32 v0, vcc_lo, s30, v0
	s_delay_alu instid0(VALU_DEP_2)
	v_add_co_ci_u32_e32 v1, vcc_lo, s31, v1, vcc_lo
	global_store_b64 v[0:1], v[13:14], off
.LBB52_160:
	s_or_b32 exec_lo, exec_lo, s3
	v_cmp_gt_i32_e32 vcc_lo, s38, v31
	s_and_b32 exec_lo, exec_lo, vcc_lo
	s_cbranch_execz .LBB52_129
; %bb.161:
	v_cmp_ne_u32_e32 vcc_lo, 1, v17
	v_mov_b32_e32 v2, 1.0
	s_cbranch_vccnz .LBB52_163
; %bb.162:
	v_div_scale_f32 v0, null, v23, v23, 1.0
	s_delay_alu instid0(VALU_DEP_1) | instskip(SKIP_2) | instid1(VALU_DEP_1)
	v_rcp_f32_e32 v1, v0
	s_waitcnt_depctr 0xfff
	v_fma_f32 v2, -v0, v1, 1.0
	v_fmac_f32_e32 v1, v2, v1
	v_div_scale_f32 v2, vcc_lo, 1.0, v23, 1.0
	s_delay_alu instid0(VALU_DEP_1) | instskip(NEXT) | instid1(VALU_DEP_1)
	v_mul_f32_e32 v3, v2, v1
	v_fma_f32 v4, -v0, v3, v2
	s_delay_alu instid0(VALU_DEP_1) | instskip(NEXT) | instid1(VALU_DEP_1)
	v_fmac_f32_e32 v3, v4, v1
	v_fma_f32 v0, -v0, v3, v2
	s_delay_alu instid0(VALU_DEP_1) | instskip(NEXT) | instid1(VALU_DEP_1)
	v_div_fmas_f32 v0, v0, v1, v3
	v_div_fixup_f32 v2, v0, v23, 1.0
.LBB52_163:
	v_cvt_f32_f16_e32 v6, v45
	v_add_nc_u32_e32 v0, s2, v29
	v_lshrrev_b32_e32 v5, 16, v46
	v_cvt_f32_f16_e32 v11, v46
	s_delay_alu instid0(VALU_DEP_3) | instskip(SKIP_1) | instid1(VALU_DEP_4)
	v_mad_u64_u32 v[3:4], null, v0, s39, s[34:35]
	v_mov_b32_e32 v4, 0
	v_cvt_f32_f16_e32 v12, v5
	s_delay_alu instid0(VALU_DEP_4) | instskip(NEXT) | instid1(VALU_DEP_4)
	v_mul_f32_e32 v5, v2, v11
	v_mad_u64_u32 v[0:1], null, s1, v3, s[14:15]
	v_lshrrev_b32_e32 v1, 16, v45
	s_delay_alu instid0(VALU_DEP_1) | instskip(NEXT) | instid1(VALU_DEP_3)
	v_cvt_f32_f16_e32 v1, v1
	v_lshl_add_u32 v3, v0, 7, v34
	s_delay_alu instid0(VALU_DEP_1) | instskip(NEXT) | instid1(VALU_DEP_3)
	v_lshlrev_b64 v[9:10], 2, v[3:4]
	v_mul_f32_e32 v4, v2, v1
	v_mul_f32_e32 v3, v2, v6
	;; [unrolled: 1-line block ×3, first 2 shown]
	s_delay_alu instid0(VALU_DEP_4)
	v_add_co_u32 v1, vcc_lo, s28, v9
	v_add_co_ci_u32_e32 v2, vcc_lo, s29, v10, vcc_lo
	global_store_b128 v[1:2], v[3:6], off
	s_and_saveexec_b32 s3, s0
	s_cbranch_execz .LBB52_165
; %bb.164:
	v_ashrrev_i32_e32 v1, 31, v0
	v_mov_b32_e32 v14, v7
	s_delay_alu instid0(VALU_DEP_2) | instskip(NEXT) | instid1(VALU_DEP_1)
	v_lshlrev_b64 v[0:1], 3, v[0:1]
	v_add_co_u32 v0, vcc_lo, s30, v0
	s_delay_alu instid0(VALU_DEP_2)
	v_add_co_ci_u32_e32 v1, vcc_lo, s31, v1, vcc_lo
	global_store_b64 v[0:1], v[14:15], off
.LBB52_165:
	s_or_b32 exec_lo, exec_lo, s3
	v_cmp_gt_i32_e32 vcc_lo, s38, v28
	s_and_b32 exec_lo, exec_lo, vcc_lo
	s_cbranch_execz .LBB52_129
; %bb.166:
	v_cmp_ne_u32_e32 vcc_lo, 1, v17
	v_mov_b32_e32 v2, 1.0
	s_cbranch_vccnz .LBB52_168
; %bb.167:
	v_div_scale_f32 v0, null, v24, v24, 1.0
	s_delay_alu instid0(VALU_DEP_1) | instskip(SKIP_2) | instid1(VALU_DEP_1)
	v_rcp_f32_e32 v1, v0
	s_waitcnt_depctr 0xfff
	v_fma_f32 v2, -v0, v1, 1.0
	v_fmac_f32_e32 v1, v2, v1
	v_div_scale_f32 v2, vcc_lo, 1.0, v24, 1.0
	s_delay_alu instid0(VALU_DEP_1) | instskip(NEXT) | instid1(VALU_DEP_1)
	v_mul_f32_e32 v3, v2, v1
	v_fma_f32 v4, -v0, v3, v2
	s_delay_alu instid0(VALU_DEP_1) | instskip(NEXT) | instid1(VALU_DEP_1)
	v_fmac_f32_e32 v3, v4, v1
	v_fma_f32 v0, -v0, v3, v2
	s_delay_alu instid0(VALU_DEP_1) | instskip(NEXT) | instid1(VALU_DEP_1)
	v_div_fmas_f32 v0, v0, v1, v3
	v_div_fixup_f32 v2, v0, v24, 1.0
.LBB52_168:
	v_cvt_f32_f16_e32 v6, v44
	v_add_nc_u32_e32 v0, s2, v27
	v_lshrrev_b32_e32 v5, 16, v43
	v_cvt_f32_f16_e32 v7, v43
	s_delay_alu instid0(VALU_DEP_3) | instskip(SKIP_1) | instid1(VALU_DEP_4)
	v_mad_u64_u32 v[3:4], null, v0, s39, s[34:35]
	v_mov_b32_e32 v4, 0
	v_cvt_f32_f16_e32 v11, v5
	s_delay_alu instid0(VALU_DEP_4) | instskip(NEXT) | instid1(VALU_DEP_4)
	v_mul_f32_e32 v5, v2, v7
	v_mad_u64_u32 v[0:1], null, s1, v3, s[14:15]
	v_lshrrev_b32_e32 v1, 16, v44
	s_delay_alu instid0(VALU_DEP_1) | instskip(NEXT) | instid1(VALU_DEP_3)
	v_cvt_f32_f16_e32 v1, v1
	v_lshl_add_u32 v3, v0, 7, v34
	s_delay_alu instid0(VALU_DEP_1) | instskip(NEXT) | instid1(VALU_DEP_3)
	v_lshlrev_b64 v[9:10], 2, v[3:4]
	v_mul_f32_e32 v4, v2, v1
	v_mul_f32_e32 v3, v2, v6
	;; [unrolled: 1-line block ×3, first 2 shown]
	s_delay_alu instid0(VALU_DEP_4)
	v_add_co_u32 v1, vcc_lo, s28, v9
	v_add_co_ci_u32_e32 v2, vcc_lo, s29, v10, vcc_lo
	global_store_b128 v[1:2], v[3:6], off
	s_and_b32 exec_lo, exec_lo, s0
	s_cbranch_execz .LBB52_129
; %bb.169:
	v_ashrrev_i32_e32 v1, 31, v0
	v_mov_b32_e32 v15, v8
	s_delay_alu instid0(VALU_DEP_2) | instskip(NEXT) | instid1(VALU_DEP_1)
	v_lshlrev_b64 v[0:1], 3, v[0:1]
	v_add_co_u32 v0, vcc_lo, s30, v0
	s_delay_alu instid0(VALU_DEP_2)
	v_add_co_ci_u32_e32 v1, vcc_lo, s31, v1, vcc_lo
	global_store_b64 v[0:1], v[15:16], off
	s_nop 0
	s_sendmsg sendmsg(MSG_DEALLOC_VGPRS)
	s_endpgm
	.section	.rodata,"a",@progbits
	.p2align	6, 0x0
	.amdhsa_kernel _ZL15flash_attn_tileILi128ELi128ELi64ELi1ELb0EEvPKcS1_S1_S1_S1_PKiPfP15HIP_vector_typeIfLj2EEffffjfiS5_IjLj3EEiiiiiiiiiiiliiliiiiil
		.amdhsa_group_segment_fixed_size 41984
		.amdhsa_private_segment_fixed_size 0
		.amdhsa_kernarg_size 464
		.amdhsa_user_sgpr_count 13
		.amdhsa_user_sgpr_dispatch_ptr 1
		.amdhsa_user_sgpr_queue_ptr 0
		.amdhsa_user_sgpr_kernarg_segment_ptr 1
		.amdhsa_user_sgpr_dispatch_id 0
		.amdhsa_user_sgpr_private_segment_size 0
		.amdhsa_wavefront_size32 1
		.amdhsa_uses_dynamic_stack 0
		.amdhsa_enable_private_segment 0
		.amdhsa_system_sgpr_workgroup_id_x 1
		.amdhsa_system_sgpr_workgroup_id_y 1
		.amdhsa_system_sgpr_workgroup_id_z 1
		.amdhsa_system_sgpr_workgroup_info 0
		.amdhsa_system_vgpr_workitem_id 2
		.amdhsa_next_free_vgpr 234
		.amdhsa_next_free_sgpr 50
		.amdhsa_reserve_vcc 1
		.amdhsa_float_round_mode_32 0
		.amdhsa_float_round_mode_16_64 0
		.amdhsa_float_denorm_mode_32 3
		.amdhsa_float_denorm_mode_16_64 3
		.amdhsa_dx10_clamp 1
		.amdhsa_ieee_mode 1
		.amdhsa_fp16_overflow 0
		.amdhsa_workgroup_processor_mode 1
		.amdhsa_memory_ordered 1
		.amdhsa_forward_progress 0
		.amdhsa_shared_vgpr_count 0
		.amdhsa_exception_fp_ieee_invalid_op 0
		.amdhsa_exception_fp_denorm_src 0
		.amdhsa_exception_fp_ieee_div_zero 0
		.amdhsa_exception_fp_ieee_overflow 0
		.amdhsa_exception_fp_ieee_underflow 0
		.amdhsa_exception_fp_ieee_inexact 0
		.amdhsa_exception_int_div_zero 0
	.end_amdhsa_kernel
	.section	.text._ZL15flash_attn_tileILi128ELi128ELi64ELi1ELb0EEvPKcS1_S1_S1_S1_PKiPfP15HIP_vector_typeIfLj2EEffffjfiS5_IjLj3EEiiiiiiiiiiiliiliiiiil,"axG",@progbits,_ZL15flash_attn_tileILi128ELi128ELi64ELi1ELb0EEvPKcS1_S1_S1_S1_PKiPfP15HIP_vector_typeIfLj2EEffffjfiS5_IjLj3EEiiiiiiiiiiiliiliiiiil,comdat
.Lfunc_end52:
	.size	_ZL15flash_attn_tileILi128ELi128ELi64ELi1ELb0EEvPKcS1_S1_S1_S1_PKiPfP15HIP_vector_typeIfLj2EEffffjfiS5_IjLj3EEiiiiiiiiiiiliiliiiiil, .Lfunc_end52-_ZL15flash_attn_tileILi128ELi128ELi64ELi1ELb0EEvPKcS1_S1_S1_S1_PKiPfP15HIP_vector_typeIfLj2EEffffjfiS5_IjLj3EEiiiiiiiiiiiliiliiiiil
                                        ; -- End function
	.section	.AMDGPU.csdata,"",@progbits
; Kernel info:
; codeLenInByte = 86204
; NumSgprs: 52
; NumVgprs: 234
; ScratchSize: 0
; MemoryBound: 0
; FloatMode: 240
; IeeeMode: 1
; LDSByteSize: 41984 bytes/workgroup (compile time only)
; SGPRBlocks: 6
; VGPRBlocks: 29
; NumSGPRsForWavesPerEU: 52
; NumVGPRsForWavesPerEU: 234
; Occupancy: 6
; WaveLimiterHint : 0
; COMPUTE_PGM_RSRC2:SCRATCH_EN: 0
; COMPUTE_PGM_RSRC2:USER_SGPR: 13
; COMPUTE_PGM_RSRC2:TRAP_HANDLER: 0
; COMPUTE_PGM_RSRC2:TGID_X_EN: 1
; COMPUTE_PGM_RSRC2:TGID_Y_EN: 1
; COMPUTE_PGM_RSRC2:TGID_Z_EN: 1
; COMPUTE_PGM_RSRC2:TIDIG_COMP_CNT: 2
	.section	.text._ZL25flash_attn_mask_to_KV_maxILi64EEvPK7__half2Piiii,"axG",@progbits,_ZL25flash_attn_mask_to_KV_maxILi64EEvPK7__half2Piiii,comdat
	.globl	_ZL25flash_attn_mask_to_KV_maxILi64EEvPK7__half2Piiii ; -- Begin function _ZL25flash_attn_mask_to_KV_maxILi64EEvPK7__half2Piiii
	.p2align	8
	.type	_ZL25flash_attn_mask_to_KV_maxILi64EEvPK7__half2Piiii,@function
_ZL25flash_attn_mask_to_KV_maxILi64EEvPK7__half2Piiii: ; @_ZL25flash_attn_mask_to_KV_maxILi64EEvPK7__half2Piiii
; %bb.0:
	s_load_b128 s[4:7], s[0:1], 0x0
	s_mov_b32 s2, exec_lo
	v_cmpx_gt_u32_e32 32, v0
	s_cbranch_execz .LBB53_2
; %bb.1:
	v_dual_mov_b32 v2, 1 :: v_dual_lshlrev_b32 v1, 2, v0
	ds_store_b32 v1, v2
.LBB53_2:
	s_or_b32 exec_lo, exec_lo, s2
	s_clause 0x1
	s_load_b128 s[8:11], s[0:1], 0x10
	s_load_b32 s1, s[0:1], 0x20
	v_dual_mov_b32 v2, 0 :: v_dual_and_b32 v1, 31, v0
	v_lshrrev_b32_e32 v5, 3, v0
	s_waitcnt lgkmcnt(0)
	s_barrier
	s_delay_alu instid0(VALU_DEP_2) | instskip(SKIP_4) | instid1(SALU_CYCLE_1)
	v_lshlrev_b32_e32 v6, 2, v1
	buffer_gl0_inv
	s_mul_i32 s0, s14, s9
	s_mul_i32 s2, s15, s10
	s_lshl_b32 s0, s0, 6
	s_add_i32 s2, s2, s0
	v_cmp_eq_u32_e64 s0, 0, v1
	s_ashr_i32 s3, s2, 31
	s_delay_alu instid0(SALU_CYCLE_1) | instskip(NEXT) | instid1(SALU_CYCLE_1)
	s_lshl_b64 s[10:11], s[2:3], 2
	s_add_u32 s3, s4, s10
	s_addc_u32 s4, s5, s11
	s_lshl_b32 s5, s8, 8
	s_branch .LBB53_4
.LBB53_3:                               ;   in Loop: Header=BB53_4 Depth=1
	s_or_b32 exec_lo, exec_lo, s10
	s_waitcnt lgkmcnt(0)
	s_barrier
	buffer_gl0_inv
	ds_load_b32 v1, v6
	s_waitcnt lgkmcnt(0)
	s_barrier
	buffer_gl0_inv
	;;#ASMSTART
	;;#ASMEND
	v_cmp_ne_u32_e32 vcc_lo, 0, v1
	s_cmp_lg_u32 vcc_lo, exec_lo
	s_cselect_b32 s8, -1, 0
	s_delay_alu instid0(SALU_CYCLE_1)
	s_and_b32 vcc_lo, exec_lo, s8
	s_cbranch_vccnz .LBB53_260
.LBB53_4:                               ; =>This Inner Loop Header: Depth=1
	s_mov_b32 s2, s5
	s_addk_i32 s5, 0xff00
	s_delay_alu instid0(SALU_CYCLE_1)
	s_cmp_lt_i32 s5, 0
	s_cbranch_scc1 .LBB53_259
; %bb.5:                                ;   in Loop: Header=BB53_4 Depth=1
	s_lshr_b32 s8, s5, 1
	s_mov_b32 s10, 0
	v_add_nc_u32_e32 v1, s8, v0
	s_delay_alu instid0(VALU_DEP_1) | instskip(NEXT) | instid1(VALU_DEP_1)
	v_lshlrev_b64 v[3:4], 2, v[1:2]
	v_add_co_u32 v3, vcc_lo, s3, v3
	s_delay_alu instid0(VALU_DEP_2) | instskip(SKIP_4) | instid1(VALU_DEP_2)
	v_add_co_ci_u32_e32 v4, vcc_lo, s4, v4, vcc_lo
	global_load_b32 v3, v[3:4], off
	s_waitcnt vmcnt(0)
	v_lshrrev_b32_e32 v4, 16, v3
	v_cmp_class_f16_e64 s8, v3, 0x204
	v_and_b32_e32 v4, 0x7fff, v4
	s_delay_alu instid0(VALU_DEP_1) | instskip(NEXT) | instid1(VALU_DEP_3)
	v_cmp_eq_f16_e32 vcc_lo, 0x7c00, v4
	s_and_b32 s11, s8, vcc_lo
	s_delay_alu instid0(SALU_CYCLE_1)
	s_and_saveexec_b32 s8, s11
	s_cbranch_execz .LBB53_257
; %bb.6:                                ;   in Loop: Header=BB53_4 Depth=1
	v_add_nc_u32_e32 v3, s9, v1
	s_mov_b32 s11, 0
	s_delay_alu instid0(VALU_DEP_1) | instskip(NEXT) | instid1(VALU_DEP_1)
	v_ashrrev_i32_e32 v4, 31, v3
	v_lshlrev_b64 v[7:8], 2, v[3:4]
	s_delay_alu instid0(VALU_DEP_1) | instskip(NEXT) | instid1(VALU_DEP_2)
	v_add_co_u32 v7, vcc_lo, s3, v7
	v_add_co_ci_u32_e32 v8, vcc_lo, s4, v8, vcc_lo
	global_load_b32 v1, v[7:8], off
	s_waitcnt vmcnt(0)
	v_cmp_class_f16_e64 s12, v1, 0x204
	s_delay_alu instid0(VALU_DEP_1)
	s_and_saveexec_b32 s10, s12
	s_cbranch_execz .LBB53_256
; %bb.7:                                ;   in Loop: Header=BB53_4 Depth=1
	v_lshrrev_b32_e32 v1, 16, v1
	s_mov_b32 s12, 0
	s_delay_alu instid0(VALU_DEP_1) | instskip(NEXT) | instid1(VALU_DEP_1)
	v_cmp_class_f16_e64 s13, v1, 0x204
	s_and_saveexec_b32 s11, s13
	s_cbranch_execz .LBB53_255
; %bb.8:                                ;   in Loop: Header=BB53_4 Depth=1
	v_add_nc_u32_e32 v3, s9, v3
	s_mov_b32 s13, 0
	s_delay_alu instid0(VALU_DEP_1) | instskip(NEXT) | instid1(VALU_DEP_1)
	v_ashrrev_i32_e32 v4, 31, v3
	v_lshlrev_b64 v[7:8], 2, v[3:4]
	s_delay_alu instid0(VALU_DEP_1) | instskip(NEXT) | instid1(VALU_DEP_2)
	v_add_co_u32 v7, vcc_lo, s3, v7
	v_add_co_ci_u32_e32 v8, vcc_lo, s4, v8, vcc_lo
	global_load_b32 v1, v[7:8], off
	s_waitcnt vmcnt(0)
	v_cmp_class_f16_e64 s16, v1, 0x204
	s_delay_alu instid0(VALU_DEP_1)
	s_and_saveexec_b32 s12, s16
	s_cbranch_execz .LBB53_254
; %bb.9:                                ;   in Loop: Header=BB53_4 Depth=1
	v_lshrrev_b32_e32 v1, 16, v1
	s_mov_b32 s16, 0
	s_delay_alu instid0(VALU_DEP_1) | instskip(NEXT) | instid1(VALU_DEP_1)
	v_cmp_class_f16_e64 s17, v1, 0x204
	s_and_saveexec_b32 s13, s17
	s_cbranch_execz .LBB53_253
; %bb.10:                               ;   in Loop: Header=BB53_4 Depth=1
	v_add_nc_u32_e32 v3, s9, v3
	s_mov_b32 s17, 0
	s_delay_alu instid0(VALU_DEP_1) | instskip(NEXT) | instid1(VALU_DEP_1)
	v_ashrrev_i32_e32 v4, 31, v3
	v_lshlrev_b64 v[7:8], 2, v[3:4]
	s_delay_alu instid0(VALU_DEP_1) | instskip(NEXT) | instid1(VALU_DEP_2)
	v_add_co_u32 v7, vcc_lo, s3, v7
	v_add_co_ci_u32_e32 v8, vcc_lo, s4, v8, vcc_lo
	global_load_b32 v1, v[7:8], off
	s_waitcnt vmcnt(0)
	v_cmp_class_f16_e64 s18, v1, 0x204
	s_delay_alu instid0(VALU_DEP_1)
	s_and_saveexec_b32 s16, s18
	s_cbranch_execz .LBB53_252
; %bb.11:                               ;   in Loop: Header=BB53_4 Depth=1
	v_lshrrev_b32_e32 v1, 16, v1
	s_mov_b32 s18, 0
	s_delay_alu instid0(VALU_DEP_1) | instskip(NEXT) | instid1(VALU_DEP_1)
	v_cmp_class_f16_e64 s19, v1, 0x204
	s_and_saveexec_b32 s17, s19
	s_cbranch_execz .LBB53_251
; %bb.12:                               ;   in Loop: Header=BB53_4 Depth=1
	v_add_nc_u32_e32 v3, s9, v3
	s_mov_b32 s19, 0
	s_delay_alu instid0(VALU_DEP_1) | instskip(NEXT) | instid1(VALU_DEP_1)
	v_ashrrev_i32_e32 v4, 31, v3
	v_lshlrev_b64 v[7:8], 2, v[3:4]
	s_delay_alu instid0(VALU_DEP_1) | instskip(NEXT) | instid1(VALU_DEP_2)
	v_add_co_u32 v7, vcc_lo, s3, v7
	v_add_co_ci_u32_e32 v8, vcc_lo, s4, v8, vcc_lo
	global_load_b32 v1, v[7:8], off
	s_waitcnt vmcnt(0)
	v_cmp_class_f16_e64 s20, v1, 0x204
	s_delay_alu instid0(VALU_DEP_1)
	s_and_saveexec_b32 s18, s20
	s_cbranch_execz .LBB53_250
; %bb.13:                               ;   in Loop: Header=BB53_4 Depth=1
	;; [unrolled: 22-line block ×24, first 2 shown]
	v_lshrrev_b32_e32 v1, 16, v1
	s_mov_b32 s65, 0
	s_delay_alu instid0(VALU_DEP_1) | instskip(NEXT) | instid1(VALU_DEP_1)
	v_cmp_class_f16_e64 s66, v1, 0x204
	s_and_saveexec_b32 s64, s66
	s_cbranch_execz .LBB53_205
; %bb.58:                               ;   in Loop: Header=BB53_4 Depth=1
	v_add_nc_u32_e32 v3, s9, v3
	s_delay_alu instid0(VALU_DEP_1) | instskip(NEXT) | instid1(VALU_DEP_1)
	v_ashrrev_i32_e32 v4, 31, v3
	v_lshlrev_b64 v[7:8], 2, v[3:4]
	s_delay_alu instid0(VALU_DEP_1) | instskip(NEXT) | instid1(VALU_DEP_2)
	v_add_co_u32 v7, vcc_lo, s3, v7
	v_add_co_ci_u32_e32 v8, vcc_lo, s4, v8, vcc_lo
	global_load_b32 v1, v[7:8], off
	s_waitcnt vmcnt(0)
	v_cmp_class_f16_e64 s66, v1, 0x204
	s_mov_b32 s67, exec_lo
	s_delay_alu instid0(VALU_DEP_1) | instid1(SALU_CYCLE_1)
	s_and_b32 s66, s67, s66
                                        ; implicit-def: $vgpr10 : SGPR spill to VGPR lane
	v_writelane_b32 v10, s67, 0
	s_mov_b32 exec_lo, s66
	s_cbranch_execz .LBB53_204
; %bb.59:                               ;   in Loop: Header=BB53_4 Depth=1
	v_lshrrev_b32_e32 v1, 16, v1
	s_delay_alu instid0(VALU_DEP_1)
	v_cmp_class_f16_e64 s66, v1, 0x204
	s_mov_b32 s67, exec_lo
	s_delay_alu instid0(VALU_DEP_1) | instid1(SALU_CYCLE_1)
	s_and_b32 s66, s67, s66
	v_writelane_b32 v10, s67, 1
	s_mov_b32 exec_lo, s66
	s_cbranch_execz .LBB53_203
; %bb.60:                               ;   in Loop: Header=BB53_4 Depth=1
	v_add_nc_u32_e32 v3, s9, v3
	s_delay_alu instid0(VALU_DEP_1) | instskip(NEXT) | instid1(VALU_DEP_1)
	v_ashrrev_i32_e32 v4, 31, v3
	v_lshlrev_b64 v[7:8], 2, v[3:4]
	s_delay_alu instid0(VALU_DEP_1) | instskip(NEXT) | instid1(VALU_DEP_2)
	v_add_co_u32 v7, vcc_lo, s3, v7
	v_add_co_ci_u32_e32 v8, vcc_lo, s4, v8, vcc_lo
	global_load_b32 v1, v[7:8], off
	s_waitcnt vmcnt(0)
	v_cmp_class_f16_e64 s66, v1, 0x204
	s_mov_b32 s67, exec_lo
	s_delay_alu instid0(VALU_DEP_1) | instid1(SALU_CYCLE_1)
	s_and_b32 s66, s67, s66
	v_writelane_b32 v10, s67, 2
	s_mov_b32 exec_lo, s66
	s_cbranch_execz .LBB53_202
; %bb.61:                               ;   in Loop: Header=BB53_4 Depth=1
	v_lshrrev_b32_e32 v1, 16, v1
	s_delay_alu instid0(VALU_DEP_1)
	v_cmp_class_f16_e64 s66, v1, 0x204
	s_mov_b32 s67, exec_lo
	s_delay_alu instid0(VALU_DEP_1) | instid1(SALU_CYCLE_1)
	s_and_b32 s66, s67, s66
	v_writelane_b32 v10, s67, 3
	s_mov_b32 exec_lo, s66
	s_cbranch_execz .LBB53_201
; %bb.62:                               ;   in Loop: Header=BB53_4 Depth=1
	v_add_nc_u32_e32 v3, s9, v3
	s_delay_alu instid0(VALU_DEP_1) | instskip(NEXT) | instid1(VALU_DEP_1)
	v_ashrrev_i32_e32 v4, 31, v3
	v_lshlrev_b64 v[7:8], 2, v[3:4]
	s_delay_alu instid0(VALU_DEP_1) | instskip(NEXT) | instid1(VALU_DEP_2)
	v_add_co_u32 v7, vcc_lo, s3, v7
	v_add_co_ci_u32_e32 v8, vcc_lo, s4, v8, vcc_lo
	global_load_b32 v1, v[7:8], off
	s_waitcnt vmcnt(0)
	v_cmp_class_f16_e64 s66, v1, 0x204
	s_mov_b32 s67, exec_lo
	s_delay_alu instid0(VALU_DEP_1) | instid1(SALU_CYCLE_1)
	s_and_b32 s66, s67, s66
	;; [unrolled: 27-line block ×16, first 2 shown]
                                        ; implicit-def: $vgpr9 : SGPR spill to VGPR lane
	v_writelane_b32 v9, s67, 0
	s_mov_b32 exec_lo, s66
	s_cbranch_execz .LBB53_172
; %bb.91:                               ;   in Loop: Header=BB53_4 Depth=1
	v_lshrrev_b32_e32 v1, 16, v1
	s_delay_alu instid0(VALU_DEP_1) | instskip(NEXT) | instid1(VALU_DEP_1)
	v_cmp_class_f16_e64 s66, v1, 0x204
	s_and_saveexec_b32 s98, s66
	s_cbranch_execz .LBB53_171
; %bb.92:                               ;   in Loop: Header=BB53_4 Depth=1
	v_add_nc_u32_e32 v3, s9, v3
	s_delay_alu instid0(VALU_DEP_1) | instskip(NEXT) | instid1(VALU_DEP_1)
	v_ashrrev_i32_e32 v4, 31, v3
	v_lshlrev_b64 v[7:8], 2, v[3:4]
	s_delay_alu instid0(VALU_DEP_1) | instskip(NEXT) | instid1(VALU_DEP_2)
	v_add_co_u32 v7, vcc_lo, s3, v7
	v_add_co_ci_u32_e32 v8, vcc_lo, s4, v8, vcc_lo
	global_load_b32 v1, v[7:8], off
	s_waitcnt vmcnt(0)
	v_cmp_class_f16_e64 s66, v1, 0x204
	s_delay_alu instid0(VALU_DEP_1)
	s_and_saveexec_b32 s99, s66
	s_cbranch_execz .LBB53_170
; %bb.93:                               ;   in Loop: Header=BB53_4 Depth=1
	v_lshrrev_b32_e32 v1, 16, v1
	s_delay_alu instid0(VALU_DEP_1) | instskip(NEXT) | instid1(VALU_DEP_1)
	v_cmp_class_f16_e64 s66, v1, 0x204
	s_and_saveexec_b32 s100, s66
	s_cbranch_execz .LBB53_169
; %bb.94:                               ;   in Loop: Header=BB53_4 Depth=1
	v_add_nc_u32_e32 v3, s9, v3
	s_delay_alu instid0(VALU_DEP_1) | instskip(NEXT) | instid1(VALU_DEP_1)
	v_ashrrev_i32_e32 v4, 31, v3
	v_lshlrev_b64 v[7:8], 2, v[3:4]
	s_delay_alu instid0(VALU_DEP_1) | instskip(NEXT) | instid1(VALU_DEP_2)
	v_add_co_u32 v7, vcc_lo, s3, v7
	v_add_co_ci_u32_e32 v8, vcc_lo, s4, v8, vcc_lo
	global_load_b32 v1, v[7:8], off
	s_waitcnt vmcnt(0)
	v_cmp_class_f16_e64 s66, v1, 0x204
	s_delay_alu instid0(VALU_DEP_1)
	s_and_saveexec_b32 s101, s66
	;; [unrolled: 20-line block ×3, first 2 shown]
	s_cbranch_execz .LBB53_166
; %bb.97:                               ;   in Loop: Header=BB53_4 Depth=1
	v_lshrrev_b32_e32 v1, 16, v1
	s_delay_alu instid0(VALU_DEP_1) | instskip(NEXT) | instid1(VALU_DEP_1)
	v_cmp_class_f16_e64 s66, v1, 0x204
	s_and_saveexec_b32 s104, s66
	s_cbranch_execz .LBB53_165
; %bb.98:                               ;   in Loop: Header=BB53_4 Depth=1
	v_add_nc_u32_e32 v3, s9, v3
	s_delay_alu instid0(VALU_DEP_1) | instskip(NEXT) | instid1(VALU_DEP_1)
	v_ashrrev_i32_e32 v4, 31, v3
	v_lshlrev_b64 v[7:8], 2, v[3:4]
	s_delay_alu instid0(VALU_DEP_1) | instskip(NEXT) | instid1(VALU_DEP_2)
	v_add_co_u32 v7, vcc_lo, s3, v7
	v_add_co_ci_u32_e32 v8, vcc_lo, s4, v8, vcc_lo
	global_load_b32 v1, v[7:8], off
	s_waitcnt vmcnt(0)
	v_cmp_class_f16_e64 s66, v1, 0x204
	s_delay_alu instid0(VALU_DEP_1)
	s_and_saveexec_b32 vcc_hi, s66
	s_cbranch_execz .LBB53_164
; %bb.99:                               ;   in Loop: Header=BB53_4 Depth=1
	v_lshrrev_b32_e32 v1, 16, v1
	s_mov_b32 s66, 0
	s_delay_alu instid0(VALU_DEP_1) | instskip(NEXT) | instid1(VALU_DEP_1)
	v_cmp_class_f16_e64 s67, v1, 0x204
	s_and_saveexec_b32 s65, s67
	s_cbranch_execz .LBB53_163
; %bb.100:                              ;   in Loop: Header=BB53_4 Depth=1
	v_add_nc_u32_e32 v3, s9, v3
	s_mov_b32 s67, 0
	s_delay_alu instid0(VALU_DEP_1) | instskip(NEXT) | instid1(VALU_DEP_1)
	v_ashrrev_i32_e32 v4, 31, v3
	v_lshlrev_b64 v[7:8], 2, v[3:4]
	s_delay_alu instid0(VALU_DEP_1) | instskip(NEXT) | instid1(VALU_DEP_2)
	v_add_co_u32 v7, vcc_lo, s3, v7
	v_add_co_ci_u32_e32 v8, vcc_lo, s4, v8, vcc_lo
	global_load_b32 v1, v[7:8], off
	s_waitcnt vmcnt(0)
	v_cmp_class_f16_e64 s68, v1, 0x204
	s_delay_alu instid0(VALU_DEP_1)
	s_and_saveexec_b32 s66, s68
	s_cbranch_execz .LBB53_162
; %bb.101:                              ;   in Loop: Header=BB53_4 Depth=1
	v_lshrrev_b32_e32 v1, 16, v1
	s_mov_b32 s68, 0
	s_delay_alu instid0(VALU_DEP_1) | instskip(NEXT) | instid1(VALU_DEP_1)
	v_cmp_class_f16_e64 s69, v1, 0x204
	s_and_saveexec_b32 s67, s69
	s_cbranch_execz .LBB53_161
; %bb.102:                              ;   in Loop: Header=BB53_4 Depth=1
	v_add_nc_u32_e32 v3, s9, v3
	s_mov_b32 s69, 0
	s_delay_alu instid0(VALU_DEP_1) | instskip(NEXT) | instid1(VALU_DEP_1)
	v_ashrrev_i32_e32 v4, 31, v3
	v_lshlrev_b64 v[7:8], 2, v[3:4]
	s_delay_alu instid0(VALU_DEP_1) | instskip(NEXT) | instid1(VALU_DEP_2)
	v_add_co_u32 v7, vcc_lo, s3, v7
	v_add_co_ci_u32_e32 v8, vcc_lo, s4, v8, vcc_lo
	global_load_b32 v1, v[7:8], off
	s_waitcnt vmcnt(0)
	v_cmp_class_f16_e64 s70, v1, 0x204
	s_delay_alu instid0(VALU_DEP_1)
	s_and_saveexec_b32 s68, s70
	s_cbranch_execz .LBB53_160
; %bb.103:                              ;   in Loop: Header=BB53_4 Depth=1
	;; [unrolled: 22-line block ×15, first 2 shown]
	v_lshrrev_b32_e32 v1, 16, v1
	s_mov_b32 vcc_lo, 0
	s_delay_alu instid0(VALU_DEP_1) | instskip(NEXT) | instid1(VALU_DEP_1)
	v_cmp_class_f16_e64 s96, v1, 0x204
	s_and_saveexec_b32 s95, s96
	s_cbranch_execz .LBB53_133
; %bb.130:                              ;   in Loop: Header=BB53_4 Depth=1
	v_add_nc_u32_e32 v3, s9, v3
	s_delay_alu instid0(VALU_DEP_1) | instskip(NEXT) | instid1(VALU_DEP_1)
	v_ashrrev_i32_e32 v4, 31, v3
	v_lshlrev_b64 v[3:4], 2, v[3:4]
	s_delay_alu instid0(VALU_DEP_1) | instskip(NEXT) | instid1(VALU_DEP_2)
	v_add_co_u32 v3, vcc_lo, s3, v3
	v_add_co_ci_u32_e32 v4, vcc_lo, s4, v4, vcc_lo
	s_mov_b32 vcc_lo, 0
	global_load_b32 v1, v[3:4], off
	s_waitcnt vmcnt(0)
	v_cmp_class_f16_e64 s97, v1, 0x204
	s_delay_alu instid0(VALU_DEP_1)
	s_and_saveexec_b32 s96, s97
; %bb.131:                              ;   in Loop: Header=BB53_4 Depth=1
	v_lshrrev_b32_e32 v1, 16, v1
	s_delay_alu instid0(VALU_DEP_1) | instskip(NEXT) | instid1(VALU_DEP_1)
	v_cmp_class_f16_e64 s97, v1, 0x204
	s_and_b32 vcc_lo, s97, exec_lo
; %bb.132:                              ;   in Loop: Header=BB53_4 Depth=1
	s_or_b32 exec_lo, exec_lo, s96
	s_delay_alu instid0(SALU_CYCLE_1)
	s_and_b32 vcc_lo, vcc_lo, exec_lo
.LBB53_133:                             ;   in Loop: Header=BB53_4 Depth=1
	s_or_b32 exec_lo, exec_lo, s95
	s_delay_alu instid0(SALU_CYCLE_1)
	s_and_b32 s95, vcc_lo, exec_lo
.LBB53_134:                             ;   in Loop: Header=BB53_4 Depth=1
	s_or_b32 exec_lo, exec_lo, s94
	s_delay_alu instid0(SALU_CYCLE_1)
	s_and_b32 s94, s95, exec_lo
.LBB53_135:                             ;   in Loop: Header=BB53_4 Depth=1
	s_or_b32 exec_lo, exec_lo, s93
	s_delay_alu instid0(SALU_CYCLE_1)
	s_and_b32 s93, s94, exec_lo
.LBB53_136:                             ;   in Loop: Header=BB53_4 Depth=1
	s_or_b32 exec_lo, exec_lo, s92
	s_delay_alu instid0(SALU_CYCLE_1)
	s_and_b32 s92, s93, exec_lo
.LBB53_137:                             ;   in Loop: Header=BB53_4 Depth=1
	s_or_b32 exec_lo, exec_lo, s91
	s_delay_alu instid0(SALU_CYCLE_1)
	s_and_b32 s91, s92, exec_lo
.LBB53_138:                             ;   in Loop: Header=BB53_4 Depth=1
	s_or_b32 exec_lo, exec_lo, s90
	s_delay_alu instid0(SALU_CYCLE_1)
	s_and_b32 s90, s91, exec_lo
.LBB53_139:                             ;   in Loop: Header=BB53_4 Depth=1
	s_or_b32 exec_lo, exec_lo, s89
	s_delay_alu instid0(SALU_CYCLE_1)
	s_and_b32 s89, s90, exec_lo
.LBB53_140:                             ;   in Loop: Header=BB53_4 Depth=1
	s_or_b32 exec_lo, exec_lo, s88
	s_delay_alu instid0(SALU_CYCLE_1)
	s_and_b32 s88, s89, exec_lo
.LBB53_141:                             ;   in Loop: Header=BB53_4 Depth=1
	s_or_b32 exec_lo, exec_lo, s87
	s_delay_alu instid0(SALU_CYCLE_1)
	s_and_b32 s87, s88, exec_lo
.LBB53_142:                             ;   in Loop: Header=BB53_4 Depth=1
	s_or_b32 exec_lo, exec_lo, s86
	s_delay_alu instid0(SALU_CYCLE_1)
	s_and_b32 s86, s87, exec_lo
.LBB53_143:                             ;   in Loop: Header=BB53_4 Depth=1
	s_or_b32 exec_lo, exec_lo, s85
	s_delay_alu instid0(SALU_CYCLE_1)
	s_and_b32 s85, s86, exec_lo
.LBB53_144:                             ;   in Loop: Header=BB53_4 Depth=1
	s_or_b32 exec_lo, exec_lo, s84
	s_delay_alu instid0(SALU_CYCLE_1)
	s_and_b32 s84, s85, exec_lo
.LBB53_145:                             ;   in Loop: Header=BB53_4 Depth=1
	s_or_b32 exec_lo, exec_lo, s83
	s_delay_alu instid0(SALU_CYCLE_1)
	s_and_b32 s83, s84, exec_lo
.LBB53_146:                             ;   in Loop: Header=BB53_4 Depth=1
	s_or_b32 exec_lo, exec_lo, s82
	s_delay_alu instid0(SALU_CYCLE_1)
	s_and_b32 s82, s83, exec_lo
.LBB53_147:                             ;   in Loop: Header=BB53_4 Depth=1
	s_or_b32 exec_lo, exec_lo, s81
	s_delay_alu instid0(SALU_CYCLE_1)
	s_and_b32 s81, s82, exec_lo
.LBB53_148:                             ;   in Loop: Header=BB53_4 Depth=1
	s_or_b32 exec_lo, exec_lo, s80
	s_delay_alu instid0(SALU_CYCLE_1)
	s_and_b32 s80, s81, exec_lo
.LBB53_149:                             ;   in Loop: Header=BB53_4 Depth=1
	s_or_b32 exec_lo, exec_lo, s79
	s_delay_alu instid0(SALU_CYCLE_1)
	s_and_b32 s79, s80, exec_lo
.LBB53_150:                             ;   in Loop: Header=BB53_4 Depth=1
	s_or_b32 exec_lo, exec_lo, s78
	s_delay_alu instid0(SALU_CYCLE_1)
	s_and_b32 s78, s79, exec_lo
.LBB53_151:                             ;   in Loop: Header=BB53_4 Depth=1
	s_or_b32 exec_lo, exec_lo, s77
	s_delay_alu instid0(SALU_CYCLE_1)
	s_and_b32 s77, s78, exec_lo
.LBB53_152:                             ;   in Loop: Header=BB53_4 Depth=1
	s_or_b32 exec_lo, exec_lo, s76
	s_delay_alu instid0(SALU_CYCLE_1)
	s_and_b32 s76, s77, exec_lo
.LBB53_153:                             ;   in Loop: Header=BB53_4 Depth=1
	s_or_b32 exec_lo, exec_lo, s75
	s_delay_alu instid0(SALU_CYCLE_1)
	s_and_b32 s75, s76, exec_lo
.LBB53_154:                             ;   in Loop: Header=BB53_4 Depth=1
	s_or_b32 exec_lo, exec_lo, s74
	s_delay_alu instid0(SALU_CYCLE_1)
	s_and_b32 s74, s75, exec_lo
.LBB53_155:                             ;   in Loop: Header=BB53_4 Depth=1
	s_or_b32 exec_lo, exec_lo, s73
	s_delay_alu instid0(SALU_CYCLE_1)
	s_and_b32 s73, s74, exec_lo
.LBB53_156:                             ;   in Loop: Header=BB53_4 Depth=1
	s_or_b32 exec_lo, exec_lo, s72
	s_delay_alu instid0(SALU_CYCLE_1)
	s_and_b32 s72, s73, exec_lo
.LBB53_157:                             ;   in Loop: Header=BB53_4 Depth=1
	s_or_b32 exec_lo, exec_lo, s71
	s_delay_alu instid0(SALU_CYCLE_1)
	s_and_b32 s71, s72, exec_lo
.LBB53_158:                             ;   in Loop: Header=BB53_4 Depth=1
	s_or_b32 exec_lo, exec_lo, s70
	s_delay_alu instid0(SALU_CYCLE_1)
	s_and_b32 s70, s71, exec_lo
.LBB53_159:                             ;   in Loop: Header=BB53_4 Depth=1
	s_or_b32 exec_lo, exec_lo, s69
	s_delay_alu instid0(SALU_CYCLE_1)
	s_and_b32 s69, s70, exec_lo
.LBB53_160:                             ;   in Loop: Header=BB53_4 Depth=1
	s_or_b32 exec_lo, exec_lo, s68
	s_delay_alu instid0(SALU_CYCLE_1)
	s_and_b32 s68, s69, exec_lo
.LBB53_161:                             ;   in Loop: Header=BB53_4 Depth=1
	s_or_b32 exec_lo, exec_lo, s67
	s_delay_alu instid0(SALU_CYCLE_1)
	s_and_b32 s67, s68, exec_lo
.LBB53_162:                             ;   in Loop: Header=BB53_4 Depth=1
	s_or_b32 exec_lo, exec_lo, s66
	s_delay_alu instid0(SALU_CYCLE_1)
	s_and_b32 s66, s67, exec_lo
.LBB53_163:                             ;   in Loop: Header=BB53_4 Depth=1
	s_or_b32 exec_lo, exec_lo, s65
	s_delay_alu instid0(SALU_CYCLE_1)
	s_and_b32 s65, s66, exec_lo
.LBB53_164:                             ;   in Loop: Header=BB53_4 Depth=1
	s_or_b32 exec_lo, exec_lo, vcc_hi
	s_delay_alu instid0(SALU_CYCLE_1)
	s_and_b32 s65, s65, exec_lo
.LBB53_165:                             ;   in Loop: Header=BB53_4 Depth=1
	s_or_b32 exec_lo, exec_lo, s104
	s_delay_alu instid0(SALU_CYCLE_1)
	s_and_b32 s65, s65, exec_lo
.LBB53_166:                             ;   in Loop: Header=BB53_4 Depth=1
	s_or_b32 exec_lo, exec_lo, s103
	s_delay_alu instid0(SALU_CYCLE_1)
	s_and_b32 s65, s65, exec_lo
.LBB53_167:                             ;   in Loop: Header=BB53_4 Depth=1
	s_or_b32 exec_lo, exec_lo, s102
	s_delay_alu instid0(SALU_CYCLE_1)
	s_and_b32 s65, s65, exec_lo
.LBB53_168:                             ;   in Loop: Header=BB53_4 Depth=1
	s_or_b32 exec_lo, exec_lo, s101
	s_delay_alu instid0(SALU_CYCLE_1)
	s_and_b32 s65, s65, exec_lo
.LBB53_169:                             ;   in Loop: Header=BB53_4 Depth=1
	s_or_b32 exec_lo, exec_lo, s100
	s_delay_alu instid0(SALU_CYCLE_1)
	s_and_b32 s65, s65, exec_lo
.LBB53_170:                             ;   in Loop: Header=BB53_4 Depth=1
	s_or_b32 exec_lo, exec_lo, s99
	s_delay_alu instid0(SALU_CYCLE_1)
	s_and_b32 s65, s65, exec_lo
.LBB53_171:                             ;   in Loop: Header=BB53_4 Depth=1
	s_or_b32 exec_lo, exec_lo, s98
	s_delay_alu instid0(SALU_CYCLE_1)
	s_and_b32 s65, s65, exec_lo
.LBB53_172:                             ;   in Loop: Header=BB53_4 Depth=1
	s_delay_alu instid0(VALU_DEP_1) | instskip(NEXT) | instid1(VALU_DEP_1)
	v_readlane_b32 s66, v9, 0
	s_or_b32 exec_lo, exec_lo, s66
	s_delay_alu instid0(SALU_CYCLE_1)
	s_and_b32 s65, s65, exec_lo
.LBB53_173:                             ;   in Loop: Header=BB53_4 Depth=1
	s_delay_alu instid0(VALU_DEP_1) | instskip(NEXT) | instid1(VALU_DEP_1)
	v_readlane_b32 s66, v10, 31
	s_or_b32 exec_lo, exec_lo, s66
	s_delay_alu instid0(SALU_CYCLE_1)
	s_and_b32 s65, s65, exec_lo
.LBB53_174:                             ;   in Loop: Header=BB53_4 Depth=1
	s_delay_alu instid0(VALU_DEP_1) | instskip(NEXT) | instid1(VALU_DEP_1)
	v_readlane_b32 s66, v10, 30
	s_or_b32 exec_lo, exec_lo, s66
	s_delay_alu instid0(SALU_CYCLE_1)
	s_and_b32 s65, s65, exec_lo
.LBB53_175:                             ;   in Loop: Header=BB53_4 Depth=1
	s_delay_alu instid0(VALU_DEP_1) | instskip(NEXT) | instid1(VALU_DEP_1)
	v_readlane_b32 s66, v10, 29
	s_or_b32 exec_lo, exec_lo, s66
	s_delay_alu instid0(SALU_CYCLE_1)
	s_and_b32 s65, s65, exec_lo
.LBB53_176:                             ;   in Loop: Header=BB53_4 Depth=1
	s_delay_alu instid0(VALU_DEP_1) | instskip(NEXT) | instid1(VALU_DEP_1)
	v_readlane_b32 s66, v10, 28
	s_or_b32 exec_lo, exec_lo, s66
	s_delay_alu instid0(SALU_CYCLE_1)
	s_and_b32 s65, s65, exec_lo
.LBB53_177:                             ;   in Loop: Header=BB53_4 Depth=1
	s_delay_alu instid0(VALU_DEP_1) | instskip(NEXT) | instid1(VALU_DEP_1)
	v_readlane_b32 s66, v10, 27
	s_or_b32 exec_lo, exec_lo, s66
	s_delay_alu instid0(SALU_CYCLE_1)
	s_and_b32 s65, s65, exec_lo
.LBB53_178:                             ;   in Loop: Header=BB53_4 Depth=1
	s_delay_alu instid0(VALU_DEP_1) | instskip(NEXT) | instid1(VALU_DEP_1)
	v_readlane_b32 s66, v10, 26
	s_or_b32 exec_lo, exec_lo, s66
	s_delay_alu instid0(SALU_CYCLE_1)
	s_and_b32 s65, s65, exec_lo
.LBB53_179:                             ;   in Loop: Header=BB53_4 Depth=1
	s_delay_alu instid0(VALU_DEP_1) | instskip(NEXT) | instid1(VALU_DEP_1)
	v_readlane_b32 s66, v10, 25
	s_or_b32 exec_lo, exec_lo, s66
	s_delay_alu instid0(SALU_CYCLE_1)
	s_and_b32 s65, s65, exec_lo
.LBB53_180:                             ;   in Loop: Header=BB53_4 Depth=1
	s_delay_alu instid0(VALU_DEP_1) | instskip(NEXT) | instid1(VALU_DEP_1)
	v_readlane_b32 s66, v10, 24
	s_or_b32 exec_lo, exec_lo, s66
	s_delay_alu instid0(SALU_CYCLE_1)
	s_and_b32 s65, s65, exec_lo
.LBB53_181:                             ;   in Loop: Header=BB53_4 Depth=1
	s_delay_alu instid0(VALU_DEP_1) | instskip(NEXT) | instid1(VALU_DEP_1)
	v_readlane_b32 s66, v10, 23
	s_or_b32 exec_lo, exec_lo, s66
	s_delay_alu instid0(SALU_CYCLE_1)
	s_and_b32 s65, s65, exec_lo
.LBB53_182:                             ;   in Loop: Header=BB53_4 Depth=1
	s_delay_alu instid0(VALU_DEP_1) | instskip(NEXT) | instid1(VALU_DEP_1)
	v_readlane_b32 s66, v10, 22
	s_or_b32 exec_lo, exec_lo, s66
	s_delay_alu instid0(SALU_CYCLE_1)
	s_and_b32 s65, s65, exec_lo
.LBB53_183:                             ;   in Loop: Header=BB53_4 Depth=1
	s_delay_alu instid0(VALU_DEP_1) | instskip(NEXT) | instid1(VALU_DEP_1)
	v_readlane_b32 s66, v10, 21
	s_or_b32 exec_lo, exec_lo, s66
	s_delay_alu instid0(SALU_CYCLE_1)
	s_and_b32 s65, s65, exec_lo
.LBB53_184:                             ;   in Loop: Header=BB53_4 Depth=1
	s_delay_alu instid0(VALU_DEP_1) | instskip(NEXT) | instid1(VALU_DEP_1)
	v_readlane_b32 s66, v10, 20
	s_or_b32 exec_lo, exec_lo, s66
	s_delay_alu instid0(SALU_CYCLE_1)
	s_and_b32 s65, s65, exec_lo
.LBB53_185:                             ;   in Loop: Header=BB53_4 Depth=1
	s_delay_alu instid0(VALU_DEP_1) | instskip(NEXT) | instid1(VALU_DEP_1)
	v_readlane_b32 s66, v10, 19
	s_or_b32 exec_lo, exec_lo, s66
	s_delay_alu instid0(SALU_CYCLE_1)
	s_and_b32 s65, s65, exec_lo
.LBB53_186:                             ;   in Loop: Header=BB53_4 Depth=1
	s_delay_alu instid0(VALU_DEP_1) | instskip(NEXT) | instid1(VALU_DEP_1)
	v_readlane_b32 s66, v10, 18
	s_or_b32 exec_lo, exec_lo, s66
	s_delay_alu instid0(SALU_CYCLE_1)
	s_and_b32 s65, s65, exec_lo
.LBB53_187:                             ;   in Loop: Header=BB53_4 Depth=1
	s_delay_alu instid0(VALU_DEP_1) | instskip(NEXT) | instid1(VALU_DEP_1)
	v_readlane_b32 s66, v10, 17
	s_or_b32 exec_lo, exec_lo, s66
	s_delay_alu instid0(SALU_CYCLE_1)
	s_and_b32 s65, s65, exec_lo
.LBB53_188:                             ;   in Loop: Header=BB53_4 Depth=1
	s_delay_alu instid0(VALU_DEP_1) | instskip(NEXT) | instid1(VALU_DEP_1)
	v_readlane_b32 s66, v10, 16
	s_or_b32 exec_lo, exec_lo, s66
	s_delay_alu instid0(SALU_CYCLE_1)
	s_and_b32 s65, s65, exec_lo
.LBB53_189:                             ;   in Loop: Header=BB53_4 Depth=1
	s_delay_alu instid0(VALU_DEP_1) | instskip(NEXT) | instid1(VALU_DEP_1)
	v_readlane_b32 s66, v10, 15
	s_or_b32 exec_lo, exec_lo, s66
	s_delay_alu instid0(SALU_CYCLE_1)
	s_and_b32 s65, s65, exec_lo
.LBB53_190:                             ;   in Loop: Header=BB53_4 Depth=1
	s_delay_alu instid0(VALU_DEP_1) | instskip(NEXT) | instid1(VALU_DEP_1)
	v_readlane_b32 s66, v10, 14
	s_or_b32 exec_lo, exec_lo, s66
	s_delay_alu instid0(SALU_CYCLE_1)
	s_and_b32 s65, s65, exec_lo
.LBB53_191:                             ;   in Loop: Header=BB53_4 Depth=1
	s_delay_alu instid0(VALU_DEP_1) | instskip(NEXT) | instid1(VALU_DEP_1)
	v_readlane_b32 s66, v10, 13
	s_or_b32 exec_lo, exec_lo, s66
	s_delay_alu instid0(SALU_CYCLE_1)
	s_and_b32 s65, s65, exec_lo
.LBB53_192:                             ;   in Loop: Header=BB53_4 Depth=1
	s_delay_alu instid0(VALU_DEP_1) | instskip(NEXT) | instid1(VALU_DEP_1)
	v_readlane_b32 s66, v10, 12
	s_or_b32 exec_lo, exec_lo, s66
	s_delay_alu instid0(SALU_CYCLE_1)
	s_and_b32 s65, s65, exec_lo
.LBB53_193:                             ;   in Loop: Header=BB53_4 Depth=1
	s_delay_alu instid0(VALU_DEP_1) | instskip(NEXT) | instid1(VALU_DEP_1)
	v_readlane_b32 s66, v10, 11
	s_or_b32 exec_lo, exec_lo, s66
	s_delay_alu instid0(SALU_CYCLE_1)
	s_and_b32 s65, s65, exec_lo
.LBB53_194:                             ;   in Loop: Header=BB53_4 Depth=1
	s_delay_alu instid0(VALU_DEP_1) | instskip(NEXT) | instid1(VALU_DEP_1)
	v_readlane_b32 s66, v10, 10
	s_or_b32 exec_lo, exec_lo, s66
	s_delay_alu instid0(SALU_CYCLE_1)
	s_and_b32 s65, s65, exec_lo
.LBB53_195:                             ;   in Loop: Header=BB53_4 Depth=1
	s_delay_alu instid0(VALU_DEP_1) | instskip(NEXT) | instid1(VALU_DEP_1)
	v_readlane_b32 s66, v10, 9
	s_or_b32 exec_lo, exec_lo, s66
	s_delay_alu instid0(SALU_CYCLE_1)
	s_and_b32 s65, s65, exec_lo
.LBB53_196:                             ;   in Loop: Header=BB53_4 Depth=1
	s_delay_alu instid0(VALU_DEP_1) | instskip(NEXT) | instid1(VALU_DEP_1)
	v_readlane_b32 s66, v10, 8
	s_or_b32 exec_lo, exec_lo, s66
	s_delay_alu instid0(SALU_CYCLE_1)
	s_and_b32 s65, s65, exec_lo
.LBB53_197:                             ;   in Loop: Header=BB53_4 Depth=1
	s_delay_alu instid0(VALU_DEP_1) | instskip(NEXT) | instid1(VALU_DEP_1)
	v_readlane_b32 s66, v10, 7
	s_or_b32 exec_lo, exec_lo, s66
	s_delay_alu instid0(SALU_CYCLE_1)
	s_and_b32 s65, s65, exec_lo
.LBB53_198:                             ;   in Loop: Header=BB53_4 Depth=1
	s_delay_alu instid0(VALU_DEP_1) | instskip(NEXT) | instid1(VALU_DEP_1)
	v_readlane_b32 s66, v10, 6
	s_or_b32 exec_lo, exec_lo, s66
	s_delay_alu instid0(SALU_CYCLE_1)
	s_and_b32 s65, s65, exec_lo
.LBB53_199:                             ;   in Loop: Header=BB53_4 Depth=1
	s_delay_alu instid0(VALU_DEP_1) | instskip(NEXT) | instid1(VALU_DEP_1)
	v_readlane_b32 s66, v10, 5
	s_or_b32 exec_lo, exec_lo, s66
	s_delay_alu instid0(SALU_CYCLE_1)
	s_and_b32 s65, s65, exec_lo
.LBB53_200:                             ;   in Loop: Header=BB53_4 Depth=1
	s_delay_alu instid0(VALU_DEP_1) | instskip(NEXT) | instid1(VALU_DEP_1)
	v_readlane_b32 s66, v10, 4
	s_or_b32 exec_lo, exec_lo, s66
	s_delay_alu instid0(SALU_CYCLE_1)
	s_and_b32 s65, s65, exec_lo
.LBB53_201:                             ;   in Loop: Header=BB53_4 Depth=1
	s_delay_alu instid0(VALU_DEP_1) | instskip(NEXT) | instid1(VALU_DEP_1)
	v_readlane_b32 s66, v10, 3
	s_or_b32 exec_lo, exec_lo, s66
	s_delay_alu instid0(SALU_CYCLE_1)
	s_and_b32 s65, s65, exec_lo
.LBB53_202:                             ;   in Loop: Header=BB53_4 Depth=1
	s_delay_alu instid0(VALU_DEP_1) | instskip(NEXT) | instid1(VALU_DEP_1)
	v_readlane_b32 s66, v10, 2
	s_or_b32 exec_lo, exec_lo, s66
	s_delay_alu instid0(SALU_CYCLE_1)
	s_and_b32 s65, s65, exec_lo
.LBB53_203:                             ;   in Loop: Header=BB53_4 Depth=1
	s_delay_alu instid0(VALU_DEP_1) | instskip(NEXT) | instid1(VALU_DEP_1)
	v_readlane_b32 s66, v10, 1
	s_or_b32 exec_lo, exec_lo, s66
	s_delay_alu instid0(SALU_CYCLE_1)
	s_and_b32 s65, s65, exec_lo
.LBB53_204:                             ;   in Loop: Header=BB53_4 Depth=1
	s_delay_alu instid0(VALU_DEP_1) | instskip(NEXT) | instid1(VALU_DEP_1)
	v_readlane_b32 s66, v10, 0
	s_or_b32 exec_lo, exec_lo, s66
	s_delay_alu instid0(SALU_CYCLE_1)
	s_and_b32 s65, s65, exec_lo
.LBB53_205:                             ;   in Loop: Header=BB53_4 Depth=1
	s_or_b32 exec_lo, exec_lo, s64
	s_delay_alu instid0(SALU_CYCLE_1)
	s_and_b32 s64, s65, exec_lo
.LBB53_206:                             ;   in Loop: Header=BB53_4 Depth=1
	s_or_b32 exec_lo, exec_lo, s63
	s_delay_alu instid0(SALU_CYCLE_1)
	s_and_b32 s63, s64, exec_lo
.LBB53_207:                             ;   in Loop: Header=BB53_4 Depth=1
	s_or_b32 exec_lo, exec_lo, s62
	s_delay_alu instid0(SALU_CYCLE_1)
	s_and_b32 s62, s63, exec_lo
.LBB53_208:                             ;   in Loop: Header=BB53_4 Depth=1
	s_or_b32 exec_lo, exec_lo, s61
	s_delay_alu instid0(SALU_CYCLE_1)
	s_and_b32 s61, s62, exec_lo
.LBB53_209:                             ;   in Loop: Header=BB53_4 Depth=1
	s_or_b32 exec_lo, exec_lo, s60
	s_delay_alu instid0(SALU_CYCLE_1)
	s_and_b32 s60, s61, exec_lo
.LBB53_210:                             ;   in Loop: Header=BB53_4 Depth=1
	s_or_b32 exec_lo, exec_lo, s59
	s_delay_alu instid0(SALU_CYCLE_1)
	s_and_b32 s59, s60, exec_lo
.LBB53_211:                             ;   in Loop: Header=BB53_4 Depth=1
	s_or_b32 exec_lo, exec_lo, s58
	s_delay_alu instid0(SALU_CYCLE_1)
	s_and_b32 s58, s59, exec_lo
.LBB53_212:                             ;   in Loop: Header=BB53_4 Depth=1
	s_or_b32 exec_lo, exec_lo, s57
	s_delay_alu instid0(SALU_CYCLE_1)
	s_and_b32 s57, s58, exec_lo
.LBB53_213:                             ;   in Loop: Header=BB53_4 Depth=1
	s_or_b32 exec_lo, exec_lo, s56
	s_delay_alu instid0(SALU_CYCLE_1)
	s_and_b32 s56, s57, exec_lo
.LBB53_214:                             ;   in Loop: Header=BB53_4 Depth=1
	s_or_b32 exec_lo, exec_lo, s55
	s_delay_alu instid0(SALU_CYCLE_1)
	s_and_b32 s55, s56, exec_lo
.LBB53_215:                             ;   in Loop: Header=BB53_4 Depth=1
	s_or_b32 exec_lo, exec_lo, s54
	s_delay_alu instid0(SALU_CYCLE_1)
	s_and_b32 s54, s55, exec_lo
.LBB53_216:                             ;   in Loop: Header=BB53_4 Depth=1
	s_or_b32 exec_lo, exec_lo, s53
	s_delay_alu instid0(SALU_CYCLE_1)
	s_and_b32 s53, s54, exec_lo
.LBB53_217:                             ;   in Loop: Header=BB53_4 Depth=1
	s_or_b32 exec_lo, exec_lo, s52
	s_delay_alu instid0(SALU_CYCLE_1)
	s_and_b32 s52, s53, exec_lo
.LBB53_218:                             ;   in Loop: Header=BB53_4 Depth=1
	s_or_b32 exec_lo, exec_lo, s51
	s_delay_alu instid0(SALU_CYCLE_1)
	s_and_b32 s51, s52, exec_lo
.LBB53_219:                             ;   in Loop: Header=BB53_4 Depth=1
	s_or_b32 exec_lo, exec_lo, s50
	s_delay_alu instid0(SALU_CYCLE_1)
	s_and_b32 s50, s51, exec_lo
.LBB53_220:                             ;   in Loop: Header=BB53_4 Depth=1
	s_or_b32 exec_lo, exec_lo, s49
	s_delay_alu instid0(SALU_CYCLE_1)
	s_and_b32 s49, s50, exec_lo
.LBB53_221:                             ;   in Loop: Header=BB53_4 Depth=1
	s_or_b32 exec_lo, exec_lo, s48
	s_delay_alu instid0(SALU_CYCLE_1)
	s_and_b32 s48, s49, exec_lo
.LBB53_222:                             ;   in Loop: Header=BB53_4 Depth=1
	s_or_b32 exec_lo, exec_lo, s47
	s_delay_alu instid0(SALU_CYCLE_1)
	s_and_b32 s47, s48, exec_lo
.LBB53_223:                             ;   in Loop: Header=BB53_4 Depth=1
	s_or_b32 exec_lo, exec_lo, s46
	s_delay_alu instid0(SALU_CYCLE_1)
	s_and_b32 s46, s47, exec_lo
.LBB53_224:                             ;   in Loop: Header=BB53_4 Depth=1
	s_or_b32 exec_lo, exec_lo, s45
	s_delay_alu instid0(SALU_CYCLE_1)
	s_and_b32 s45, s46, exec_lo
.LBB53_225:                             ;   in Loop: Header=BB53_4 Depth=1
	s_or_b32 exec_lo, exec_lo, s44
	s_delay_alu instid0(SALU_CYCLE_1)
	s_and_b32 s44, s45, exec_lo
.LBB53_226:                             ;   in Loop: Header=BB53_4 Depth=1
	s_or_b32 exec_lo, exec_lo, s43
	s_delay_alu instid0(SALU_CYCLE_1)
	s_and_b32 s43, s44, exec_lo
.LBB53_227:                             ;   in Loop: Header=BB53_4 Depth=1
	s_or_b32 exec_lo, exec_lo, s42
	s_delay_alu instid0(SALU_CYCLE_1)
	s_and_b32 s42, s43, exec_lo
.LBB53_228:                             ;   in Loop: Header=BB53_4 Depth=1
	s_or_b32 exec_lo, exec_lo, s41
	s_delay_alu instid0(SALU_CYCLE_1)
	s_and_b32 s41, s42, exec_lo
.LBB53_229:                             ;   in Loop: Header=BB53_4 Depth=1
	s_or_b32 exec_lo, exec_lo, s40
	s_delay_alu instid0(SALU_CYCLE_1)
	s_and_b32 s40, s41, exec_lo
.LBB53_230:                             ;   in Loop: Header=BB53_4 Depth=1
	s_or_b32 exec_lo, exec_lo, s39
	s_delay_alu instid0(SALU_CYCLE_1)
	s_and_b32 s39, s40, exec_lo
.LBB53_231:                             ;   in Loop: Header=BB53_4 Depth=1
	s_or_b32 exec_lo, exec_lo, s38
	s_delay_alu instid0(SALU_CYCLE_1)
	s_and_b32 s38, s39, exec_lo
.LBB53_232:                             ;   in Loop: Header=BB53_4 Depth=1
	s_or_b32 exec_lo, exec_lo, s37
	s_delay_alu instid0(SALU_CYCLE_1)
	s_and_b32 s37, s38, exec_lo
.LBB53_233:                             ;   in Loop: Header=BB53_4 Depth=1
	s_or_b32 exec_lo, exec_lo, s36
	s_delay_alu instid0(SALU_CYCLE_1)
	s_and_b32 s36, s37, exec_lo
.LBB53_234:                             ;   in Loop: Header=BB53_4 Depth=1
	s_or_b32 exec_lo, exec_lo, s35
	s_delay_alu instid0(SALU_CYCLE_1)
	s_and_b32 s35, s36, exec_lo
.LBB53_235:                             ;   in Loop: Header=BB53_4 Depth=1
	s_or_b32 exec_lo, exec_lo, s34
	s_delay_alu instid0(SALU_CYCLE_1)
	s_and_b32 s34, s35, exec_lo
.LBB53_236:                             ;   in Loop: Header=BB53_4 Depth=1
	s_or_b32 exec_lo, exec_lo, s33
	s_delay_alu instid0(SALU_CYCLE_1)
	s_and_b32 s33, s34, exec_lo
.LBB53_237:                             ;   in Loop: Header=BB53_4 Depth=1
	s_or_b32 exec_lo, exec_lo, s31
	s_delay_alu instid0(SALU_CYCLE_1)
	s_and_b32 s31, s33, exec_lo
.LBB53_238:                             ;   in Loop: Header=BB53_4 Depth=1
	s_or_b32 exec_lo, exec_lo, s30
	s_delay_alu instid0(SALU_CYCLE_1)
	s_and_b32 s30, s31, exec_lo
.LBB53_239:                             ;   in Loop: Header=BB53_4 Depth=1
	s_or_b32 exec_lo, exec_lo, s29
	s_delay_alu instid0(SALU_CYCLE_1)
	s_and_b32 s29, s30, exec_lo
.LBB53_240:                             ;   in Loop: Header=BB53_4 Depth=1
	s_or_b32 exec_lo, exec_lo, s28
	s_delay_alu instid0(SALU_CYCLE_1)
	s_and_b32 s28, s29, exec_lo
.LBB53_241:                             ;   in Loop: Header=BB53_4 Depth=1
	s_or_b32 exec_lo, exec_lo, s27
	s_delay_alu instid0(SALU_CYCLE_1)
	s_and_b32 s27, s28, exec_lo
.LBB53_242:                             ;   in Loop: Header=BB53_4 Depth=1
	s_or_b32 exec_lo, exec_lo, s26
	s_delay_alu instid0(SALU_CYCLE_1)
	s_and_b32 s26, s27, exec_lo
.LBB53_243:                             ;   in Loop: Header=BB53_4 Depth=1
	s_or_b32 exec_lo, exec_lo, s25
	s_delay_alu instid0(SALU_CYCLE_1)
	s_and_b32 s25, s26, exec_lo
.LBB53_244:                             ;   in Loop: Header=BB53_4 Depth=1
	s_or_b32 exec_lo, exec_lo, s24
	s_delay_alu instid0(SALU_CYCLE_1)
	s_and_b32 s24, s25, exec_lo
.LBB53_245:                             ;   in Loop: Header=BB53_4 Depth=1
	s_or_b32 exec_lo, exec_lo, s23
	s_delay_alu instid0(SALU_CYCLE_1)
	s_and_b32 s23, s24, exec_lo
.LBB53_246:                             ;   in Loop: Header=BB53_4 Depth=1
	s_or_b32 exec_lo, exec_lo, s22
	s_delay_alu instid0(SALU_CYCLE_1)
	s_and_b32 s22, s23, exec_lo
.LBB53_247:                             ;   in Loop: Header=BB53_4 Depth=1
	s_or_b32 exec_lo, exec_lo, s21
	s_delay_alu instid0(SALU_CYCLE_1)
	s_and_b32 s21, s22, exec_lo
.LBB53_248:                             ;   in Loop: Header=BB53_4 Depth=1
	s_or_b32 exec_lo, exec_lo, s20
	s_delay_alu instid0(SALU_CYCLE_1)
	s_and_b32 s20, s21, exec_lo
.LBB53_249:                             ;   in Loop: Header=BB53_4 Depth=1
	s_or_b32 exec_lo, exec_lo, s19
	s_delay_alu instid0(SALU_CYCLE_1)
	s_and_b32 s19, s20, exec_lo
.LBB53_250:                             ;   in Loop: Header=BB53_4 Depth=1
	s_or_b32 exec_lo, exec_lo, s18
	s_delay_alu instid0(SALU_CYCLE_1)
	s_and_b32 s18, s19, exec_lo
.LBB53_251:                             ;   in Loop: Header=BB53_4 Depth=1
	s_or_b32 exec_lo, exec_lo, s17
	s_delay_alu instid0(SALU_CYCLE_1)
	s_and_b32 s17, s18, exec_lo
.LBB53_252:                             ;   in Loop: Header=BB53_4 Depth=1
	s_or_b32 exec_lo, exec_lo, s16
	s_delay_alu instid0(SALU_CYCLE_1)
	s_and_b32 s16, s17, exec_lo
.LBB53_253:                             ;   in Loop: Header=BB53_4 Depth=1
	s_or_b32 exec_lo, exec_lo, s13
	s_delay_alu instid0(SALU_CYCLE_1)
	s_and_b32 s13, s16, exec_lo
.LBB53_254:                             ;   in Loop: Header=BB53_4 Depth=1
	s_or_b32 exec_lo, exec_lo, s12
	s_delay_alu instid0(SALU_CYCLE_1)
	s_and_b32 s12, s13, exec_lo
.LBB53_255:                             ;   in Loop: Header=BB53_4 Depth=1
	s_or_b32 exec_lo, exec_lo, s11
	s_delay_alu instid0(SALU_CYCLE_1)
	s_and_b32 s11, s12, exec_lo
.LBB53_256:                             ;   in Loop: Header=BB53_4 Depth=1
	s_or_b32 exec_lo, exec_lo, s10
	s_delay_alu instid0(SALU_CYCLE_1)
	s_and_b32 s10, s11, exec_lo
.LBB53_257:                             ;   in Loop: Header=BB53_4 Depth=1
	s_or_b32 exec_lo, exec_lo, s8
	v_cndmask_b32_e64 v1, 0, 1, s10
	;;#ASMSTART
	;;#ASMEND
	s_delay_alu instid0(VALU_DEP_1)
	v_cmp_ne_u32_e32 vcc_lo, 0, v1
	s_mov_b32 s8, exec_lo
	s_and_saveexec_b32 s10, s0
	s_cbranch_execz .LBB53_3
; %bb.258:                              ;   in Loop: Header=BB53_4 Depth=1
	s_cmp_eq_u32 vcc_lo, s8
	s_cselect_b32 s8, -1, 0
	s_delay_alu instid0(SALU_CYCLE_1)
	v_cndmask_b32_e64 v1, 0, 1, s8
	ds_store_b32 v5, v1
	s_branch .LBB53_3
.LBB53_259:                             ;   in Loop: Header=BB53_4 Depth=1
                                        ; implicit-def: $sgpr5
	s_cbranch_execz .LBB53_4
.LBB53_260:
	s_mov_b32 s0, exec_lo
	v_cmpx_eq_u32_e32 0, v0
	s_cbranch_execz .LBB53_262
; %bb.261:
	s_mul_i32 s0, s1, s15
	v_dual_mov_b32 v0, 0 :: v_dual_mov_b32 v1, s2
	s_add_i32 s0, s0, s14
	s_delay_alu instid0(SALU_CYCLE_1) | instskip(NEXT) | instid1(SALU_CYCLE_1)
	s_ashr_i32 s1, s0, 31
	s_lshl_b64 s[0:1], s[0:1], 2
	s_delay_alu instid0(SALU_CYCLE_1)
	s_add_u32 s0, s6, s0
	s_addc_u32 s1, s7, s1
	global_store_b32 v0, v1, s[0:1]
.LBB53_262:
	s_nop 0
	s_sendmsg sendmsg(MSG_DEALLOC_VGPRS)
	s_endpgm
	.section	.rodata,"a",@progbits
	.p2align	6, 0x0
	.amdhsa_kernel _ZL25flash_attn_mask_to_KV_maxILi64EEvPK7__half2Piiii
		.amdhsa_group_segment_fixed_size 128
		.amdhsa_private_segment_fixed_size 0
		.amdhsa_kernarg_size 288
		.amdhsa_user_sgpr_count 14
		.amdhsa_user_sgpr_dispatch_ptr 0
		.amdhsa_user_sgpr_queue_ptr 0
		.amdhsa_user_sgpr_kernarg_segment_ptr 1
		.amdhsa_user_sgpr_dispatch_id 0
		.amdhsa_user_sgpr_private_segment_size 0
		.amdhsa_wavefront_size32 1
		.amdhsa_uses_dynamic_stack 0
		.amdhsa_enable_private_segment 0
		.amdhsa_system_sgpr_workgroup_id_x 1
		.amdhsa_system_sgpr_workgroup_id_y 1
		.amdhsa_system_sgpr_workgroup_id_z 0
		.amdhsa_system_sgpr_workgroup_info 0
		.amdhsa_system_vgpr_workitem_id 0
		.amdhsa_next_free_vgpr 11
		.amdhsa_next_free_sgpr 105
		.amdhsa_reserve_vcc 1
		.amdhsa_float_round_mode_32 0
		.amdhsa_float_round_mode_16_64 0
		.amdhsa_float_denorm_mode_32 3
		.amdhsa_float_denorm_mode_16_64 3
		.amdhsa_dx10_clamp 1
		.amdhsa_ieee_mode 1
		.amdhsa_fp16_overflow 0
		.amdhsa_workgroup_processor_mode 1
		.amdhsa_memory_ordered 1
		.amdhsa_forward_progress 0
		.amdhsa_shared_vgpr_count 0
		.amdhsa_exception_fp_ieee_invalid_op 0
		.amdhsa_exception_fp_denorm_src 0
		.amdhsa_exception_fp_ieee_div_zero 0
		.amdhsa_exception_fp_ieee_overflow 0
		.amdhsa_exception_fp_ieee_underflow 0
		.amdhsa_exception_fp_ieee_inexact 0
		.amdhsa_exception_int_div_zero 0
	.end_amdhsa_kernel
	.section	.text._ZL25flash_attn_mask_to_KV_maxILi64EEvPK7__half2Piiii,"axG",@progbits,_ZL25flash_attn_mask_to_KV_maxILi64EEvPK7__half2Piiii,comdat
.Lfunc_end53:
	.size	_ZL25flash_attn_mask_to_KV_maxILi64EEvPK7__half2Piiii, .Lfunc_end53-_ZL25flash_attn_mask_to_KV_maxILi64EEvPK7__half2Piiii
                                        ; -- End function
	.section	.AMDGPU.csdata,"",@progbits
; Kernel info:
; codeLenInByte = 9596
; NumSgprs: 107
; NumVgprs: 11
; ScratchSize: 0
; MemoryBound: 0
; FloatMode: 240
; IeeeMode: 1
; LDSByteSize: 128 bytes/workgroup (compile time only)
; SGPRBlocks: 13
; VGPRBlocks: 1
; NumSGPRsForWavesPerEU: 107
; NumVGPRsForWavesPerEU: 11
; Occupancy: 16
; WaveLimiterHint : 0
; COMPUTE_PGM_RSRC2:SCRATCH_EN: 0
; COMPUTE_PGM_RSRC2:USER_SGPR: 14
; COMPUTE_PGM_RSRC2:TRAP_HANDLER: 0
; COMPUTE_PGM_RSRC2:TGID_X_EN: 1
; COMPUTE_PGM_RSRC2:TGID_Y_EN: 1
; COMPUTE_PGM_RSRC2:TGID_Z_EN: 0
; COMPUTE_PGM_RSRC2:TIDIG_COMP_CNT: 0
	.section	.text._ZL33flash_attn_stream_k_fixup_uniformILi128ELi64ELi1EEvPfPK15HIP_vector_typeIfLj2EEiiiiiiS1_IjLj3EES5_S5_,"axG",@progbits,_ZL33flash_attn_stream_k_fixup_uniformILi128ELi64ELi1EEvPfPK15HIP_vector_typeIfLj2EEiiiiiiS1_IjLj3EES5_S5_,comdat
	.globl	_ZL33flash_attn_stream_k_fixup_uniformILi128ELi64ELi1EEvPfPK15HIP_vector_typeIfLj2EEiiiiiiS1_IjLj3EES5_S5_ ; -- Begin function _ZL33flash_attn_stream_k_fixup_uniformILi128ELi64ELi1EEvPfPK15HIP_vector_typeIfLj2EEiiiiiiS1_IjLj3EES5_S5_
	.p2align	8
	.type	_ZL33flash_attn_stream_k_fixup_uniformILi128ELi64ELi1EEvPfPK15HIP_vector_typeIfLj2EEiiiiiiS1_IjLj3EES5_S5_,@function
_ZL33flash_attn_stream_k_fixup_uniformILi128ELi64ELi1EEvPfPK15HIP_vector_typeIfLj2EEiiiiiiS1_IjLj3EES5_S5_: ; @_ZL33flash_attn_stream_k_fixup_uniformILi128ELi64ELi1EEvPfPK15HIP_vector_typeIfLj2EEiiiiiiS1_IjLj3EES5_S5_
; %bb.0:
	s_clause 0x1
	s_load_b256 s[4:11], s[0:1], 0x1c
	s_load_b128 s[16:19], s[0:1], 0x3c
	s_waitcnt lgkmcnt(0)
	s_mul_hi_u32 s2, s7, s13
	s_delay_alu instid0(SALU_CYCLE_1) | instskip(NEXT) | instid1(SALU_CYCLE_1)
	s_add_i32 s2, s13, s2
	s_lshr_b32 s2, s2, s8
	s_delay_alu instid0(SALU_CYCLE_1) | instskip(SKIP_2) | instid1(SALU_CYCLE_1)
	s_mul_i32 s3, s2, s9
	s_load_b64 s[8:9], s[0:1], 0x10
	s_sub_i32 s7, s13, s3
	s_mul_hi_u32 s3, s7, s10
	s_delay_alu instid0(SALU_CYCLE_1) | instskip(NEXT) | instid1(SALU_CYCLE_1)
	s_add_i32 s3, s7, s3
	s_lshr_b32 s3, s3, s11
	s_delay_alu instid0(SALU_CYCLE_1) | instskip(NEXT) | instid1(SALU_CYCLE_1)
	s_mul_i32 s10, s3, s16
	s_sub_i32 s10, s7, s10
	s_delay_alu instid0(SALU_CYCLE_1) | instskip(NEXT) | instid1(SALU_CYCLE_1)
	s_mul_hi_u32 s7, s10, s17
	s_add_i32 s7, s10, s7
	s_delay_alu instid0(SALU_CYCLE_1) | instskip(NEXT) | instid1(SALU_CYCLE_1)
	s_lshr_b32 s7, s7, s18
	s_mul_i32 s11, s7, s19
	s_delay_alu instid0(SALU_CYCLE_1) | instskip(NEXT) | instid1(SALU_CYCLE_1)
	s_sub_i32 s10, s10, s11
	s_lshl_b32 s11, s10, 6
	s_delay_alu instid0(SALU_CYCLE_1) | instskip(SKIP_4) | instid1(SALU_CYCLE_1)
	s_add_i32 s11, s11, s14
	s_waitcnt lgkmcnt(0)
	s_cmp_lt_i32 s11, s8
	s_cselect_b32 s11, -1, 0
	s_add_i32 s12, s7, s15
	s_cmp_lt_i32 s12, s5
	s_cselect_b32 s12, -1, 0
	s_delay_alu instid0(SALU_CYCLE_1) | instskip(NEXT) | instid1(SALU_CYCLE_1)
	s_and_b32 s11, s11, s12
	s_and_not1_b32 vcc_lo, exec_lo, s11
	s_cbranch_vccnz .LBB54_6
; %bb.1:
	s_mul_i32 s2, s2, s8
	s_mul_i32 s5, s3, s5
	s_add_i32 s2, s2, s14
	s_delay_alu instid0(SALU_CYCLE_1) | instskip(NEXT) | instid1(SALU_CYCLE_1)
	s_mul_i32 s2, s2, s9
	s_add_i32 s8, s2, s15
	s_load_b128 s[0:3], s[0:1], 0x0
	s_add_i32 s5, s8, s5
	s_mul_i32 s8, s9, s10
	s_add_i32 s5, s5, s7
	s_lshl_b32 s7, s8, 13
	s_lshl_b32 s5, s5, 7
	s_add_i32 s10, s14, s15
	s_add_i32 s7, s7, s5
	s_mul_i32 s5, s13, s6
	v_or_b32_e32 v1, s7, v0
	s_add_i32 s9, s5, s6
	s_delay_alu instid0(VALU_DEP_1) | instskip(NEXT) | instid1(VALU_DEP_1)
	v_ashrrev_i32_e32 v2, 31, v1
	v_lshlrev_b64 v[1:2], 2, v[1:2]
	s_waitcnt lgkmcnt(0)
	s_delay_alu instid0(VALU_DEP_1) | instskip(NEXT) | instid1(VALU_DEP_2)
	v_add_co_u32 v1, vcc_lo, s0, v1
	v_add_co_ci_u32_e32 v2, vcc_lo, s1, v2, vcc_lo
	s_lshl_b32 s0, s9, 6
	s_delay_alu instid0(SALU_CYCLE_1) | instskip(SKIP_2) | instid1(SALU_CYCLE_1)
	s_add_i32 s0, s10, s0
	global_load_b32 v5, v[1:2], off
	s_sub_i32 s0, s0, 64
	s_ashr_i32 s1, s0, 31
	s_delay_alu instid0(SALU_CYCLE_1) | instskip(NEXT) | instid1(SALU_CYCLE_1)
	s_lshl_b64 s[0:1], s[0:1], 3
	s_add_u32 s0, s2, s0
	s_addc_u32 s1, s3, s1
	s_add_i32 s7, s9, -2
	s_load_b32 s11, s[0:1], 0x4
	s_cmp_lt_i32 s7, s5
	s_cbranch_scc1 .LBB54_4
; %bb.2:
	s_lshl_b32 s14, s4, 8
	s_load_b32 s12, s[0:1], 0x0
	s_ashr_i32 s15, s14, 31
	s_delay_alu instid0(SALU_CYCLE_1) | instskip(NEXT) | instid1(SALU_CYCLE_1)
	s_lshl_b64 s[0:1], s[14:15], 2
	s_add_u32 s7, s2, s0
	s_addc_u32 s8, s3, s1
	s_add_i32 s13, s13, 1
	s_lshl_b32 s1, s10, 7
	s_mul_i32 s0, s6, s13
	s_delay_alu instid0(SALU_CYCLE_1)
	s_lshl_b32 s6, s0, 13
	s_lshl_b32 s0, s0, 6
	s_add_i32 s1, s1, s6
	s_add_i32 s0, s10, s0
	v_or_b32_e32 v0, s1, v0
	s_lshl_b32 s1, s4, 6
	s_waitcnt lgkmcnt(0)
	v_mov_b32_e32 v6, s11
	s_add_i32 s0, s0, s1
	s_add_i32 s4, s9, -1
	v_dual_mov_b32 v0, s12 :: v_dual_add_nc_u32 v3, 0xffffc000, v0
	s_addk_i32 s0, 0xff80
.LBB54_3:                               ; =>This Inner Loop Header: Depth=1
	s_delay_alu instid0(VALU_DEP_1) | instskip(SKIP_1) | instid1(SALU_CYCLE_1)
	v_ashrrev_i32_e32 v4, 31, v3
	s_ashr_i32 s1, s0, 31
	s_lshl_b64 s[10:11], s[0:1], 3
	s_delay_alu instid0(SALU_CYCLE_1) | instskip(NEXT) | instid1(VALU_DEP_1)
	s_add_u32 s10, s2, s10
	v_lshlrev_b64 v[7:8], 2, v[3:4]
	s_addc_u32 s11, s3, s11
	s_add_i32 s4, s4, -1
	s_sub_i32 s0, s0, 64
	s_cmp_le_i32 s4, s5
	s_load_b64 s[10:11], s[10:11], 0x0
	v_add_co_u32 v7, vcc_lo, s7, v7
	v_add_co_ci_u32_e32 v8, vcc_lo, s8, v8, vcc_lo
	global_load_b32 v4, v[7:8], off
	v_max_f32_e32 v7, v0, v0
	s_waitcnt lgkmcnt(0)
	v_max_f32_e64 v8, s10, s10
	s_delay_alu instid0(VALU_DEP_1) | instskip(NEXT) | instid1(VALU_DEP_1)
	v_max_f32_e32 v7, v7, v8
	v_sub_f32_e32 v8, s10, v7
	s_delay_alu instid0(VALU_DEP_1) | instskip(NEXT) | instid1(VALU_DEP_1)
	v_dual_sub_f32 v0, v0, v7 :: v_dual_mul_f32 v9, 0x3fb8aa3b, v8
	v_fma_f32 v10, 0x3fb8aa3b, v8, -v9
	v_rndne_f32_e32 v11, v9
	s_delay_alu instid0(VALU_DEP_3) | instskip(NEXT) | instid1(VALU_DEP_2)
	v_mul_f32_e32 v12, 0x3fb8aa3b, v0
	v_dual_fmac_f32 v10, 0x32a5705f, v8 :: v_dual_sub_f32 v9, v9, v11
	v_cvt_i32_f32_e32 v11, v11
	s_delay_alu instid0(VALU_DEP_3) | instskip(SKIP_1) | instid1(VALU_DEP_4)
	v_fma_f32 v13, 0x3fb8aa3b, v0, -v12
	v_rndne_f32_e32 v14, v12
	v_add_f32_e32 v9, v9, v10
	v_cmp_ngt_f32_e32 vcc_lo, 0xc2ce8ed0, v8
	s_delay_alu instid0(VALU_DEP_3) | instskip(NEXT) | instid1(VALU_DEP_3)
	v_sub_f32_e32 v10, v12, v14
	v_exp_f32_e32 v9, v9
	s_waitcnt_depctr 0xfff
	v_ldexp_f32 v9, v9, v11
	v_cvt_i32_f32_e32 v11, v14
	s_delay_alu instid0(VALU_DEP_2) | instskip(SKIP_1) | instid1(VALU_DEP_2)
	v_cndmask_b32_e32 v9, 0, v9, vcc_lo
	v_cmp_nlt_f32_e32 vcc_lo, 0x42b17218, v8
	v_cndmask_b32_e32 v9, 0x7f800000, v9, vcc_lo
	v_cmp_ngt_f32_e32 vcc_lo, 0xc2ce8ed0, v0
	v_fmac_f32_e32 v13, 0x32a5705f, v0
	s_delay_alu instid0(VALU_DEP_1) | instskip(NEXT) | instid1(VALU_DEP_1)
	v_add_f32_e32 v10, v10, v13
	v_exp_f32_e32 v10, v10
	s_waitcnt_depctr 0xfff
	v_ldexp_f32 v10, v10, v11
	s_delay_alu instid0(VALU_DEP_1)
	v_dual_mov_b32 v11, v6 :: v_dual_cndmask_b32 v10, 0, v10
	v_cmp_le_f32_e32 vcc_lo, 0xc1a00000, v8
	s_waitcnt vmcnt(1)
	v_dual_cndmask_b32 v8, 0, v9 :: v_dual_mov_b32 v9, v5
	v_cmp_nlt_f32_e32 vcc_lo, 0x42b17218, v0
	v_cndmask_b32_e32 v5, 0x7f800000, v10, vcc_lo
	s_delay_alu instid0(VALU_DEP_3) | instskip(SKIP_2) | instid1(VALU_DEP_3)
	v_mul_f32_e32 v10, s11, v8
	v_cmp_le_f32_e32 vcc_lo, 0xc1a00000, v0
	v_mov_b32_e32 v0, v7
	v_mov_b32_e32 v6, v10
	s_waitcnt vmcnt(0)
	v_dual_cndmask_b32 v12, 0, v5 :: v_dual_mul_f32 v5, v4, v8
	s_delay_alu instid0(VALU_DEP_1) | instskip(NEXT) | instid1(VALU_DEP_2)
	v_dual_fmac_f32 v6, v11, v12 :: v_dual_add_nc_u32 v3, 0xffffe000, v3
	v_fmac_f32_e32 v5, v9, v12
	s_cbranch_scc0 .LBB54_3
	s_branch .LBB54_5
.LBB54_4:
	s_waitcnt lgkmcnt(0)
	v_mov_b32_e32 v6, s11
.LBB54_5:
	s_waitcnt vmcnt(0)
	s_delay_alu instid0(VALU_DEP_1) | instskip(NEXT) | instid1(VALU_DEP_1)
	v_div_scale_f32 v0, null, v6, v6, v5
	v_rcp_f32_e32 v3, v0
	s_waitcnt_depctr 0xfff
	v_fma_f32 v4, -v0, v3, 1.0
	s_delay_alu instid0(VALU_DEP_1) | instskip(SKIP_1) | instid1(VALU_DEP_1)
	v_fmac_f32_e32 v3, v4, v3
	v_div_scale_f32 v4, vcc_lo, v5, v6, v5
	v_mul_f32_e32 v7, v4, v3
	s_delay_alu instid0(VALU_DEP_1) | instskip(NEXT) | instid1(VALU_DEP_1)
	v_fma_f32 v8, -v0, v7, v4
	v_fmac_f32_e32 v7, v8, v3
	s_delay_alu instid0(VALU_DEP_1) | instskip(NEXT) | instid1(VALU_DEP_1)
	v_fma_f32 v0, -v0, v7, v4
	v_div_fmas_f32 v0, v0, v3, v7
	s_delay_alu instid0(VALU_DEP_1)
	v_div_fixup_f32 v0, v0, v6, v5
	global_store_b32 v[1:2], v0, off
.LBB54_6:
	s_nop 0
	s_sendmsg sendmsg(MSG_DEALLOC_VGPRS)
	s_endpgm
	.section	.rodata,"a",@progbits
	.p2align	6, 0x0
	.amdhsa_kernel _ZL33flash_attn_stream_k_fixup_uniformILi128ELi64ELi1EEvPfPK15HIP_vector_typeIfLj2EEiiiiiiS1_IjLj3EES5_S5_
		.amdhsa_group_segment_fixed_size 0
		.amdhsa_private_segment_fixed_size 0
		.amdhsa_kernarg_size 76
		.amdhsa_user_sgpr_count 13
		.amdhsa_user_sgpr_dispatch_ptr 0
		.amdhsa_user_sgpr_queue_ptr 0
		.amdhsa_user_sgpr_kernarg_segment_ptr 1
		.amdhsa_user_sgpr_dispatch_id 0
		.amdhsa_user_sgpr_private_segment_size 0
		.amdhsa_wavefront_size32 1
		.amdhsa_uses_dynamic_stack 0
		.amdhsa_enable_private_segment 0
		.amdhsa_system_sgpr_workgroup_id_x 1
		.amdhsa_system_sgpr_workgroup_id_y 1
		.amdhsa_system_sgpr_workgroup_id_z 1
		.amdhsa_system_sgpr_workgroup_info 0
		.amdhsa_system_vgpr_workitem_id 0
		.amdhsa_next_free_vgpr 15
		.amdhsa_next_free_sgpr 20
		.amdhsa_reserve_vcc 1
		.amdhsa_float_round_mode_32 0
		.amdhsa_float_round_mode_16_64 0
		.amdhsa_float_denorm_mode_32 3
		.amdhsa_float_denorm_mode_16_64 3
		.amdhsa_dx10_clamp 1
		.amdhsa_ieee_mode 1
		.amdhsa_fp16_overflow 0
		.amdhsa_workgroup_processor_mode 1
		.amdhsa_memory_ordered 1
		.amdhsa_forward_progress 0
		.amdhsa_shared_vgpr_count 0
		.amdhsa_exception_fp_ieee_invalid_op 0
		.amdhsa_exception_fp_denorm_src 0
		.amdhsa_exception_fp_ieee_div_zero 0
		.amdhsa_exception_fp_ieee_overflow 0
		.amdhsa_exception_fp_ieee_underflow 0
		.amdhsa_exception_fp_ieee_inexact 0
		.amdhsa_exception_int_div_zero 0
	.end_amdhsa_kernel
	.section	.text._ZL33flash_attn_stream_k_fixup_uniformILi128ELi64ELi1EEvPfPK15HIP_vector_typeIfLj2EEiiiiiiS1_IjLj3EES5_S5_,"axG",@progbits,_ZL33flash_attn_stream_k_fixup_uniformILi128ELi64ELi1EEvPfPK15HIP_vector_typeIfLj2EEiiiiiiS1_IjLj3EES5_S5_,comdat
.Lfunc_end54:
	.size	_ZL33flash_attn_stream_k_fixup_uniformILi128ELi64ELi1EEvPfPK15HIP_vector_typeIfLj2EEiiiiiiS1_IjLj3EES5_S5_, .Lfunc_end54-_ZL33flash_attn_stream_k_fixup_uniformILi128ELi64ELi1EEvPfPK15HIP_vector_typeIfLj2EEiiiiiiS1_IjLj3EES5_S5_
                                        ; -- End function
	.section	.AMDGPU.csdata,"",@progbits
; Kernel info:
; codeLenInByte = 976
; NumSgprs: 22
; NumVgprs: 15
; ScratchSize: 0
; MemoryBound: 0
; FloatMode: 240
; IeeeMode: 1
; LDSByteSize: 0 bytes/workgroup (compile time only)
; SGPRBlocks: 2
; VGPRBlocks: 1
; NumSGPRsForWavesPerEU: 22
; NumVGPRsForWavesPerEU: 15
; Occupancy: 16
; WaveLimiterHint : 0
; COMPUTE_PGM_RSRC2:SCRATCH_EN: 0
; COMPUTE_PGM_RSRC2:USER_SGPR: 13
; COMPUTE_PGM_RSRC2:TRAP_HANDLER: 0
; COMPUTE_PGM_RSRC2:TGID_X_EN: 1
; COMPUTE_PGM_RSRC2:TGID_Y_EN: 1
; COMPUTE_PGM_RSRC2:TGID_Z_EN: 1
; COMPUTE_PGM_RSRC2:TIDIG_COMP_CNT: 0
	.section	.text._ZL33flash_attn_stream_k_fixup_generalILi128ELi64ELi1EEvPfPK15HIP_vector_typeIfLj2EEiiiiS1_IjLj3EES5_S5_S5_,"axG",@progbits,_ZL33flash_attn_stream_k_fixup_generalILi128ELi64ELi1EEvPfPK15HIP_vector_typeIfLj2EEiiiiS1_IjLj3EES5_S5_S5_,comdat
	.globl	_ZL33flash_attn_stream_k_fixup_generalILi128ELi64ELi1EEvPfPK15HIP_vector_typeIfLj2EEiiiiS1_IjLj3EES5_S5_S5_ ; -- Begin function _ZL33flash_attn_stream_k_fixup_generalILi128ELi64ELi1EEvPfPK15HIP_vector_typeIfLj2EEiiiiS1_IjLj3EES5_S5_S5_
	.p2align	8
	.type	_ZL33flash_attn_stream_k_fixup_generalILi128ELi64ELi1EEvPfPK15HIP_vector_typeIfLj2EEiiiiS1_IjLj3EES5_S5_S5_,@function
_ZL33flash_attn_stream_k_fixup_generalILi128ELi64ELi1EEvPfPK15HIP_vector_typeIfLj2EEiiiiS1_IjLj3EES5_S5_S5_: ; @_ZL33flash_attn_stream_k_fixup_generalILi128ELi64ELi1EEvPfPK15HIP_vector_typeIfLj2EEiiiiS1_IjLj3EES5_S5_S5_
; %bb.0:
	s_clause 0x1
	s_load_b128 s[4:7], s[0:1], 0x10
	s_load_b32 s20, s[0:1], 0x50
	s_mov_b32 s2, 0
	s_waitcnt lgkmcnt(0)
	s_mul_hi_i32 s3, s7, s13
	s_mul_i32 s12, s7, s13
	s_cmp_lg_u64 s[2:3], 0
	s_cbranch_scc0 .LBB55_21
; %bb.1:
	v_cvt_f32_ubyte0_e32 v1, 0
	v_cvt_f32_u32_e32 v2, s20
	s_sub_u32 s10, 0, s20
	s_subb_u32 s11, 0, 0
	s_delay_alu instid0(VALU_DEP_1) | instskip(NEXT) | instid1(VALU_DEP_1)
	v_fmamk_f32 v1, v1, 0x4f800000, v2
	v_rcp_f32_e32 v1, v1
	s_waitcnt_depctr 0xfff
	v_mul_f32_e32 v1, 0x5f7ffffc, v1
	s_delay_alu instid0(VALU_DEP_1) | instskip(NEXT) | instid1(VALU_DEP_1)
	v_mul_f32_e32 v2, 0x2f800000, v1
	v_trunc_f32_e32 v2, v2
	s_delay_alu instid0(VALU_DEP_1) | instskip(SKIP_1) | instid1(VALU_DEP_2)
	v_fmamk_f32 v1, v2, 0xcf800000, v1
	v_cvt_u32_f32_e32 v2, v2
	v_cvt_u32_f32_e32 v1, v1
	s_delay_alu instid0(VALU_DEP_2) | instskip(NEXT) | instid1(VALU_DEP_2)
	v_readfirstlane_b32 s8, v2
	v_readfirstlane_b32 s9, v1
	s_delay_alu instid0(VALU_DEP_2) | instskip(NEXT) | instid1(VALU_DEP_1)
	s_mul_i32 s16, s10, s8
	s_mul_hi_u32 s18, s10, s9
	s_mul_i32 s17, s11, s9
	s_add_i32 s16, s18, s16
	s_mul_i32 s19, s10, s9
	s_add_i32 s16, s16, s17
	s_mul_hi_u32 s18, s9, s19
	s_mul_hi_u32 s21, s8, s19
	s_mul_i32 s17, s8, s19
	s_mul_hi_u32 s19, s9, s16
	s_mul_i32 s9, s9, s16
	s_mul_hi_u32 s22, s8, s16
	s_add_u32 s9, s18, s9
	s_addc_u32 s18, 0, s19
	s_add_u32 s9, s9, s17
	s_mul_i32 s16, s8, s16
	s_addc_u32 s9, s18, s21
	s_addc_u32 s17, s22, 0
	s_add_u32 s9, s9, s16
	s_addc_u32 s16, 0, s17
	v_add_co_u32 v1, s9, v1, s9
	s_delay_alu instid0(VALU_DEP_1) | instskip(SKIP_1) | instid1(VALU_DEP_1)
	s_cmp_lg_u32 s9, 0
	s_addc_u32 s8, s8, s16
	v_readfirstlane_b32 s9, v1
	s_mul_i32 s16, s10, s8
	s_delay_alu instid0(VALU_DEP_1)
	s_mul_hi_u32 s17, s10, s9
	s_mul_i32 s11, s11, s9
	s_add_i32 s16, s17, s16
	s_mul_i32 s10, s10, s9
	s_add_i32 s16, s16, s11
	s_mul_hi_u32 s17, s8, s10
	s_mul_i32 s18, s8, s10
	s_mul_hi_u32 s10, s9, s10
	s_mul_hi_u32 s19, s9, s16
	s_mul_i32 s9, s9, s16
	s_mul_hi_u32 s11, s8, s16
	s_add_u32 s9, s10, s9
	s_addc_u32 s10, 0, s19
	s_add_u32 s9, s9, s18
	s_mul_i32 s16, s8, s16
	s_addc_u32 s9, s10, s17
	s_addc_u32 s10, s11, 0
	s_add_u32 s9, s9, s16
	s_addc_u32 s10, 0, s10
	v_add_co_u32 v1, s9, v1, s9
	s_delay_alu instid0(VALU_DEP_1) | instskip(SKIP_2) | instid1(SALU_CYCLE_1)
	s_cmp_lg_u32 s9, 0
	s_addc_u32 s16, s8, s10
	s_ashr_i32 s8, s3, 31
	s_add_u32 s10, s12, s8
	s_addc_u32 s11, s3, s8
	v_readfirstlane_b32 s3, v1
	s_mov_b32 s9, s8
	s_delay_alu instid0(SALU_CYCLE_1) | instskip(NEXT) | instid1(SALU_CYCLE_1)
	s_xor_b64 s[10:11], s[10:11], s[8:9]
	s_mul_i32 s18, s10, s16
	s_delay_alu instid0(VALU_DEP_1)
	s_mul_hi_u32 s19, s10, s3
	s_mul_hi_u32 s17, s10, s16
	;; [unrolled: 1-line block ×3, first 2 shown]
	s_mul_i32 s3, s11, s3
	s_add_u32 s18, s19, s18
	s_addc_u32 s17, 0, s17
	s_mul_hi_u32 s21, s11, s16
	s_add_u32 s3, s18, s3
	s_mul_i32 s16, s11, s16
	s_addc_u32 s3, s17, s22
	s_addc_u32 s17, s21, 0
	s_add_u32 s3, s3, s16
	s_addc_u32 s16, 0, s17
	s_mul_i32 s18, s20, s3
	s_add_u32 s17, s3, 1
	v_sub_co_u32 v1, s10, s10, s18
	s_mul_hi_u32 s18, s20, s3
	s_addc_u32 s19, s16, 0
	s_mul_i32 s21, s20, s16
	s_delay_alu instid0(VALU_DEP_1)
	v_sub_co_u32 v2, s22, v1, s20
	s_add_u32 s23, s3, 2
	s_addc_u32 s24, s16, 0
	s_add_i32 s18, s18, s21
	s_cmp_lg_u32 s10, 0
	v_readfirstlane_b32 s10, v2
	s_subb_u32 s11, s11, s18
	s_cmp_lg_u32 s22, 0
	s_subb_u32 s18, s11, 0
	s_delay_alu instid0(VALU_DEP_1) | instskip(SKIP_4) | instid1(SALU_CYCLE_1)
	s_cmp_ge_u32 s10, s20
	s_cselect_b32 s10, -1, 0
	s_cmp_eq_u32 s18, 0
	v_readfirstlane_b32 s18, v1
	s_cselect_b32 s10, s10, -1
	s_cmp_lg_u32 s10, 0
	s_cselect_b32 s10, s23, s17
	s_cselect_b32 s17, s24, s19
	s_cmp_ge_u32 s18, s20
	s_cselect_b32 s18, -1, 0
	s_cmp_eq_u32 s11, 0
	s_cselect_b32 s11, s18, -1
	s_delay_alu instid0(SALU_CYCLE_1) | instskip(SKIP_2) | instid1(SALU_CYCLE_1)
	s_cmp_lg_u32 s11, 0
	s_cselect_b32 s11, s17, s16
	s_cselect_b32 s10, s10, s3
	s_xor_b64 s[10:11], s[10:11], s[8:9]
	s_delay_alu instid0(SALU_CYCLE_1)
	s_sub_u32 s16, s10, s8
	s_load_b128 s[8:11], s[0:1], 0x44
	s_and_not1_b32 vcc_lo, exec_lo, s2
	s_cbranch_vccnz .LBB55_3
.LBB55_2:
	v_cvt_f32_u32_e32 v1, s20
	s_sub_i32 s3, 0, s20
	s_delay_alu instid0(VALU_DEP_1) | instskip(SKIP_2) | instid1(VALU_DEP_1)
	v_rcp_iflag_f32_e32 v1, v1
	s_waitcnt_depctr 0xfff
	v_mul_f32_e32 v1, 0x4f7ffffe, v1
	v_cvt_u32_f32_e32 v1, v1
	s_delay_alu instid0(VALU_DEP_1) | instskip(NEXT) | instid1(VALU_DEP_1)
	v_readfirstlane_b32 s2, v1
	s_mul_i32 s3, s3, s2
	s_delay_alu instid0(SALU_CYCLE_1) | instskip(NEXT) | instid1(SALU_CYCLE_1)
	s_mul_hi_u32 s3, s2, s3
	s_add_i32 s2, s2, s3
	s_delay_alu instid0(SALU_CYCLE_1) | instskip(NEXT) | instid1(SALU_CYCLE_1)
	s_mul_hi_u32 s2, s12, s2
	s_mul_i32 s3, s2, s20
	s_waitcnt lgkmcnt(0)
	s_add_i32 s11, s2, 1
	s_sub_i32 s3, s12, s3
	s_delay_alu instid0(SALU_CYCLE_1)
	s_sub_i32 s12, s3, s20
	s_cmp_ge_u32 s3, s20
	s_cselect_b32 s2, s11, s2
	s_cselect_b32 s3, s12, s3
	s_add_i32 s11, s2, 1
	s_cmp_ge_u32 s3, s20
	s_cselect_b32 s16, s11, s2
.LBB55_3:
	s_waitcnt lgkmcnt(0)
	s_add_i32 s11, s13, 1
	s_mov_b32 s2, 0
	s_mul_hi_i32 s3, s7, s11
	s_mul_i32 s11, s7, s11
	s_cmp_lg_u64 s[2:3], 0
	s_cbranch_scc0 .LBB55_22
; %bb.4:
	v_cvt_f32_ubyte0_e32 v1, 0
	v_cvt_f32_u32_e32 v2, s20
	s_sub_u32 s18, 0, s20
	s_subb_u32 s19, 0, 0
	s_delay_alu instid0(VALU_DEP_1) | instskip(NEXT) | instid1(VALU_DEP_1)
	v_fmamk_f32 v1, v1, 0x4f800000, v2
	v_rcp_f32_e32 v1, v1
	s_waitcnt_depctr 0xfff
	v_mul_f32_e32 v1, 0x5f7ffffc, v1
	s_delay_alu instid0(VALU_DEP_1) | instskip(NEXT) | instid1(VALU_DEP_1)
	v_mul_f32_e32 v2, 0x2f800000, v1
	v_trunc_f32_e32 v2, v2
	s_delay_alu instid0(VALU_DEP_1) | instskip(SKIP_1) | instid1(VALU_DEP_2)
	v_fmamk_f32 v1, v2, 0xcf800000, v1
	v_cvt_u32_f32_e32 v2, v2
	v_cvt_u32_f32_e32 v1, v1
	s_delay_alu instid0(VALU_DEP_2) | instskip(NEXT) | instid1(VALU_DEP_2)
	v_readfirstlane_b32 s12, v2
	v_readfirstlane_b32 s17, v1
	s_delay_alu instid0(VALU_DEP_2) | instskip(NEXT) | instid1(VALU_DEP_1)
	s_mul_i32 s21, s18, s12
	s_mul_hi_u32 s23, s18, s17
	s_mul_i32 s22, s19, s17
	s_add_i32 s21, s23, s21
	s_mul_i32 s24, s18, s17
	s_add_i32 s21, s21, s22
	s_mul_hi_u32 s23, s17, s24
	s_mul_hi_u32 s25, s12, s24
	s_mul_i32 s22, s12, s24
	s_mul_hi_u32 s24, s17, s21
	s_mul_i32 s17, s17, s21
	s_mul_hi_u32 s26, s12, s21
	s_add_u32 s17, s23, s17
	s_addc_u32 s23, 0, s24
	s_add_u32 s17, s17, s22
	s_mul_i32 s21, s12, s21
	s_addc_u32 s17, s23, s25
	s_addc_u32 s22, s26, 0
	s_add_u32 s17, s17, s21
	s_addc_u32 s21, 0, s22
	v_add_co_u32 v1, s17, v1, s17
	s_delay_alu instid0(VALU_DEP_1) | instskip(SKIP_1) | instid1(VALU_DEP_1)
	s_cmp_lg_u32 s17, 0
	s_addc_u32 s12, s12, s21
	v_readfirstlane_b32 s17, v1
	s_mul_i32 s21, s18, s12
	s_delay_alu instid0(VALU_DEP_1)
	s_mul_hi_u32 s22, s18, s17
	s_mul_i32 s19, s19, s17
	s_add_i32 s21, s22, s21
	s_mul_i32 s18, s18, s17
	s_add_i32 s21, s21, s19
	s_mul_hi_u32 s22, s12, s18
	s_mul_i32 s23, s12, s18
	s_mul_hi_u32 s18, s17, s18
	s_mul_hi_u32 s24, s17, s21
	s_mul_i32 s17, s17, s21
	s_mul_hi_u32 s19, s12, s21
	s_add_u32 s17, s18, s17
	s_addc_u32 s18, 0, s24
	s_add_u32 s17, s17, s23
	s_mul_i32 s21, s12, s21
	s_addc_u32 s17, s18, s22
	s_addc_u32 s18, s19, 0
	s_add_u32 s17, s17, s21
	s_addc_u32 s18, 0, s18
	v_add_co_u32 v1, s17, v1, s17
	s_delay_alu instid0(VALU_DEP_1) | instskip(SKIP_2) | instid1(SALU_CYCLE_1)
	s_cmp_lg_u32 s17, 0
	s_addc_u32 s12, s12, s18
	s_ashr_i32 s18, s3, 31
	s_add_u32 s22, s11, s18
	s_addc_u32 s23, s3, s18
	v_readfirstlane_b32 s3, v1
	s_mov_b32 s19, s18
	s_delay_alu instid0(SALU_CYCLE_1) | instskip(NEXT) | instid1(SALU_CYCLE_1)
	s_xor_b64 s[22:23], s[22:23], s[18:19]
	s_mul_i32 s21, s22, s12
	s_delay_alu instid0(VALU_DEP_1)
	s_mul_hi_u32 s24, s22, s3
	s_mul_hi_u32 s17, s22, s12
	;; [unrolled: 1-line block ×3, first 2 shown]
	s_mul_i32 s3, s23, s3
	s_add_u32 s21, s24, s21
	s_addc_u32 s17, 0, s17
	s_mul_hi_u32 s25, s23, s12
	s_add_u32 s3, s21, s3
	s_mul_i32 s12, s23, s12
	s_addc_u32 s3, s17, s26
	s_addc_u32 s17, s25, 0
	s_add_u32 s3, s3, s12
	s_addc_u32 s12, 0, s17
	s_mul_i32 s21, s20, s3
	s_add_u32 s17, s3, 1
	v_sub_co_u32 v1, s21, s22, s21
	s_mul_hi_u32 s22, s20, s3
	s_addc_u32 s24, s12, 0
	s_mul_i32 s25, s20, s12
	s_delay_alu instid0(VALU_DEP_1)
	v_sub_co_u32 v2, s26, v1, s20
	s_add_u32 s27, s3, 2
	s_addc_u32 s28, s12, 0
	s_add_i32 s22, s22, s25
	s_cmp_lg_u32 s21, 0
	v_readfirstlane_b32 s21, v2
	s_subb_u32 s22, s23, s22
	s_cmp_lg_u32 s26, 0
	s_subb_u32 s23, s22, 0
	s_delay_alu instid0(VALU_DEP_1) | instskip(SKIP_4) | instid1(SALU_CYCLE_1)
	s_cmp_ge_u32 s21, s20
	s_cselect_b32 s21, -1, 0
	s_cmp_eq_u32 s23, 0
	v_readfirstlane_b32 s23, v1
	s_cselect_b32 s21, s21, -1
	s_cmp_lg_u32 s21, 0
	s_cselect_b32 s17, s27, s17
	s_cselect_b32 s21, s28, s24
	s_cmp_ge_u32 s23, s20
	s_cselect_b32 s23, -1, 0
	s_cmp_eq_u32 s22, 0
	s_cselect_b32 s22, s23, -1
	s_delay_alu instid0(SALU_CYCLE_1) | instskip(SKIP_2) | instid1(SALU_CYCLE_1)
	s_cmp_lg_u32 s22, 0
	s_cselect_b32 s23, s21, s12
	s_cselect_b32 s22, s17, s3
	s_xor_b64 s[22:23], s[22:23], s[18:19]
	s_delay_alu instid0(SALU_CYCLE_1)
	s_sub_u32 s18, s22, s18
	s_and_not1_b32 vcc_lo, exec_lo, s2
	s_cbranch_vccnz .LBB55_6
.LBB55_5:
	v_cvt_f32_u32_e32 v1, s20
	s_sub_i32 s3, 0, s20
	s_delay_alu instid0(VALU_DEP_1) | instskip(SKIP_2) | instid1(VALU_DEP_1)
	v_rcp_iflag_f32_e32 v1, v1
	s_waitcnt_depctr 0xfff
	v_mul_f32_e32 v1, 0x4f7ffffe, v1
	v_cvt_u32_f32_e32 v1, v1
	s_delay_alu instid0(VALU_DEP_1) | instskip(NEXT) | instid1(VALU_DEP_1)
	v_readfirstlane_b32 s2, v1
	s_mul_i32 s3, s3, s2
	s_delay_alu instid0(SALU_CYCLE_1) | instskip(NEXT) | instid1(SALU_CYCLE_1)
	s_mul_hi_u32 s3, s2, s3
	s_add_i32 s2, s2, s3
	s_delay_alu instid0(SALU_CYCLE_1) | instskip(NEXT) | instid1(SALU_CYCLE_1)
	s_mul_hi_u32 s2, s11, s2
	s_mul_i32 s3, s2, s20
	s_delay_alu instid0(SALU_CYCLE_1)
	s_sub_i32 s3, s11, s3
	s_add_i32 s11, s2, 1
	s_sub_i32 s12, s3, s20
	s_cmp_ge_u32 s3, s20
	s_cselect_b32 s2, s11, s2
	s_cselect_b32 s3, s12, s3
	s_add_i32 s11, s2, 1
	s_cmp_ge_u32 s3, s20
	s_cselect_b32 s18, s11, s2
.LBB55_6:
	s_delay_alu instid0(SALU_CYCLE_1) | instskip(SKIP_3) | instid1(SALU_CYCLE_1)
	s_cmp_eq_u32 s16, s18
	s_mul_hi_u32 s2, s16, s8
	s_cselect_b32 s3, -1, 0
	s_add_i32 s2, s2, s16
	s_lshr_b32 s11, s2, s9
	s_delay_alu instid0(SALU_CYCLE_1) | instskip(NEXT) | instid1(SALU_CYCLE_1)
	s_mul_i32 s2, s11, s10
	s_cmp_eq_u32 s2, s16
	s_mul_hi_u32 s2, s18, s8
	s_cselect_b32 s12, -1, 0
	s_add_i32 s2, s2, s18
	s_delay_alu instid0(SALU_CYCLE_1) | instskip(NEXT) | instid1(SALU_CYCLE_1)
	s_lshr_b32 s2, s2, s9
	s_cmp_eq_u32 s11, s2
	s_mul_i32 s2, s2, s10
	s_cselect_b32 s17, -1, 0
	s_cmp_lg_u32 s2, s18
	s_cselect_b32 s2, -1, 0
	s_or_b32 s3, s3, s12
	s_and_b32 s2, s17, s2
	s_delay_alu instid0(SALU_CYCLE_1) | instskip(NEXT) | instid1(SALU_CYCLE_1)
	s_or_b32 s2, s3, s2
	s_and_b32 vcc_lo, exec_lo, s2
	s_cbranch_vccnz .LBB55_24
; %bb.7:
	s_load_b256 s[24:31], s[0:1], 0x20
	s_waitcnt lgkmcnt(0)
	s_mul_hi_u32 s2, s16, s24
	s_delay_alu instid0(SALU_CYCLE_1) | instskip(NEXT) | instid1(SALU_CYCLE_1)
	s_add_i32 s2, s2, s16
	s_lshr_b32 s18, s2, s25
	s_load_b32 s2, s[0:1], 0x40
	s_mul_i32 s3, s18, s26
	s_delay_alu instid0(SALU_CYCLE_1) | instskip(NEXT) | instid1(SALU_CYCLE_1)
	s_sub_i32 s3, s16, s3
	s_mul_hi_u32 s12, s3, s27
	s_delay_alu instid0(SALU_CYCLE_1) | instskip(NEXT) | instid1(SALU_CYCLE_1)
	s_add_i32 s12, s3, s12
	s_lshr_b32 s21, s12, s28
	s_delay_alu instid0(SALU_CYCLE_1) | instskip(NEXT) | instid1(SALU_CYCLE_1)
	s_mul_i32 s12, s21, s29
	s_sub_i32 s3, s3, s12
	s_delay_alu instid0(SALU_CYCLE_1) | instskip(NEXT) | instid1(SALU_CYCLE_1)
	s_mul_hi_u32 s12, s3, s30
	s_add_i32 s12, s3, s12
	s_delay_alu instid0(SALU_CYCLE_1) | instskip(SKIP_3) | instid1(SALU_CYCLE_1)
	s_lshr_b32 s22, s12, s31
	s_mov_b32 s12, 0
	s_waitcnt lgkmcnt(0)
	s_mul_i32 s2, s22, s2
	s_sub_i32 s2, s3, s2
	s_delay_alu instid0(SALU_CYCLE_1) | instskip(NEXT) | instid1(SALU_CYCLE_1)
	s_mul_hi_u32 s3, s2, s8
	s_add_i32 s2, s2, s3
	s_delay_alu instid0(SALU_CYCLE_1) | instskip(NEXT) | instid1(SALU_CYCLE_1)
	s_lshr_b32 s23, s2, s9
	s_lshl_b32 s2, s23, 6
	s_delay_alu instid0(SALU_CYCLE_1) | instskip(NEXT) | instid1(SALU_CYCLE_1)
	s_add_i32 s2, s2, s14
	s_cmp_lt_i32 s2, s4
	s_cselect_b32 s2, -1, 0
	s_add_i32 s3, s22, s15
	s_delay_alu instid0(SALU_CYCLE_1) | instskip(SKIP_1) | instid1(SALU_CYCLE_1)
	s_cmp_lt_i32 s3, s6
	s_cselect_b32 s3, -1, 0
	s_and_b32 s2, s2, s3
	s_delay_alu instid0(SALU_CYCLE_1)
	s_and_not1_b32 vcc_lo, exec_lo, s2
	s_cbranch_vccnz .LBB55_24
; %bb.8:
	s_load_b128 s[0:3], s[0:1], 0x0
	s_lshl_b32 s24, s20, 8
	s_mov_b32 s25, s12
	s_add_i32 s17, s14, s15
	s_lshl_b64 s[24:25], s[24:25], 2
	s_mul_i32 s4, s18, s4
	s_mul_i32 s21, s21, s6
	v_cvt_f32_ubyte0_e32 v4, 0
	v_cvt_f32_u32_e32 v5, s20
	s_waitcnt lgkmcnt(0)
	s_add_u32 s18, s2, s24
	s_addc_u32 s19, s3, s25
	s_add_i32 s4, s4, s14
	s_delay_alu instid0(SALU_CYCLE_1) | instskip(SKIP_4) | instid1(SALU_CYCLE_1)
	s_mul_i32 s4, s4, s5
	s_mul_i32 s5, s5, s23
	s_add_i32 s4, s4, s15
	s_lshl_b32 s5, s5, 13
	s_add_i32 s4, s4, s21
	s_add_i32 s4, s4, s22
	s_delay_alu instid0(SALU_CYCLE_1) | instskip(NEXT) | instid1(SALU_CYCLE_1)
	s_lshl_b32 s4, s4, 7
	s_add_i32 s5, s5, s4
	s_delay_alu instid0(SALU_CYCLE_1) | instskip(SKIP_1) | instid1(VALU_DEP_2)
	v_or_b32_e32 v1, s5, v0
	v_lshl_or_b32 v0, s17, 7, v0
	v_ashrrev_i32_e32 v2, 31, v1
	s_delay_alu instid0(VALU_DEP_1) | instskip(NEXT) | instid1(VALU_DEP_1)
	v_lshlrev_b64 v[1:2], 2, v[1:2]
	v_add_co_u32 v1, vcc_lo, s0, v1
	s_delay_alu instid0(VALU_DEP_2) | instskip(SKIP_1) | instid1(SALU_CYCLE_1)
	v_add_co_ci_u32_e32 v2, vcc_lo, s1, v2, vcc_lo
	s_lshl_b32 s0, s13, 6
	s_add_i32 s0, s0, s17
	global_load_b32 v3, v[1:2], off
	s_ashr_i32 s1, s0, 31
	s_delay_alu instid0(SALU_CYCLE_1) | instskip(NEXT) | instid1(SALU_CYCLE_1)
	s_lshl_b64 s[0:1], s[0:1], 3
	s_add_u32 s0, s2, s0
	s_addc_u32 s1, s3, s1
	s_add_i32 s14, s13, -1
	s_load_b64 s[0:1], s[0:1], 0x0
	v_fmac_f32_e32 v5, 0x4f800000, v4
	s_sub_i32 s6, 0, s20
	s_waitcnt lgkmcnt(0)
	v_mov_b32_e32 v8, s0
	s_delay_alu instid0(VALU_DEP_2) | instskip(SKIP_2) | instid1(VALU_DEP_2)
	v_rcp_f32_e32 v4, v5
	v_cvt_f32_u32_e32 v5, s20
	v_mov_b32_e32 v7, s1
	v_rcp_iflag_f32_e32 v5, v5
	s_waitcnt_depctr 0xfff
	v_mul_f32_e32 v4, 0x5f7ffffc, v4
	s_delay_alu instid0(VALU_DEP_1) | instskip(SKIP_1) | instid1(VALU_DEP_2)
	v_mul_f32_e32 v6, 0x2f800000, v4
	v_mul_f32_e32 v9, 0x4f7ffffe, v5
	v_trunc_f32_e32 v6, v6
	s_delay_alu instid0(VALU_DEP_1) | instskip(SKIP_1) | instid1(VALU_DEP_4)
	v_fmac_f32_e32 v4, 0xcf800000, v6
	v_cvt_u32_f32_e32 v5, v6
	v_cvt_u32_f32_e32 v6, v9
	s_delay_alu instid0(VALU_DEP_3)
	v_cvt_u32_f32_e32 v4, v4
.LBB55_9:                               ; =>This Inner Loop Header: Depth=1
	s_mul_hi_i32 s13, s14, s7
	s_mul_i32 s4, s14, s7
	s_cmp_lg_u64 s[12:13], 0
	s_mov_b32 s5, -1
                                        ; implicit-def: $sgpr0_sgpr1
	s_cbranch_scc0 .LBB55_11
; %bb.10:                               ;   in Loop: Header=BB55_9 Depth=1
	v_readfirstlane_b32 s0, v4
	v_readfirstlane_b32 s1, v5
	s_sub_u32 s5, 0, s20
	s_subb_u32 s15, 0, 0
	s_delay_alu instid0(VALU_DEP_2) | instskip(NEXT) | instid1(VALU_DEP_1)
	s_mul_hi_u32 s21, s5, s0
	s_mul_i32 s22, s5, s1
	s_mul_i32 s23, s15, s0
	s_add_i32 s21, s21, s22
	s_mul_i32 s22, s5, s0
	s_add_i32 s21, s21, s23
	s_mul_hi_u32 s23, s0, s22
	s_mul_i32 s24, s0, s21
	s_mul_hi_u32 s0, s0, s21
	s_add_u32 s23, s23, s24
	s_mul_i32 s25, s1, s22
	s_addc_u32 s0, 0, s0
	s_mul_hi_u32 s22, s1, s22
	s_mul_hi_u32 s24, s1, s21
	s_add_u32 s23, s23, s25
	s_addc_u32 s0, s0, s22
	s_mul_i32 s21, s1, s21
	s_addc_u32 s22, s24, 0
	s_add_u32 s0, s0, s21
	s_addc_u32 s21, 0, s22
	v_add_co_u32 v9, s0, v4, s0
	s_delay_alu instid0(VALU_DEP_1) | instskip(SKIP_1) | instid1(VALU_DEP_1)
	s_cmp_lg_u32 s0, 0
	s_addc_u32 s1, s1, s21
	v_readfirstlane_b32 s0, v9
	s_mul_i32 s21, s5, s1
	s_delay_alu instid0(VALU_DEP_1)
	s_mul_hi_u32 s22, s5, s0
	s_mul_i32 s15, s15, s0
	s_add_i32 s21, s22, s21
	s_mul_i32 s5, s5, s0
	s_add_i32 s21, s21, s15
	s_mul_hi_u32 s15, s1, s5
	s_mul_i32 s23, s1, s5
	s_mul_i32 s24, s0, s21
	s_mul_hi_u32 s5, s0, s5
	s_mul_hi_u32 s0, s0, s21
	s_add_u32 s5, s5, s24
	s_addc_u32 s0, 0, s0
	s_mul_hi_u32 s22, s1, s21
	s_add_u32 s5, s5, s23
	s_addc_u32 s0, s0, s15
	s_mul_i32 s5, s1, s21
	s_addc_u32 s15, s22, 0
	s_add_u32 s0, s0, s5
	s_addc_u32 s5, 0, s15
	v_add_co_u32 v9, s0, v9, s0
	s_delay_alu instid0(VALU_DEP_1) | instskip(SKIP_2) | instid1(SALU_CYCLE_1)
	s_cmp_lg_u32 s0, 0
	s_addc_u32 s5, s1, s5
	s_ashr_i32 s0, s13, 31
	s_add_u32 s22, s4, s0
	s_addc_u32 s23, s13, s0
	v_readfirstlane_b32 s13, v9
	s_mov_b32 s1, s0
	s_delay_alu instid0(SALU_CYCLE_1) | instskip(NEXT) | instid1(SALU_CYCLE_1)
	s_xor_b64 s[22:23], s[22:23], s[0:1]
	s_mul_i32 s15, s22, s5
	s_delay_alu instid0(VALU_DEP_1)
	s_mul_hi_u32 s21, s22, s13
	s_mul_hi_u32 s24, s22, s5
	s_add_u32 s15, s21, s15
	s_mul_i32 s25, s23, s13
	s_addc_u32 s21, 0, s24
	s_mul_hi_u32 s13, s23, s13
	s_mul_hi_u32 s24, s23, s5
	s_add_u32 s15, s15, s25
	s_addc_u32 s13, s21, s13
	s_mul_i32 s5, s23, s5
	s_addc_u32 s15, s24, 0
	s_add_u32 s5, s13, s5
	s_addc_u32 s13, 0, s15
	s_mul_i32 s21, s20, s5
	s_add_u32 s15, s5, 1
	v_sub_co_u32 v9, s21, s22, s21
	s_addc_u32 s22, s13, 0
	s_mul_i32 s25, s20, s13
	s_mul_hi_u32 s27, s20, s5
	s_delay_alu instid0(VALU_DEP_1)
	v_sub_co_u32 v10, s26, v9, s20
	s_add_u32 s24, s5, 2
	s_addc_u32 s28, s13, 0
	s_add_i32 s27, s27, s25
	s_cmp_lg_u32 s21, 0
	v_readfirstlane_b32 s21, v10
	s_subb_u32 s23, s23, s27
	s_cmp_lg_u32 s26, 0
	s_subb_u32 s25, s23, 0
	s_delay_alu instid0(VALU_DEP_1) | instskip(SKIP_4) | instid1(SALU_CYCLE_1)
	s_cmp_ge_u32 s21, s20
	s_cselect_b32 s21, -1, 0
	s_cmp_eq_u32 s25, 0
	v_readfirstlane_b32 s25, v9
	s_cselect_b32 s21, s21, -1
	s_cmp_lg_u32 s21, 0
	s_cselect_b32 s15, s24, s15
	s_cselect_b32 s21, s28, s22
	s_cmp_ge_u32 s25, s20
	s_cselect_b32 s22, -1, 0
	s_cmp_eq_u32 s23, 0
	s_cselect_b32 s22, s22, -1
	s_delay_alu instid0(SALU_CYCLE_1) | instskip(SKIP_4) | instid1(SALU_CYCLE_1)
	s_cmp_lg_u32 s22, 0
	s_cselect_b32 s23, s21, s13
	s_cselect_b32 s22, s15, s5
	s_mov_b32 s5, 0
	s_xor_b64 s[22:23], s[22:23], s[0:1]
	s_sub_u32 s0, s22, s0
.LBB55_11:                              ;   in Loop: Header=BB55_9 Depth=1
	s_and_not1_b32 vcc_lo, exec_lo, s5
	s_cbranch_vccnz .LBB55_13
; %bb.12:                               ;   in Loop: Header=BB55_9 Depth=1
	v_readfirstlane_b32 s0, v6
	s_delay_alu instid0(VALU_DEP_1) | instskip(NEXT) | instid1(SALU_CYCLE_1)
	s_mul_i32 s1, s6, s0
	s_mul_hi_u32 s1, s0, s1
	s_delay_alu instid0(SALU_CYCLE_1) | instskip(NEXT) | instid1(SALU_CYCLE_1)
	s_add_i32 s0, s0, s1
	s_mul_hi_u32 s0, s4, s0
	s_delay_alu instid0(SALU_CYCLE_1) | instskip(NEXT) | instid1(SALU_CYCLE_1)
	s_mul_i32 s1, s0, s20
	s_sub_i32 s1, s4, s1
	s_add_i32 s4, s0, 1
	s_sub_i32 s5, s1, s20
	s_cmp_ge_u32 s1, s20
	s_cselect_b32 s0, s4, s0
	s_cselect_b32 s1, s5, s1
	s_add_i32 s4, s0, 1
	s_cmp_ge_u32 s1, s20
	s_cselect_b32 s0, s4, s0
.LBB55_13:                              ;   in Loop: Header=BB55_9 Depth=1
	s_delay_alu instid0(SALU_CYCLE_1)
	s_cmp_lg_u32 s16, s0
	s_cbranch_scc0 .LBB55_17
; %bb.14:                               ;   in Loop: Header=BB55_9 Depth=1
	s_add_i32 s1, s14, s20
	s_mov_b32 s5, s12
	s_lshl_b32 s1, s1, 6
	s_mov_b32 s15, s16
	s_add_i32 s4, s1, s17
	s_mul_hi_u32 s1, s0, s8
	s_lshl_b64 s[4:5], s[4:5], 3
	s_delay_alu instid0(SALU_CYCLE_1) | instskip(SKIP_2) | instid1(SALU_CYCLE_1)
	s_add_u32 s4, s2, s4
	s_addc_u32 s5, s3, s5
	s_add_i32 s1, s1, s0
	s_lshr_b32 s1, s1, s9
	s_delay_alu instid0(SALU_CYCLE_1) | instskip(NEXT) | instid1(SALU_CYCLE_1)
	s_mul_i32 s13, s1, s10
	s_cmp_eq_u32 s13, s0
	s_cselect_b32 s13, -1, 0
	s_cmp_lt_u32 s1, s11
	s_cselect_b32 s1, -1, 0
	s_delay_alu instid0(SALU_CYCLE_1)
	s_or_b32 s1, s1, s13
	s_mov_b32 s13, -1
	s_and_b32 vcc_lo, exec_lo, s1
	s_mov_b32 s1, s14
	s_cbranch_vccnz .LBB55_16
; %bb.15:                               ;   in Loop: Header=BB55_9 Depth=1
	s_add_i32 s1, s14, -1
	s_mov_b32 s13, 0
	s_mov_b32 s15, s0
.LBB55_16:                              ;   in Loop: Header=BB55_9 Depth=1
	v_lshl_add_u32 v9, s14, 13, v0
	s_load_b64 s[4:5], s[4:5], 0x0
	s_delay_alu instid0(VALU_DEP_1) | instskip(NEXT) | instid1(VALU_DEP_1)
	v_ashrrev_i32_e32 v10, 31, v9
	v_lshlrev_b64 v[9:10], 2, v[9:10]
	s_delay_alu instid0(VALU_DEP_1) | instskip(NEXT) | instid1(VALU_DEP_2)
	v_add_co_u32 v9, vcc_lo, s18, v9
	v_add_co_ci_u32_e32 v10, vcc_lo, s19, v10, vcc_lo
	s_waitcnt lgkmcnt(0)
	v_max_f32_e64 v11, s4, s4
	global_load_b32 v10, v[9:10], off
	v_max_f32_e32 v9, v8, v8
	s_delay_alu instid0(VALU_DEP_1) | instskip(NEXT) | instid1(VALU_DEP_1)
	v_max_f32_e32 v9, v9, v11
	v_sub_f32_e32 v12, v8, v9
	s_delay_alu instid0(VALU_DEP_1) | instskip(NEXT) | instid1(VALU_DEP_1)
	v_dual_mul_f32 v14, 0x3fb8aa3b, v12 :: v_dual_sub_f32 v11, s4, v9
	v_rndne_f32_e32 v18, v14
	s_delay_alu instid0(VALU_DEP_2) | instskip(SKIP_2) | instid1(VALU_DEP_4)
	v_mul_f32_e32 v13, 0x3fb8aa3b, v11
	v_fma_f32 v17, 0x3fb8aa3b, v12, -v14
	v_cmp_ngt_f32_e32 vcc_lo, 0xc2ce8ed0, v11
	v_sub_f32_e32 v14, v14, v18
	s_delay_alu instid0(VALU_DEP_4) | instskip(SKIP_2) | instid1(VALU_DEP_3)
	v_fma_f32 v15, 0x3fb8aa3b, v11, -v13
	v_rndne_f32_e32 v16, v13
	v_fmac_f32_e32 v17, 0x32a5705f, v12
	v_fmac_f32_e32 v15, 0x32a5705f, v11
	s_delay_alu instid0(VALU_DEP_2) | instskip(NEXT) | instid1(VALU_DEP_1)
	v_dual_sub_f32 v13, v13, v16 :: v_dual_add_f32 v14, v14, v17
	v_add_f32_e32 v13, v13, v15
	s_delay_alu instid0(VALU_DEP_2) | instskip(SKIP_2) | instid1(VALU_DEP_3)
	v_exp_f32_e32 v14, v14
	v_cvt_i32_f32_e32 v15, v16
	v_cvt_i32_f32_e32 v16, v18
	v_exp_f32_e32 v13, v13
	s_waitcnt_depctr 0xfff
	v_ldexp_f32 v14, v14, v16
	v_ldexp_f32 v13, v13, v15
	s_delay_alu instid0(VALU_DEP_1) | instskip(SKIP_1) | instid1(VALU_DEP_4)
	v_cndmask_b32_e32 v13, 0, v13, vcc_lo
	v_cmp_ngt_f32_e32 vcc_lo, 0xc2ce8ed0, v12
	v_cndmask_b32_e32 v14, 0, v14, vcc_lo
	v_cmp_nlt_f32_e32 vcc_lo, 0x42b17218, v11
	s_delay_alu instid0(VALU_DEP_4) | instskip(SKIP_1) | instid1(VALU_DEP_4)
	v_cndmask_b32_e32 v13, 0x7f800000, v13, vcc_lo
	v_cmp_nlt_f32_e32 vcc_lo, 0x42b17218, v12
	v_cndmask_b32_e32 v14, 0x7f800000, v14, vcc_lo
	v_cmp_le_f32_e32 vcc_lo, 0xc1a00000, v11
	s_delay_alu instid0(VALU_DEP_4) | instskip(SKIP_1) | instid1(VALU_DEP_4)
	v_cndmask_b32_e32 v11, 0, v13, vcc_lo
	v_cmp_le_f32_e32 vcc_lo, 0xc1a00000, v12
	v_cndmask_b32_e32 v12, 0, v14, vcc_lo
	s_waitcnt vmcnt(0)
	s_delay_alu instid0(VALU_DEP_3) | instskip(NEXT) | instid1(VALU_DEP_1)
	v_mul_f32_e32 v10, v10, v11
	v_dual_mul_f32 v11, s5, v11 :: v_dual_fmac_f32 v10, v3, v12
	s_delay_alu instid0(VALU_DEP_1)
	v_fmac_f32_e32 v11, v7, v12
	s_cbranch_execz .LBB55_18
	s_branch .LBB55_19
.LBB55_17:                              ;   in Loop: Header=BB55_9 Depth=1
                                        ; implicit-def: $sgpr13
                                        ; implicit-def: $vgpr10
                                        ; implicit-def: $vgpr9
                                        ; implicit-def: $vgpr11
                                        ; implicit-def: $sgpr1
                                        ; implicit-def: $sgpr15
.LBB55_18:                              ;   in Loop: Header=BB55_9 Depth=1
	v_mov_b32_e32 v11, v7
	s_waitcnt vmcnt(0)
	v_dual_mov_b32 v9, v8 :: v_dual_mov_b32 v10, v3
	s_add_i32 s1, s14, -1
	s_mov_b32 s13, 0
	s_mov_b32 s15, s16
.LBB55_19:                              ;   in Loop: Header=BB55_9 Depth=1
	s_and_not1_b32 vcc_lo, exec_lo, s13
	s_cbranch_vccz .LBB55_23
; %bb.20:                               ;   in Loop: Header=BB55_9 Depth=1
	v_dual_mov_b32 v7, v11 :: v_dual_mov_b32 v8, v9
	s_waitcnt vmcnt(0)
	v_mov_b32_e32 v3, v10
	s_mov_b32 s16, s15
	s_mov_b32 s14, s1
	s_branch .LBB55_9
.LBB55_21:
                                        ; implicit-def: $sgpr16_sgpr17
	s_load_b128 s[8:11], s[0:1], 0x44
	s_branch .LBB55_2
.LBB55_22:
                                        ; implicit-def: $sgpr18_sgpr19
	s_branch .LBB55_5
.LBB55_23:
	v_div_scale_f32 v0, null, v11, v11, v10
	s_waitcnt vmcnt(0)
	s_delay_alu instid0(VALU_DEP_1) | instskip(SKIP_2) | instid1(VALU_DEP_1)
	v_rcp_f32_e32 v3, v0
	s_waitcnt_depctr 0xfff
	v_fma_f32 v4, -v0, v3, 1.0
	v_fmac_f32_e32 v3, v4, v3
	v_div_scale_f32 v4, vcc_lo, v10, v11, v10
	s_delay_alu instid0(VALU_DEP_1) | instskip(NEXT) | instid1(VALU_DEP_1)
	v_mul_f32_e32 v5, v4, v3
	v_fma_f32 v6, -v0, v5, v4
	s_delay_alu instid0(VALU_DEP_1) | instskip(NEXT) | instid1(VALU_DEP_1)
	v_fmac_f32_e32 v5, v6, v3
	v_fma_f32 v0, -v0, v5, v4
	s_delay_alu instid0(VALU_DEP_1) | instskip(NEXT) | instid1(VALU_DEP_1)
	v_div_fmas_f32 v0, v0, v3, v5
	v_div_fixup_f32 v0, v0, v11, v10
	global_store_b32 v[1:2], v0, off
.LBB55_24:
	s_nop 0
	s_sendmsg sendmsg(MSG_DEALLOC_VGPRS)
	s_endpgm
	.section	.rodata,"a",@progbits
	.p2align	6, 0x0
	.amdhsa_kernel _ZL33flash_attn_stream_k_fixup_generalILi128ELi64ELi1EEvPfPK15HIP_vector_typeIfLj2EEiiiiS1_IjLj3EES5_S5_S5_
		.amdhsa_group_segment_fixed_size 0
		.amdhsa_private_segment_fixed_size 0
		.amdhsa_kernarg_size 336
		.amdhsa_user_sgpr_count 13
		.amdhsa_user_sgpr_dispatch_ptr 0
		.amdhsa_user_sgpr_queue_ptr 0
		.amdhsa_user_sgpr_kernarg_segment_ptr 1
		.amdhsa_user_sgpr_dispatch_id 0
		.amdhsa_user_sgpr_private_segment_size 0
		.amdhsa_wavefront_size32 1
		.amdhsa_uses_dynamic_stack 0
		.amdhsa_enable_private_segment 0
		.amdhsa_system_sgpr_workgroup_id_x 1
		.amdhsa_system_sgpr_workgroup_id_y 1
		.amdhsa_system_sgpr_workgroup_id_z 1
		.amdhsa_system_sgpr_workgroup_info 0
		.amdhsa_system_vgpr_workitem_id 0
		.amdhsa_next_free_vgpr 19
		.amdhsa_next_free_sgpr 32
		.amdhsa_reserve_vcc 1
		.amdhsa_float_round_mode_32 0
		.amdhsa_float_round_mode_16_64 0
		.amdhsa_float_denorm_mode_32 3
		.amdhsa_float_denorm_mode_16_64 3
		.amdhsa_dx10_clamp 1
		.amdhsa_ieee_mode 1
		.amdhsa_fp16_overflow 0
		.amdhsa_workgroup_processor_mode 1
		.amdhsa_memory_ordered 1
		.amdhsa_forward_progress 0
		.amdhsa_shared_vgpr_count 0
		.amdhsa_exception_fp_ieee_invalid_op 0
		.amdhsa_exception_fp_denorm_src 0
		.amdhsa_exception_fp_ieee_div_zero 0
		.amdhsa_exception_fp_ieee_overflow 0
		.amdhsa_exception_fp_ieee_underflow 0
		.amdhsa_exception_fp_ieee_inexact 0
		.amdhsa_exception_int_div_zero 0
	.end_amdhsa_kernel
	.section	.text._ZL33flash_attn_stream_k_fixup_generalILi128ELi64ELi1EEvPfPK15HIP_vector_typeIfLj2EEiiiiS1_IjLj3EES5_S5_S5_,"axG",@progbits,_ZL33flash_attn_stream_k_fixup_generalILi128ELi64ELi1EEvPfPK15HIP_vector_typeIfLj2EEiiiiS1_IjLj3EES5_S5_S5_,comdat
.Lfunc_end55:
	.size	_ZL33flash_attn_stream_k_fixup_generalILi128ELi64ELi1EEvPfPK15HIP_vector_typeIfLj2EEiiiiS1_IjLj3EES5_S5_S5_, .Lfunc_end55-_ZL33flash_attn_stream_k_fixup_generalILi128ELi64ELi1EEvPfPK15HIP_vector_typeIfLj2EEiiiiS1_IjLj3EES5_S5_S5_
                                        ; -- End function
	.section	.AMDGPU.csdata,"",@progbits
; Kernel info:
; codeLenInByte = 3220
; NumSgprs: 34
; NumVgprs: 19
; ScratchSize: 0
; MemoryBound: 0
; FloatMode: 240
; IeeeMode: 1
; LDSByteSize: 0 bytes/workgroup (compile time only)
; SGPRBlocks: 4
; VGPRBlocks: 2
; NumSGPRsForWavesPerEU: 34
; NumVGPRsForWavesPerEU: 19
; Occupancy: 16
; WaveLimiterHint : 0
; COMPUTE_PGM_RSRC2:SCRATCH_EN: 0
; COMPUTE_PGM_RSRC2:USER_SGPR: 13
; COMPUTE_PGM_RSRC2:TRAP_HANDLER: 0
; COMPUTE_PGM_RSRC2:TGID_X_EN: 1
; COMPUTE_PGM_RSRC2:TGID_Y_EN: 1
; COMPUTE_PGM_RSRC2:TGID_Z_EN: 1
; COMPUTE_PGM_RSRC2:TIDIG_COMP_CNT: 0
	.section	.text._ZL15flash_attn_tileILi128ELi128ELi32ELi1ELb0EEvPKcS1_S1_S1_S1_PKiPfP15HIP_vector_typeIfLj2EEffffjfiS5_IjLj3EEiiiiiiiiiiiliiliiiiil,"axG",@progbits,_ZL15flash_attn_tileILi128ELi128ELi32ELi1ELb0EEvPKcS1_S1_S1_S1_PKiPfP15HIP_vector_typeIfLj2EEffffjfiS5_IjLj3EEiiiiiiiiiiiliiliiiiil,comdat
	.globl	_ZL15flash_attn_tileILi128ELi128ELi32ELi1ELb0EEvPKcS1_S1_S1_S1_PKiPfP15HIP_vector_typeIfLj2EEffffjfiS5_IjLj3EEiiiiiiiiiiiliiliiiiil ; -- Begin function _ZL15flash_attn_tileILi128ELi128ELi32ELi1ELb0EEvPKcS1_S1_S1_S1_PKiPfP15HIP_vector_typeIfLj2EEffffjfiS5_IjLj3EEiiiiiiiiiiiliiliiiiil
	.p2align	8
	.type	_ZL15flash_attn_tileILi128ELi128ELi32ELi1ELb0EEvPKcS1_S1_S1_S1_PKiPfP15HIP_vector_typeIfLj2EEffffjfiS5_IjLj3EEiiiiiiiiiiiliiliiiiil,@function
_ZL15flash_attn_tileILi128ELi128ELi32ELi1ELb0EEvPKcS1_S1_S1_S1_PKiPfP15HIP_vector_typeIfLj2EEffffjfiS5_IjLj3EEiiiiiiiiiiiliiliiiiil: ; @_ZL15flash_attn_tileILi128ELi128ELi32ELi1ELb0EEvPKcS1_S1_S1_S1_PKiPfP15HIP_vector_typeIfLj2EEffffjfiS5_IjLj3EEiiiiiiiiiiiliiliiiiil
; %bb.0:
	s_clause 0x3
	s_load_b128 s[36:39], s[2:3], 0x5c
	s_load_b64 s[42:43], s[2:3], 0x80
	s_load_b512 s[16:31], s[2:3], 0x0
	s_load_b64 s[44:45], s[2:3], 0xb8
	s_mov_b64 s[40:41], 0
	s_waitcnt lgkmcnt(0)
	v_cvt_f32_u32_e32 v1, s39
	s_sub_i32 s5, 0, s39
	s_delay_alu instid0(VALU_DEP_1) | instskip(SKIP_2) | instid1(VALU_DEP_1)
	v_rcp_iflag_f32_e32 v1, v1
	s_waitcnt_depctr 0xfff
	v_mul_f32_e32 v1, 0x4f7ffffe, v1
	v_cvt_u32_f32_e32 v1, v1
	s_delay_alu instid0(VALU_DEP_1) | instskip(NEXT) | instid1(VALU_DEP_1)
	v_readfirstlane_b32 s4, v1
	s_mul_i32 s5, s5, s4
	s_delay_alu instid0(SALU_CYCLE_1) | instskip(NEXT) | instid1(SALU_CYCLE_1)
	s_mul_hi_u32 s5, s4, s5
	s_add_i32 s4, s4, s5
	s_delay_alu instid0(SALU_CYCLE_1) | instskip(NEXT) | instid1(SALU_CYCLE_1)
	s_mul_hi_u32 s4, s15, s4
	s_mul_i32 s5, s4, s39
	s_add_i32 s6, s4, 1
	s_sub_i32 s5, s15, s5
	s_delay_alu instid0(SALU_CYCLE_1)
	s_sub_i32 s7, s5, s39
	s_cmp_ge_u32 s5, s39
	s_cselect_b32 s4, s6, s4
	s_cselect_b32 s5, s7, s5
	s_add_i32 s6, s4, 1
	s_cmp_ge_u32 s5, s39
	s_cselect_b32 s33, s6, s4
	s_abs_i32 s4, s43
	s_abs_i32 s8, s39
	v_cvt_f32_u32_e32 v1, s4
	s_sub_i32 s6, 0, s4
	s_mul_i32 s7, s33, s39
	s_delay_alu instid0(SALU_CYCLE_1) | instskip(NEXT) | instid1(VALU_DEP_1)
	s_sub_i32 s34, s15, s7
	v_rcp_iflag_f32_e32 v1, v1
	s_waitcnt_depctr 0xfff
	v_mul_f32_e32 v1, 0x4f7ffffe, v1
	s_delay_alu instid0(VALU_DEP_1) | instskip(NEXT) | instid1(VALU_DEP_1)
	v_cvt_u32_f32_e32 v1, v1
	v_readfirstlane_b32 s5, v1
	s_delay_alu instid0(VALU_DEP_1) | instskip(NEXT) | instid1(SALU_CYCLE_1)
	s_mul_i32 s6, s6, s5
	s_mul_hi_u32 s6, s5, s6
	s_delay_alu instid0(SALU_CYCLE_1) | instskip(SKIP_4) | instid1(SALU_CYCLE_1)
	s_add_i32 s5, s5, s6
	s_xor_b32 s6, s39, s43
	s_mul_hi_u32 s5, s8, s5
	s_ashr_i32 s6, s6, 31
	s_mul_i32 s7, s5, s4
	s_sub_i32 s7, s8, s7
	s_add_i32 s8, s5, 1
	s_sub_i32 s9, s7, s4
	s_cmp_ge_u32 s7, s4
	s_cselect_b32 s5, s8, s5
	s_cselect_b32 s7, s9, s7
	s_add_i32 s8, s5, 1
	s_cmp_ge_u32 s7, s4
	s_cselect_b32 s4, s8, s5
	s_abs_i32 s15, s34
	s_xor_b32 s4, s4, s6
	s_delay_alu instid0(SALU_CYCLE_1) | instskip(NEXT) | instid1(SALU_CYCLE_1)
	s_sub_i32 s43, s4, s6
	s_abs_i32 s12, s43
	s_delay_alu instid0(SALU_CYCLE_1) | instskip(SKIP_1) | instid1(VALU_DEP_1)
	v_cvt_f32_u32_e32 v1, s12
	s_sub_i32 s5, 0, s12
	v_rcp_iflag_f32_e32 v1, v1
	s_waitcnt_depctr 0xfff
	v_mul_f32_e32 v1, 0x4f7ffffe, v1
	s_delay_alu instid0(VALU_DEP_1) | instskip(NEXT) | instid1(VALU_DEP_1)
	v_cvt_u32_f32_e32 v1, v1
	v_readfirstlane_b32 s4, v1
	s_delay_alu instid0(VALU_DEP_1) | instskip(NEXT) | instid1(SALU_CYCLE_1)
	s_mul_i32 s5, s5, s4
	s_mul_hi_u32 s5, s4, s5
	s_delay_alu instid0(SALU_CYCLE_1)
	s_add_i32 s4, s4, s5
	s_cmp_eq_u64 s[22:23], 0
	s_cbranch_scc1 .LBB56_2
; %bb.1:
	s_abs_i32 s5, s44
	s_abs_i32 s8, s33
	v_cvt_f32_u32_e32 v1, s5
	s_sub_i32 s7, 0, s5
	s_delay_alu instid0(VALU_DEP_1) | instskip(SKIP_2) | instid1(VALU_DEP_1)
	v_rcp_iflag_f32_e32 v1, v1
	s_waitcnt_depctr 0xfff
	v_mul_f32_e32 v1, 0x4f7ffffe, v1
	v_cvt_u32_f32_e32 v1, v1
	s_delay_alu instid0(VALU_DEP_1) | instskip(NEXT) | instid1(VALU_DEP_1)
	v_readfirstlane_b32 s6, v1
	s_mul_i32 s7, s7, s6
	s_delay_alu instid0(SALU_CYCLE_1) | instskip(NEXT) | instid1(SALU_CYCLE_1)
	s_mul_hi_u32 s7, s6, s7
	s_add_i32 s9, s6, s7
	s_load_b64 s[6:7], s[2:3], 0xc8
	s_mul_hi_u32 s9, s8, s9
	s_delay_alu instid0(SALU_CYCLE_1) | instskip(NEXT) | instid1(SALU_CYCLE_1)
	s_mul_i32 s9, s9, s5
	s_sub_i32 s8, s8, s9
	s_ashr_i32 s9, s33, 31
	s_sub_i32 s10, s8, s5
	s_cmp_ge_u32 s8, s5
	s_cselect_b32 s8, s10, s8
	s_delay_alu instid0(SALU_CYCLE_1) | instskip(SKIP_2) | instid1(SALU_CYCLE_1)
	s_sub_i32 s10, s8, s5
	s_cmp_ge_u32 s8, s5
	s_cselect_b32 s5, s10, s8
	s_xor_b32 s5, s5, s9
	s_delay_alu instid0(SALU_CYCLE_1)
	s_sub_i32 s5, s5, s9
	s_waitcnt lgkmcnt(0)
	s_mul_i32 s7, s5, s7
	s_mul_hi_u32 s8, s5, s6
	s_ashr_i32 s9, s5, 31
	s_add_i32 s7, s8, s7
	s_mul_i32 s9, s9, s6
	s_mul_i32 s5, s5, s6
	s_add_i32 s7, s7, s9
	s_add_u32 s40, s22, s5
	s_addc_u32 s41, s23, s7
.LBB56_2:
	s_clause 0x1
	s_load_b128 s[8:11], s[2:3], 0x40
	s_load_b32 s5, s[2:3], 0x50
	v_mov_b32_e32 v43, 1.0
	s_waitcnt lgkmcnt(0)
	v_cmp_le_f32_e64 s6, s9, 0
	s_mul_hi_u32 s9, s15, s4
	s_delay_alu instid0(VALU_DEP_1)
	s_and_b32 vcc_lo, exec_lo, s6
	s_cbranch_vccnz .LBB56_4
; %bb.3:
	s_sub_i32 s4, s34, s5
	s_add_i32 s6, s34, 1
	s_lshl_b32 s4, s4, 1
	v_mov_b32_e32 v1, s10
	s_or_b32 s4, s4, 1
	s_cmp_lt_u32 s34, s5
	s_cselect_b32 vcc_lo, -1, 0
	s_delay_alu instid0(VALU_DEP_1)
	v_cndmask_b32_e32 v3, s11, v1, vcc_lo
	s_and_b32 s5, vcc_lo, exec_lo
	s_cselect_b32 s4, s6, s4
	s_mov_b32 s5, 0x3e76c4e1
	v_cvt_f32_i32_e32 v1, s4
	v_cmp_neq_f32_e32 vcc_lo, 1.0, v3
	s_delay_alu instid0(VALU_DEP_2) | instskip(NEXT) | instid1(VALU_DEP_1)
	v_cndmask_b32_e32 v4, 1.0, v1, vcc_lo
	v_cmp_eq_f32_e32 vcc_lo, 0, v4
	v_cndmask_b32_e64 v5, |v3|, 1.0, vcc_lo
	s_delay_alu instid0(VALU_DEP_1) | instskip(NEXT) | instid1(VALU_DEP_1)
	v_frexp_mant_f32_e32 v1, v5
	v_cmp_gt_f32_e64 s4, 0x3f2aaaab, v1
	s_delay_alu instid0(VALU_DEP_1) | instskip(NEXT) | instid1(VALU_DEP_1)
	v_cndmask_b32_e64 v2, 1.0, 2.0, s4
	v_mul_f32_e32 v1, v1, v2
	s_delay_alu instid0(VALU_DEP_1) | instskip(SKIP_1) | instid1(VALU_DEP_2)
	v_add_f32_e32 v2, 1.0, v1
	v_add_f32_e32 v7, -1.0, v1
	v_rcp_f32_e32 v6, v2
	s_waitcnt_depctr 0xfff
	v_mul_f32_e32 v8, v7, v6
	s_delay_alu instid0(VALU_DEP_1) | instskip(NEXT) | instid1(VALU_DEP_1)
	v_dual_add_f32 v9, -1.0, v2 :: v_dual_mul_f32 v10, v2, v8
	v_sub_f32_e32 v1, v1, v9
	v_cndmask_b32_e64 v3, v3, 1.0, vcc_lo
	s_delay_alu instid0(VALU_DEP_3) | instskip(NEXT) | instid1(VALU_DEP_2)
	v_fma_f32 v2, v8, v2, -v10
	v_cmp_eq_f32_e64 s6, 0, v3
	s_delay_alu instid0(VALU_DEP_2) | instskip(NEXT) | instid1(VALU_DEP_1)
	v_fmac_f32_e32 v2, v8, v1
	v_add_f32_e32 v1, v10, v2
	s_delay_alu instid0(VALU_DEP_1) | instskip(NEXT) | instid1(VALU_DEP_1)
	v_dual_sub_f32 v10, v1, v10 :: v_dual_sub_f32 v9, v7, v1
	v_dual_sub_f32 v2, v10, v2 :: v_dual_sub_f32 v7, v7, v9
	s_delay_alu instid0(VALU_DEP_1) | instskip(NEXT) | instid1(VALU_DEP_1)
	v_sub_f32_e32 v1, v7, v1
	v_add_f32_e32 v1, v2, v1
	s_delay_alu instid0(VALU_DEP_1) | instskip(NEXT) | instid1(VALU_DEP_1)
	v_add_f32_e32 v1, v9, v1
	v_mul_f32_e32 v1, v6, v1
	s_delay_alu instid0(VALU_DEP_1) | instskip(NEXT) | instid1(VALU_DEP_1)
	v_add_f32_e32 v6, v8, v1
	v_sub_f32_e32 v2, v6, v8
	v_mul_f32_e32 v7, v6, v6
	s_delay_alu instid0(VALU_DEP_2) | instskip(NEXT) | instid1(VALU_DEP_2)
	v_sub_f32_e32 v8, v1, v2
	v_fma_f32 v9, v6, v6, -v7
	s_delay_alu instid0(VALU_DEP_2) | instskip(NEXT) | instid1(VALU_DEP_1)
	v_add_f32_e32 v1, v8, v8
	v_fmac_f32_e32 v9, v6, v1
	v_cvt_f64_f32_e32 v[1:2], v5
	s_delay_alu instid0(VALU_DEP_2) | instskip(NEXT) | instid1(VALU_DEP_1)
	v_add_f32_e32 v10, v7, v9
	v_fmaak_f32 v11, s5, v10, 0x3e91f4c4
	v_sub_f32_e32 v7, v10, v7
	v_mul_f32_e32 v14, v6, v10
	s_delay_alu instid0(VALU_DEP_3) | instskip(NEXT) | instid1(VALU_DEP_3)
	v_fmaak_f32 v11, v10, v11, 0x3ecccdef
	v_sub_f32_e32 v7, v9, v7
	s_delay_alu instid0(VALU_DEP_2) | instskip(NEXT) | instid1(VALU_DEP_1)
	v_mul_f32_e32 v12, v10, v11
	v_fma_f32 v9, v10, v11, -v12
	s_delay_alu instid0(VALU_DEP_1) | instskip(NEXT) | instid1(VALU_DEP_1)
	v_fmac_f32_e32 v9, v7, v11
	v_add_f32_e32 v11, v12, v9
	v_frexp_exp_i32_f64_e32 v1, v[1:2]
	s_delay_alu instid0(VALU_DEP_2) | instskip(NEXT) | instid1(VALU_DEP_1)
	v_sub_f32_e32 v12, v11, v12
	v_sub_f32_e32 v2, v9, v12
	v_fma_f32 v12, v10, v6, -v14
	s_delay_alu instid0(VALU_DEP_2) | instskip(NEXT) | instid1(VALU_DEP_2)
	v_add_f32_e32 v2, 0x31739010, v2
	v_dual_add_f32 v13, 0x3f2aaaaa, v11 :: v_dual_fmac_f32 v12, v10, v8
	v_ldexp_f32 v8, v8, 1
	s_delay_alu instid0(VALU_DEP_2) | instskip(NEXT) | instid1(VALU_DEP_1)
	v_dual_add_f32 v9, 0xbf2aaaaa, v13 :: v_dual_fmac_f32 v12, v7, v6
	v_sub_f32_e32 v9, v11, v9
	s_delay_alu instid0(VALU_DEP_1) | instskip(NEXT) | instid1(VALU_DEP_3)
	v_add_f32_e32 v2, v2, v9
	v_add_f32_e32 v9, v14, v12
	s_delay_alu instid0(VALU_DEP_2) | instskip(NEXT) | instid1(VALU_DEP_1)
	v_add_f32_e32 v7, v13, v2
	v_sub_f32_e32 v10, v13, v7
	s_delay_alu instid0(VALU_DEP_3) | instskip(SKIP_2) | instid1(VALU_DEP_4)
	v_mul_f32_e32 v11, v9, v7
	v_sub_f32_e32 v13, v9, v14
	v_subrev_co_ci_u32_e64 v1, s4, 0, v1, s4
	v_add_f32_e32 v2, v2, v10
	s_delay_alu instid0(VALU_DEP_4) | instskip(NEXT) | instid1(VALU_DEP_4)
	v_fma_f32 v10, v9, v7, -v11
	v_sub_f32_e32 v12, v12, v13
	s_delay_alu instid0(VALU_DEP_4) | instskip(NEXT) | instid1(VALU_DEP_3)
	v_cvt_f32_i32_e32 v1, v1
	v_fmac_f32_e32 v10, v9, v2
	v_ldexp_f32 v2, v6, 1
	s_delay_alu instid0(VALU_DEP_2) | instskip(NEXT) | instid1(VALU_DEP_1)
	v_fmac_f32_e32 v10, v12, v7
	v_add_f32_e32 v6, v11, v10
	s_delay_alu instid0(VALU_DEP_1) | instskip(NEXT) | instid1(VALU_DEP_1)
	v_add_f32_e32 v7, v2, v6
	v_dual_sub_f32 v2, v7, v2 :: v_dual_sub_f32 v9, v6, v11
	s_delay_alu instid0(VALU_DEP_1) | instskip(NEXT) | instid1(VALU_DEP_2)
	v_sub_f32_e32 v2, v6, v2
	v_sub_f32_e32 v9, v10, v9
	s_delay_alu instid0(VALU_DEP_1) | instskip(NEXT) | instid1(VALU_DEP_1)
	v_add_f32_e32 v6, v8, v9
	v_dual_mul_f32 v11, 0x3f317218, v1 :: v_dual_add_f32 v2, v6, v2
	s_delay_alu instid0(VALU_DEP_1) | instskip(NEXT) | instid1(VALU_DEP_2)
	v_fma_f32 v10, 0x3f317218, v1, -v11
	v_add_f32_e32 v8, v7, v2
	s_delay_alu instid0(VALU_DEP_1) | instskip(NEXT) | instid1(VALU_DEP_1)
	v_sub_f32_e32 v7, v8, v7
	v_dual_fmamk_f32 v1, v1, 0xb102e308, v10 :: v_dual_sub_f32 v2, v2, v7
	s_delay_alu instid0(VALU_DEP_1) | instskip(NEXT) | instid1(VALU_DEP_1)
	v_add_f32_e32 v6, v11, v1
	v_add_f32_e32 v9, v6, v8
	s_delay_alu instid0(VALU_DEP_1) | instskip(NEXT) | instid1(VALU_DEP_1)
	v_dual_sub_f32 v11, v6, v11 :: v_dual_sub_f32 v10, v9, v6
	v_sub_f32_e32 v12, v9, v10
	s_delay_alu instid0(VALU_DEP_2) | instskip(NEXT) | instid1(VALU_DEP_2)
	v_sub_f32_e32 v1, v1, v11
	v_dual_sub_f32 v7, v8, v10 :: v_dual_sub_f32 v6, v6, v12
	s_delay_alu instid0(VALU_DEP_2) | instskip(NEXT) | instid1(VALU_DEP_2)
	v_add_f32_e32 v8, v1, v2
	v_add_f32_e32 v6, v7, v6
	s_delay_alu instid0(VALU_DEP_1) | instskip(NEXT) | instid1(VALU_DEP_1)
	v_add_f32_e32 v6, v8, v6
	v_dual_sub_f32 v7, v8, v1 :: v_dual_add_f32 v10, v9, v6
	s_delay_alu instid0(VALU_DEP_1) | instskip(SKIP_1) | instid1(VALU_DEP_3)
	v_sub_f32_e32 v8, v8, v7
	v_sub_f32_e32 v2, v2, v7
	;; [unrolled: 1-line block ×3, first 2 shown]
	s_delay_alu instid0(VALU_DEP_3) | instskip(NEXT) | instid1(VALU_DEP_1)
	v_sub_f32_e32 v1, v1, v8
	v_add_f32_e32 v1, v2, v1
	s_delay_alu instid0(VALU_DEP_3) | instskip(NEXT) | instid1(VALU_DEP_1)
	v_sub_f32_e32 v2, v6, v7
	v_add_f32_e32 v1, v1, v2
	s_delay_alu instid0(VALU_DEP_1) | instskip(NEXT) | instid1(VALU_DEP_1)
	v_add_f32_e32 v2, v10, v1
	v_mul_f32_e32 v7, v4, v2
	v_sub_f32_e32 v6, v2, v10
	s_delay_alu instid0(VALU_DEP_2) | instskip(NEXT) | instid1(VALU_DEP_2)
	v_fma_f32 v2, v4, v2, -v7
	v_sub_f32_e32 v1, v1, v6
	v_cmp_class_f32_e64 s4, v7, 0x204
	s_delay_alu instid0(VALU_DEP_2) | instskip(NEXT) | instid1(VALU_DEP_1)
	v_fmac_f32_e32 v2, v4, v1
	v_add_f32_e32 v1, v7, v2
	s_delay_alu instid0(VALU_DEP_1) | instskip(NEXT) | instid1(VALU_DEP_1)
	v_cndmask_b32_e64 v6, v1, v7, s4
	v_cmp_eq_f32_e64 s4, 0x42b17218, v6
	s_delay_alu instid0(VALU_DEP_1) | instskip(SKIP_1) | instid1(VALU_DEP_2)
	v_cndmask_b32_e64 v8, 0, 0x37000000, s4
	v_cmp_neq_f32_e64 s4, 0x7f800000, |v6|
	v_sub_f32_e32 v9, v6, v8
	v_trunc_f32_e32 v6, v4
	s_delay_alu instid0(VALU_DEP_2) | instskip(NEXT) | instid1(VALU_DEP_1)
	v_mul_f32_e32 v10, 0x3fb8aa3b, v9
	v_fma_f32 v11, 0x3fb8aa3b, v9, -v10
	v_rndne_f32_e32 v12, v10
	s_delay_alu instid0(VALU_DEP_1) | instskip(NEXT) | instid1(VALU_DEP_1)
	v_dual_fmamk_f32 v11, v9, 0x32a5705f, v11 :: v_dual_sub_f32 v10, v10, v12
	v_add_f32_e32 v10, v10, v11
	v_sub_f32_e32 v1, v1, v7
	v_cvt_i32_f32_e32 v7, v12
	s_delay_alu instid0(VALU_DEP_3) | instskip(NEXT) | instid1(VALU_DEP_2)
	v_exp_f32_e32 v10, v10
	v_sub_f32_e32 v1, v2, v1
	s_delay_alu instid0(VALU_DEP_1)
	v_cndmask_b32_e64 v1, 0, v1, s4
	v_cmp_ngt_f32_e64 s4, 0xc2ce8ed0, v9
	s_waitcnt_depctr 0xfff
	v_ldexp_f32 v2, v10, v7
	v_mul_f32_e32 v7, 0.5, v4
	v_add_f32_e32 v1, v8, v1
	s_delay_alu instid0(VALU_DEP_3) | instskip(NEXT) | instid1(VALU_DEP_3)
	v_cndmask_b32_e64 v2, 0, v2, s4
	v_trunc_f32_e32 v10, v7
	v_cmp_nlt_f32_e64 s4, 0x42b17218, v9
	s_delay_alu instid0(VALU_DEP_2) | instskip(NEXT) | instid1(VALU_DEP_2)
	v_cmp_neq_f32_e64 s5, v10, v7
	v_cndmask_b32_e64 v2, 0x7f800000, v2, s4
	v_cmp_eq_f32_e64 s4, v6, v4
	s_delay_alu instid0(VALU_DEP_2) | instskip(NEXT) | instid1(VALU_DEP_2)
	v_fma_f32 v1, v2, v1, v2
	s_and_b32 vcc_lo, s4, s5
	v_cmp_class_f32_e64 s5, v2, 0x204
	v_cndmask_b32_e32 v6, 1.0, v3, vcc_lo
	s_delay_alu instid0(VALU_DEP_2) | instskip(SKIP_1) | instid1(VALU_DEP_2)
	v_cndmask_b32_e64 v1, v1, v2, s5
	v_cmp_gt_f32_e64 s5, 0, v4
	v_bfi_b32 v1, 0x7fffffff, v1, v6
	v_cndmask_b32_e32 v6, 0, v3, vcc_lo
	s_delay_alu instid0(VALU_DEP_3)
	s_xor_b32 s5, s5, s6
	v_cmp_eq_f32_e32 vcc_lo, 0x7f800000, v5
	v_cndmask_b32_e64 v2, 0x7f800000, 0, s5
	v_cndmask_b32_e64 v4, 0x7fc00000, v1, s4
	v_cmp_gt_f32_e64 s4, 0, v3
	s_or_b32 vcc_lo, vcc_lo, s6
	s_delay_alu instid0(VALU_DEP_3) | instskip(NEXT) | instid1(VALU_DEP_2)
	v_bfi_b32 v2, 0x7fffffff, v2, v6
	v_cndmask_b32_e64 v1, v1, v4, s4
	s_delay_alu instid0(VALU_DEP_1) | instskip(SKIP_1) | instid1(VALU_DEP_2)
	v_cndmask_b32_e32 v1, v1, v2, vcc_lo
	v_cmp_o_f32_e32 vcc_lo, v3, v3
	v_cndmask_b32_e32 v43, 0x7fc00000, v1, vcc_lo
.LBB56_4:
	v_bfe_u32 v38, v0, 10, 10
	s_lshl_b32 s11, s13, 5
	s_load_b128 s[4:7], s[2:3], 0x70
	s_ashr_i32 s35, s34, 31
	s_ashr_i32 s10, s43, 31
	v_lshlrev_b32_e32 v31, 2, v38
	v_and_b32_e32 v34, 0x3ff, v0
	v_lshlrev_b32_e32 v17, 8, v38
	s_delay_alu instid0(VALU_DEP_3) | instskip(SKIP_3) | instid1(VALU_DEP_4)
	v_or_b32_e32 v27, 2, v31
	v_or_b32_e32 v29, 1, v31
	;; [unrolled: 1-line block ×3, first 2 shown]
	v_lshlrev_b32_e32 v19, 1, v34
	v_add_nc_u32_e32 v30, s11, v27
	s_delay_alu instid0(VALU_DEP_4) | instskip(NEXT) | instid1(VALU_DEP_4)
	v_add_nc_u32_e32 v32, s11, v29
	v_add_nc_u32_e32 v26, s11, v25
	v_lshlrev_b32_e32 v20, 6, v29
	v_lshlrev_b32_e32 v22, 6, v27
	v_mul_hi_u32 v3, v30, s36
	v_mul_hi_u32 v2, v32, s36
	;; [unrolled: 1-line block ×3, first 2 shown]
	s_waitcnt lgkmcnt(0)
	s_mul_i32 s6, s33, s6
	s_mul_i32 s5, s34, s5
	s_ashr_i32 s7, s6, 31
	s_add_u32 s6, s16, s6
	s_addc_u32 s7, s17, s7
	v_add_nc_u32_e32 v3, v30, v3
	v_add_nc_u32_e32 v2, v32, v2
	;; [unrolled: 1-line block ×3, first 2 shown]
	s_ashr_i32 s16, s5, 31
	s_add_u32 s5, s6, s5
	v_lshrrev_b32_e32 v3, s37, v3
	v_lshrrev_b32_e32 v2, s37, v2
	s_addc_u32 s6, s7, s16
	s_ashr_i32 s7, s4, 31
	v_lshrrev_b32_e32 v4, s37, v4
	v_mul_lo_u32 v3, v3, s38
	v_mul_lo_u32 v5, v2, s38
	v_alignbit_b32 v9, s7, s4, 2
	s_lshr_b32 s4, s7, 2
	v_mul_lo_u32 v4, v4, s38
	v_lshlrev_b32_e32 v23, 6, v25
	s_cmp_eq_u64 s[26:27], 0
	v_add_lshl_u32 v21, v17, v19, 2
	v_sub_nc_u32_e32 v13, v30, v3
	v_sub_nc_u32_e32 v12, v32, v5
	v_add_lshl_u32 v24, v20, v19, 2
	v_add_lshl_u32 v22, v22, v19, 2
	v_sub_nc_u32_e32 v14, v26, v4
	v_mad_u64_u32 v[5:6], null, v9, v13, 0
	v_add_nc_u32_e32 v33, s11, v31
	v_mad_u64_u32 v[3:4], null, v9, v12, 0
	s_delay_alu instid0(VALU_DEP_4) | instskip(NEXT) | instid1(VALU_DEP_3)
	v_mad_u64_u32 v[7:8], null, v9, v14, 0
	v_mul_hi_u32 v1, v33, s36
	v_add_lshl_u32 v23, v23, v19, 2
	s_delay_alu instid0(VALU_DEP_2) | instskip(NEXT) | instid1(VALU_DEP_1)
	v_add_nc_u32_e32 v1, v33, v1
	v_lshrrev_b32_e32 v1, s37, v1
	s_delay_alu instid0(VALU_DEP_1) | instskip(NEXT) | instid1(VALU_DEP_1)
	v_mul_lo_u32 v1, v1, s38
	v_sub_nc_u32_e32 v53, v33, v1
	s_delay_alu instid0(VALU_DEP_1) | instskip(NEXT) | instid1(VALU_DEP_1)
	v_mad_u64_u32 v[1:2], null, v9, v53, 0
	v_mad_u64_u32 v[9:10], null, s4, v53, v[2:3]
	v_mov_b32_e32 v2, v4
	v_mov_b32_e32 v4, v6
	;; [unrolled: 1-line block ×3, first 2 shown]
	s_delay_alu instid0(VALU_DEP_3) | instskip(NEXT) | instid1(VALU_DEP_3)
	v_mad_u64_u32 v[10:11], null, s4, v12, v[2:3]
	v_mad_u64_u32 v[11:12], null, s4, v13, v[4:5]
	v_dual_mov_b32 v2, v9 :: v_dual_lshlrev_b32 v15, 4, v34
	s_delay_alu instid0(VALU_DEP_4) | instskip(NEXT) | instid1(VALU_DEP_4)
	v_mad_u64_u32 v[8:9], null, s4, v14, v[6:7]
	v_mov_b32_e32 v4, v10
	s_delay_alu instid0(VALU_DEP_3) | instskip(NEXT) | instid1(VALU_DEP_4)
	v_lshlrev_b64 v[1:2], 2, v[1:2]
	v_add_co_u32 v13, s5, s5, v15
	v_mov_b32_e32 v6, v11
	v_add_co_ci_u32_e64 v15, null, s6, 0, s5
	v_lshlrev_b64 v[9:10], 2, v[3:4]
	s_delay_alu instid0(VALU_DEP_4) | instskip(NEXT) | instid1(VALU_DEP_4)
	v_add_co_u32 v1, vcc_lo, v13, v1
	v_lshlrev_b64 v[5:6], 2, v[5:6]
	s_delay_alu instid0(VALU_DEP_4) | instskip(NEXT) | instid1(VALU_DEP_4)
	v_add_co_ci_u32_e32 v2, vcc_lo, v15, v2, vcc_lo
	v_add_co_u32 v9, vcc_lo, v13, v9
	v_lshlrev_b64 v[7:8], 2, v[7:8]
	v_add_co_ci_u32_e32 v10, vcc_lo, v15, v10, vcc_lo
	v_add_co_u32 v11, vcc_lo, v13, v5
	global_load_b128 v[1:4], v[1:2], off
	v_add_co_ci_u32_e32 v12, vcc_lo, v15, v6, vcc_lo
	v_add_co_u32 v13, vcc_lo, v13, v7
	v_add_co_ci_u32_e32 v14, vcc_lo, v15, v8, vcc_lo
	s_clause 0x2
	global_load_b128 v[5:8], v[9:10], off
	global_load_b128 v[9:12], v[11:12], off
	;; [unrolled: 1-line block ×3, first 2 shown]
	s_mov_b32 s5, 0
	s_waitcnt vmcnt(3)
	v_fma_mixlo_f16 v17, v1, s8, 0
	v_fma_mixlo_f16 v18, v3, s8, 0
	s_delay_alu instid0(VALU_DEP_2)
	v_fma_mixhi_f16 v17, v2, s8, 0
	s_waitcnt vmcnt(2)
	v_fma_mixlo_f16 v1, v5, s8, 0
	v_fma_mixlo_f16 v2, v7, s8, 0
	v_fma_mixhi_f16 v18, v4, s8, 0
	s_waitcnt vmcnt(1)
	v_fma_mixlo_f16 v3, v9, s8, 0
	v_fma_mixlo_f16 v4, v11, s8, 0
	s_waitcnt vmcnt(0)
	v_fma_mixlo_f16 v19, v13, s8, 0
	v_fma_mixlo_f16 v20, v15, s8, 0
	v_fma_mixhi_f16 v2, v8, s8, 0
	v_fma_mixhi_f16 v1, v6, s8, 0
	;; [unrolled: 1-line block ×6, first 2 shown]
	ds_store_b64 v21, v[17:18] offset:26624
	ds_store_b64 v24, v[1:2] offset:26624
	;; [unrolled: 1-line block ×4, first 2 shown]
	s_waitcnt lgkmcnt(0)
	s_barrier
	buffer_gl0_inv
	s_cbranch_scc1 .LBB56_6
; %bb.5:
	s_load_b32 s4, s[2:3], 0xd0
	s_waitcnt lgkmcnt(0)
	s_mul_i32 s4, s4, s33
	s_delay_alu instid0(SALU_CYCLE_1) | instskip(NEXT) | instid1(SALU_CYCLE_1)
	s_add_i32 s4, s4, s13
	s_lshl_b64 s[4:5], s[4:5], 2
	s_delay_alu instid0(SALU_CYCLE_1)
	s_add_u32 s4, s26, s4
	s_addc_u32 s5, s27, s5
	s_load_b32 s42, s[4:5], 0x0
.LBB56_6:
	s_clause 0x1
	s_load_b64 s[16:17], s[2:3], 0x8c
	s_load_b128 s[4:7], s[2:3], 0x98
	s_ashr_i32 s8, s33, 31
	s_load_b64 s[26:27], s[2:3], 0xa8
	s_ashr_i32 s22, s45, 1
	s_mul_i32 s43, s9, s12
	v_dual_mov_b32 v21, 0 :: v_dual_lshlrev_b32 v28, 2, v34
	v_mov_b32_e32 v48, 0
	v_lshrrev_b32_e32 v56, 3, v34
	v_mul_u32_u24_e32 v54, 0x90, v34
	s_delay_alu instid0(VALU_DEP_4)
	v_and_b32_e32 v55, 28, v28
	v_lshlrev_b32_e32 v36, 10, v38
	v_or_b32_e32 v52, 1, v33
	v_or_b32_e32 v51, 2, v33
	;; [unrolled: 1-line block ×3, first 2 shown]
	v_lshlrev_b32_e32 v37, 3, v34
	v_lshrrev_b32_e32 v40, 4, v34
	v_and_b32_e32 v39, 60, v28
	v_mbcnt_lo_u32_b32 v35, -1, 0
	s_waitcnt lgkmcnt(0)
	s_ashr_i32 s23, s16, 2
	s_ashr_i32 s13, s6, 2
	s_mul_i32 s5, s33, s5
	s_mul_hi_u32 s6, s33, s4
	s_mul_i32 s16, s8, s4
	s_add_i32 s5, s6, s5
	s_mul_i32 s4, s33, s4
	s_add_i32 s5, s5, s16
	s_add_u32 s4, s18, s4
	s_addc_u32 s5, s19, s5
	s_xor_b32 s6, s35, s10
	s_sub_i32 s10, s15, s43
	s_add_i32 s15, s9, 1
	s_sub_i32 s16, s10, s12
	s_cmp_ge_u32 s10, s12
	s_mul_i32 s8, s8, s26
	s_cselect_b32 s9, s15, s9
	s_cselect_b32 s10, s16, s10
	s_add_i32 s15, s9, 1
	s_cmp_ge_u32 s10, s12
	s_mul_i32 s10, s33, s27
	s_cselect_b32 s9, s15, s9
	s_mul_hi_u32 s12, s33, s26
	s_xor_b32 s9, s9, s6
	s_mul_i32 s15, s33, s26
	s_sub_i32 s6, s9, s6
	s_mov_b32 s44, 0xfeffffff
	s_mul_i32 s9, s6, s17
	s_mul_i32 s6, s6, s7
	s_ashr_i32 s16, s9, 31
	s_add_u32 s19, s4, s9
	s_addc_u32 s26, s5, s16
	s_add_i32 s4, s12, s10
	s_delay_alu instid0(SALU_CYCLE_1)
	s_add_i32 s4, s4, s8
	s_add_u32 s5, s20, s15
	s_addc_u32 s4, s21, s4
	s_ashr_i32 s7, s6, 31
	s_add_u32 s15, s5, s6
	s_addc_u32 s18, s4, s7
	s_lshl_b32 s12, s14, 7
	s_add_i32 s20, s42, 0xffffff80
	s_delay_alu instid0(SALU_CYCLE_1)
	s_cmp_ge_i32 s12, s20
	s_cbranch_scc1 .LBB56_43
; %bb.7:
	v_dual_mov_b32 v41, 0 :: v_dual_add_nc_u32 v2, v56, v31
	v_dual_mov_b32 v80, 0xfeffffff :: v_dual_lshlrev_b32 v3, 2, v55
	s_lshl_b32 s4, s23, 5
	s_delay_alu instid0(VALU_DEP_2)
	v_mul_lo_u32 v1, s23, v2
	v_mul_hi_u32 v4, s36, v52
	v_mul_hi_u32 v5, s36, v51
	;; [unrolled: 1-line block ×3, first 2 shown]
	v_lshl_add_u32 v7, v38, 1, v40
	v_mad_u32_u24 v58, 0x90, v2, v3
	s_cmp_lg_u64 s[40:41], 0
	v_mov_b32_e32 v45, 0
	v_dual_mov_b32 v46, 0 :: v_dual_add_nc_u32 v3, s4, v1
	v_mul_lo_u32 v13, s13, v7
	v_add_nc_u32_e32 v4, v52, v4
	v_dual_mov_b32 v44, 0 :: v_dual_add_nc_u32 v5, v51, v5
	s_delay_alu instid0(VALU_DEP_4) | instskip(SKIP_2) | instid1(VALU_DEP_2)
	v_dual_mov_b32 v78, 0xfeffffff :: v_dual_add_nc_u32 v9, s4, v3
	v_dual_mov_b32 v47, 0 :: v_dual_add_nc_u32 v6, v50, v6
	s_cselect_b32 s21, -1, 0
	v_dual_mov_b32 v74, 0 :: v_dual_add_nc_u32 v11, s4, v9
	s_lshl_b32 s4, s13, 4
	v_lshrrev_b32_e32 v8, s37, v4
	v_lshrrev_b32_e32 v5, s37, v5
	;; [unrolled: 1-line block ×3, first 2 shown]
	v_add_nc_u32_e32 v15, s4, v13
	v_dual_mov_b32 v81, 0xfeffffff :: v_dual_lshlrev_b32 v14, 2, v39
	v_mul_lo_u32 v8, v8, s38
	v_mul_lo_u32 v5, v5, s38
	;; [unrolled: 1-line block ×3, first 2 shown]
	v_add_nc_u32_e32 v17, s4, v15
	v_ashrrev_i32_e32 v2, 31, v1
	v_ashrrev_i32_e32 v4, 31, v3
	v_ashrrev_i32_e32 v10, 31, v9
	v_ashrrev_i32_e32 v12, 31, v11
	v_add_nc_u32_e32 v19, s4, v17
	v_sub_nc_u32_e32 v8, v52, v8
	v_sub_nc_u32_e32 v5, v51, v5
	v_sub_nc_u32_e32 v6, v50, v6
	v_lshl_or_b32 v65, v7, 8, v14
	v_ashrrev_i32_e32 v14, 31, v13
	v_ashrrev_i32_e32 v16, 31, v15
	;; [unrolled: 1-line block ×4, first 2 shown]
	s_add_u32 s16, s2, 0xd0
	v_mul_lo_u32 v62, v53, s22
	v_mul_lo_u32 v63, v8, s22
	;; [unrolled: 1-line block ×4, first 2 shown]
	s_addc_u32 s17, s3, 0
	s_add_u32 s27, s40, 64
	s_addc_u32 s43, s41, 0
	v_lshlrev_b64 v[5:6], 2, v[1:2]
	v_lshlrev_b64 v[7:8], 2, v[3:4]
	;; [unrolled: 1-line block ×8, first 2 shown]
	v_dual_mov_b32 v42, 0 :: v_dual_add_nc_u32 v57, 0x6800, v36
	v_dual_mov_b32 v48, 0 :: v_dual_add_nc_u32 v59, 0x1200, v58
	;; [unrolled: 1-line block ×4, first 2 shown]
	v_add_nc_u32_e32 v67, 0x4800, v36
	v_dual_mov_b32 v77, 0 :: v_dual_add_nc_u32 v68, 0x1000, v65
	v_add_nc_u32_e32 v69, 0x2000, v65
	v_dual_mov_b32 v75, 0 :: v_dual_add_nc_u32 v70, 0x3000, v65
	s_add_u32 s44, s40, 0x80
	v_lshlrev_b32_e32 v71, 2, v55
	v_dual_mov_b32 v79, 0xfeffffff :: v_dual_lshlrev_b32 v72, 2, v39
	v_mbcnt_lo_u32_b32 v73, -1, 0
	s_addc_u32 s45, s41, 0
	s_add_u32 s46, s40, 0xc0
	s_addc_u32 s47, s41, 0
.LBB56_8:                               ; =>This Inner Loop Header: Depth=1
	s_mul_hi_i32 s5, s12, s23
	s_mul_i32 s4, s12, s23
	v_dual_mov_b32 v94, 0 :: v_dual_mov_b32 v89, 0
	s_lshl_b64 s[4:5], s[4:5], 2
	v_mov_b32_e32 v86, 0
	s_add_u32 s4, s19, s4
	s_addc_u32 s5, s26, s5
	v_add_co_u32 v1, vcc_lo, s4, v5
	v_add_co_ci_u32_e32 v2, vcc_lo, s5, v6, vcc_lo
	v_add_co_u32 v3, vcc_lo, s4, v7
	v_add_co_ci_u32_e32 v4, vcc_lo, s5, v8, vcc_lo
	s_delay_alu instid0(VALU_DEP_4) | instskip(NEXT) | instid1(VALU_DEP_4)
	v_add_co_u32 v1, vcc_lo, v1, v71
	v_add_co_ci_u32_e32 v2, vcc_lo, 0, v2, vcc_lo
	s_delay_alu instid0(VALU_DEP_4) | instskip(NEXT) | instid1(VALU_DEP_4)
	v_add_co_u32 v3, vcc_lo, v3, v71
	v_add_co_ci_u32_e32 v4, vcc_lo, 0, v4, vcc_lo
	v_add_co_u32 v21, vcc_lo, s4, v9
	v_add_co_ci_u32_e32 v22, vcc_lo, s5, v10, vcc_lo
	;; [unrolled: 2-line block ×3, first 2 shown]
	s_delay_alu instid0(VALU_DEP_4) | instskip(NEXT) | instid1(VALU_DEP_4)
	v_add_co_u32 v21, vcc_lo, v21, v71
	v_add_co_ci_u32_e32 v22, vcc_lo, 0, v22, vcc_lo
	s_delay_alu instid0(VALU_DEP_4) | instskip(NEXT) | instid1(VALU_DEP_4)
	v_add_co_u32 v23, vcc_lo, v23, v71
	v_add_co_ci_u32_e32 v24, vcc_lo, 0, v24, vcc_lo
	s_clause 0x3
	global_load_b128 v[82:85], v[1:2], off
	global_load_b128 v[90:93], v[3:4], off
	;; [unrolled: 1-line block ×4, first 2 shown]
	v_dual_mov_b32 v87, 0 :: v_dual_mov_b32 v88, 0
	s_and_not1_b32 vcc_lo, exec_lo, s21
	s_waitcnt vmcnt(3)
	ds_store_b128 v58, v[82:85]
	s_waitcnt vmcnt(2)
	ds_store_b128 v59, v[90:93]
	;; [unrolled: 2-line block ×4, first 2 shown]
	v_mov_b32_e32 v97, 0
	s_waitcnt lgkmcnt(0)
	s_barrier
	buffer_gl0_inv
	ds_load_b128 v[98:101], v54
	ds_load_b128 v[102:105], v57
	ds_load_b128 v[106:109], v57 offset:256
	ds_load_b128 v[118:121], v54 offset:4608
	;; [unrolled: 1-line block ×6, first 2 shown]
	s_waitcnt lgkmcnt(6)
	;;#ASMSTART
	v_dot2_f32_f16 v94, v98, v102, v94
	;;#ASMEND
	;;#ASMSTART
	v_dot2_f32_f16 v94, v99, v103, v94
	;;#ASMEND
	;; [unrolled: 3-line block ×4, first 2 shown]
	s_waitcnt lgkmcnt(5)
	;;#ASMSTART
	v_dot2_f32_f16 v89, v98, v106, v89
	;;#ASMEND
	;;#ASMSTART
	v_dot2_f32_f16 v89, v99, v107, v89
	;;#ASMEND
	;; [unrolled: 3-line block ×3, first 2 shown]
	v_mov_b32_e32 v95, 0
	;;#ASMSTART
	v_dot2_f32_f16 v89, v101, v109, v89
	;;#ASMEND
	s_waitcnt lgkmcnt(3)
	;;#ASMSTART
	v_dot2_f32_f16 v86, v98, v110, v86
	;;#ASMEND
	;;#ASMSTART
	v_dot2_f32_f16 v86, v99, v111, v86
	;;#ASMEND
	v_dual_mov_b32 v82, 0 :: v_dual_mov_b32 v91, 0
	;;#ASMSTART
	v_dot2_f32_f16 v86, v100, v112, v86
	;;#ASMEND
	;;#ASMSTART
	v_dot2_f32_f16 v86, v101, v113, v86
	;;#ASMEND
	s_waitcnt lgkmcnt(2)
	;;#ASMSTART
	v_dot2_f32_f16 v82, v98, v114, v82
	;;#ASMEND
	;;#ASMSTART
	v_dot2_f32_f16 v82, v99, v115, v82
	;;#ASMEND
	;; [unrolled: 3-line block ×11, first 2 shown]
	v_mov_b32_e32 v96, 0
	;;#ASMSTART
	v_dot2_f32_f16 v91, v121, v109, v91
	;;#ASMEND
	;;#ASMSTART
	v_dot2_f32_f16 v87, v118, v110, v87
	;;#ASMEND
	;; [unrolled: 3-line block ×3, first 2 shown]
	v_dual_mov_b32 v83, 0 :: v_dual_mov_b32 v92, 0
	;;#ASMSTART
	v_dot2_f32_f16 v87, v120, v112, v87
	;;#ASMEND
	;;#ASMSTART
	v_dot2_f32_f16 v87, v121, v113, v87
	;;#ASMEND
	;; [unrolled: 3-line block ×6, first 2 shown]
	s_waitcnt lgkmcnt(1)
	;;#ASMSTART
	v_dot2_f32_f16 v96, v122, v102, v96
	;;#ASMEND
	;;#ASMSTART
	v_dot2_f32_f16 v96, v123, v103, v96
	;;#ASMEND
	;; [unrolled: 3-line block ×10, first 2 shown]
	v_dual_mov_b32 v84, 0 :: v_dual_mov_b32 v93, 0
	;;#ASMSTART
	v_dot2_f32_f16 v88, v124, v112, v88
	;;#ASMEND
	;;#ASMSTART
	v_dot2_f32_f16 v88, v125, v113, v88
	;;#ASMEND
	;; [unrolled: 3-line block ×6, first 2 shown]
	s_waitcnt lgkmcnt(0)
	;;#ASMSTART
	v_dot2_f32_f16 v97, v126, v102, v97
	;;#ASMEND
	;;#ASMSTART
	v_dot2_f32_f16 v97, v127, v103, v97
	;;#ASMEND
	;; [unrolled: 3-line block ×6, first 2 shown]
	v_dual_mov_b32 v90, 0 :: v_dual_mov_b32 v85, 0
	;;#ASMSTART
	v_dot2_f32_f16 v93, v128, v108, v93
	;;#ASMEND
	;;#ASMSTART
	v_dot2_f32_f16 v93, v129, v109, v93
	;;#ASMEND
	;; [unrolled: 3-line block ×10, first 2 shown]
	ds_load_b128 v[98:101], v54 offset:16
	ds_load_b128 v[102:105], v57 offset:16
	;; [unrolled: 1-line block ×8, first 2 shown]
	s_waitcnt lgkmcnt(6)
	;;#ASMSTART
	v_dot2_f32_f16 v94, v98, v102, v94
	;;#ASMEND
	;;#ASMSTART
	v_dot2_f32_f16 v94, v99, v103, v94
	;;#ASMEND
	;;#ASMSTART
	v_dot2_f32_f16 v94, v100, v104, v94
	;;#ASMEND
	;;#ASMSTART
	v_dot2_f32_f16 v94, v101, v105, v94
	;;#ASMEND
	s_waitcnt lgkmcnt(5)
	;;#ASMSTART
	v_dot2_f32_f16 v89, v98, v106, v89
	;;#ASMEND
	;;#ASMSTART
	v_dot2_f32_f16 v89, v99, v107, v89
	;;#ASMEND
	;;#ASMSTART
	v_dot2_f32_f16 v89, v100, v108, v89
	;;#ASMEND
	;;#ASMSTART
	v_dot2_f32_f16 v89, v101, v109, v89
	;;#ASMEND
	s_waitcnt lgkmcnt(4)
	;;#ASMSTART
	v_dot2_f32_f16 v86, v98, v110, v86
	;;#ASMEND
	;;#ASMSTART
	v_dot2_f32_f16 v86, v99, v111, v86
	;;#ASMEND
	;;#ASMSTART
	v_dot2_f32_f16 v86, v100, v112, v86
	;;#ASMEND
	;;#ASMSTART
	v_dot2_f32_f16 v86, v101, v113, v86
	;;#ASMEND
	s_waitcnt lgkmcnt(3)
	;;#ASMSTART
	v_dot2_f32_f16 v82, v98, v114, v82
	;;#ASMEND
	;;#ASMSTART
	v_dot2_f32_f16 v82, v99, v115, v82
	;;#ASMEND
	;;#ASMSTART
	v_dot2_f32_f16 v82, v100, v116, v82
	;;#ASMEND
	;;#ASMSTART
	v_dot2_f32_f16 v82, v101, v117, v82
	;;#ASMEND
	s_waitcnt lgkmcnt(2)
	;;#ASMSTART
	v_dot2_f32_f16 v95, v118, v102, v95
	;;#ASMEND
	;;#ASMSTART
	v_dot2_f32_f16 v95, v119, v103, v95
	;;#ASMEND
	;;#ASMSTART
	v_dot2_f32_f16 v95, v120, v104, v95
	;;#ASMEND
	;;#ASMSTART
	v_dot2_f32_f16 v95, v121, v105, v95
	;;#ASMEND
	;;#ASMSTART
	v_dot2_f32_f16 v91, v118, v106, v91
	;;#ASMEND
	;;#ASMSTART
	v_dot2_f32_f16 v91, v119, v107, v91
	;;#ASMEND
	;; [unrolled: 3-line block ×12, first 2 shown]
	s_waitcnt lgkmcnt(1)
	;;#ASMSTART
	v_dot2_f32_f16 v96, v122, v102, v96
	;;#ASMEND
	;;#ASMSTART
	v_dot2_f32_f16 v96, v123, v103, v96
	;;#ASMEND
	;; [unrolled: 3-line block ×16, first 2 shown]
	s_waitcnt lgkmcnt(0)
	;;#ASMSTART
	v_dot2_f32_f16 v97, v126, v102, v97
	;;#ASMEND
	;;#ASMSTART
	v_dot2_f32_f16 v97, v127, v103, v97
	;;#ASMEND
	;; [unrolled: 3-line block ×16, first 2 shown]
	ds_load_b128 v[98:101], v54 offset:32
	ds_load_b128 v[102:105], v57 offset:32
	;; [unrolled: 1-line block ×8, first 2 shown]
	s_waitcnt lgkmcnt(6)
	;;#ASMSTART
	v_dot2_f32_f16 v94, v98, v102, v94
	;;#ASMEND
	;;#ASMSTART
	v_dot2_f32_f16 v94, v99, v103, v94
	;;#ASMEND
	;;#ASMSTART
	v_dot2_f32_f16 v94, v100, v104, v94
	;;#ASMEND
	;;#ASMSTART
	v_dot2_f32_f16 v94, v101, v105, v94
	;;#ASMEND
	s_waitcnt lgkmcnt(5)
	;;#ASMSTART
	v_dot2_f32_f16 v89, v98, v106, v89
	;;#ASMEND
	;;#ASMSTART
	v_dot2_f32_f16 v89, v99, v107, v89
	;;#ASMEND
	;;#ASMSTART
	v_dot2_f32_f16 v89, v100, v108, v89
	;;#ASMEND
	;;#ASMSTART
	v_dot2_f32_f16 v89, v101, v109, v89
	;;#ASMEND
	;; [unrolled: 13-line block ×5, first 2 shown]
	;;#ASMSTART
	v_dot2_f32_f16 v91, v118, v106, v91
	;;#ASMEND
	;;#ASMSTART
	v_dot2_f32_f16 v91, v119, v107, v91
	;;#ASMEND
	;; [unrolled: 3-line block ×12, first 2 shown]
	s_waitcnt lgkmcnt(1)
	;;#ASMSTART
	v_dot2_f32_f16 v96, v122, v102, v96
	;;#ASMEND
	;;#ASMSTART
	v_dot2_f32_f16 v96, v123, v103, v96
	;;#ASMEND
	;; [unrolled: 3-line block ×16, first 2 shown]
	s_waitcnt lgkmcnt(0)
	;;#ASMSTART
	v_dot2_f32_f16 v97, v126, v102, v97
	;;#ASMEND
	;;#ASMSTART
	v_dot2_f32_f16 v97, v127, v103, v97
	;;#ASMEND
	;; [unrolled: 3-line block ×16, first 2 shown]
	ds_load_b128 v[98:101], v54 offset:48
	ds_load_b128 v[102:105], v57 offset:48
	;; [unrolled: 1-line block ×8, first 2 shown]
	s_waitcnt lgkmcnt(6)
	;;#ASMSTART
	v_dot2_f32_f16 v94, v98, v102, v94
	;;#ASMEND
	;;#ASMSTART
	v_dot2_f32_f16 v94, v99, v103, v94
	;;#ASMEND
	;;#ASMSTART
	v_dot2_f32_f16 v94, v100, v104, v94
	;;#ASMEND
	;;#ASMSTART
	v_dot2_f32_f16 v94, v101, v105, v94
	;;#ASMEND
	s_waitcnt lgkmcnt(5)
	;;#ASMSTART
	v_dot2_f32_f16 v89, v98, v106, v89
	;;#ASMEND
	;;#ASMSTART
	v_dot2_f32_f16 v89, v99, v107, v89
	;;#ASMEND
	;;#ASMSTART
	v_dot2_f32_f16 v89, v100, v108, v89
	;;#ASMEND
	;;#ASMSTART
	v_dot2_f32_f16 v89, v101, v109, v89
	;;#ASMEND
	;; [unrolled: 13-line block ×5, first 2 shown]
	;;#ASMSTART
	v_dot2_f32_f16 v91, v118, v106, v91
	;;#ASMEND
	;;#ASMSTART
	v_dot2_f32_f16 v91, v119, v107, v91
	;;#ASMEND
	;; [unrolled: 3-line block ×12, first 2 shown]
	s_waitcnt lgkmcnt(1)
	;;#ASMSTART
	v_dot2_f32_f16 v96, v122, v102, v96
	;;#ASMEND
	;;#ASMSTART
	v_dot2_f32_f16 v96, v123, v103, v96
	;;#ASMEND
	;; [unrolled: 3-line block ×16, first 2 shown]
	s_waitcnt lgkmcnt(0)
	;;#ASMSTART
	v_dot2_f32_f16 v97, v126, v102, v97
	;;#ASMEND
	;;#ASMSTART
	v_dot2_f32_f16 v97, v127, v103, v97
	;;#ASMEND
	;; [unrolled: 3-line block ×16, first 2 shown]
	ds_load_b128 v[98:101], v54 offset:64
	ds_load_b128 v[102:105], v57 offset:64
	;; [unrolled: 1-line block ×8, first 2 shown]
	s_waitcnt lgkmcnt(6)
	;;#ASMSTART
	v_dot2_f32_f16 v94, v98, v102, v94
	;;#ASMEND
	;;#ASMSTART
	v_dot2_f32_f16 v94, v99, v103, v94
	;;#ASMEND
	;;#ASMSTART
	v_dot2_f32_f16 v94, v100, v104, v94
	;;#ASMEND
	;;#ASMSTART
	v_dot2_f32_f16 v94, v101, v105, v94
	;;#ASMEND
	s_waitcnt lgkmcnt(5)
	;;#ASMSTART
	v_dot2_f32_f16 v89, v98, v106, v89
	;;#ASMEND
	;;#ASMSTART
	v_dot2_f32_f16 v89, v99, v107, v89
	;;#ASMEND
	;;#ASMSTART
	v_dot2_f32_f16 v89, v100, v108, v89
	;;#ASMEND
	;;#ASMSTART
	v_dot2_f32_f16 v89, v101, v109, v89
	;;#ASMEND
	s_waitcnt lgkmcnt(4)
	;;#ASMSTART
	v_dot2_f32_f16 v86, v98, v110, v86
	;;#ASMEND
	;;#ASMSTART
	v_dot2_f32_f16 v86, v99, v111, v86
	;;#ASMEND
	;;#ASMSTART
	v_dot2_f32_f16 v86, v100, v112, v86
	;;#ASMEND
	;;#ASMSTART
	v_dot2_f32_f16 v86, v101, v113, v86
	;;#ASMEND
	s_waitcnt lgkmcnt(3)
	;;#ASMSTART
	v_dot2_f32_f16 v82, v98, v114, v82
	;;#ASMEND
	;;#ASMSTART
	v_dot2_f32_f16 v82, v99, v115, v82
	;;#ASMEND
	;;#ASMSTART
	v_dot2_f32_f16 v82, v100, v116, v82
	;;#ASMEND
	;;#ASMSTART
	v_dot2_f32_f16 v82, v101, v117, v82
	;;#ASMEND
	s_waitcnt lgkmcnt(2)
	;;#ASMSTART
	v_dot2_f32_f16 v95, v118, v102, v95
	;;#ASMEND
	;;#ASMSTART
	v_dot2_f32_f16 v95, v119, v103, v95
	;;#ASMEND
	;;#ASMSTART
	v_dot2_f32_f16 v95, v120, v104, v95
	;;#ASMEND
	;;#ASMSTART
	v_dot2_f32_f16 v95, v121, v105, v95
	;;#ASMEND
	;;#ASMSTART
	v_dot2_f32_f16 v91, v118, v106, v91
	;;#ASMEND
	;;#ASMSTART
	v_dot2_f32_f16 v91, v119, v107, v91
	;;#ASMEND
	;;#ASMSTART
	v_dot2_f32_f16 v91, v120, v108, v91
	;;#ASMEND
	;;#ASMSTART
	v_dot2_f32_f16 v91, v121, v109, v91
	;;#ASMEND
	;;#ASMSTART
	v_dot2_f32_f16 v87, v118, v110, v87
	;;#ASMEND
	;;#ASMSTART
	v_dot2_f32_f16 v87, v119, v111, v87
	;;#ASMEND
	;;#ASMSTART
	v_dot2_f32_f16 v87, v120, v112, v87
	;;#ASMEND
	;;#ASMSTART
	v_dot2_f32_f16 v87, v121, v113, v87
	;;#ASMEND
	;;#ASMSTART
	v_dot2_f32_f16 v83, v118, v114, v83
	;;#ASMEND
	;;#ASMSTART
	v_dot2_f32_f16 v83, v119, v115, v83
	;;#ASMEND
	;;#ASMSTART
	v_dot2_f32_f16 v83, v120, v116, v83
	;;#ASMEND
	;;#ASMSTART
	v_dot2_f32_f16 v83, v121, v117, v83
	;;#ASMEND
	s_waitcnt lgkmcnt(1)
	;;#ASMSTART
	v_dot2_f32_f16 v96, v122, v102, v96
	;;#ASMEND
	;;#ASMSTART
	v_dot2_f32_f16 v96, v123, v103, v96
	;;#ASMEND
	;; [unrolled: 3-line block ×16, first 2 shown]
	s_waitcnt lgkmcnt(0)
	;;#ASMSTART
	v_dot2_f32_f16 v97, v126, v102, v97
	;;#ASMEND
	;;#ASMSTART
	v_dot2_f32_f16 v97, v127, v103, v97
	;;#ASMEND
	;; [unrolled: 3-line block ×16, first 2 shown]
	ds_load_b128 v[98:101], v54 offset:80
	ds_load_b128 v[102:105], v57 offset:80
	;; [unrolled: 1-line block ×8, first 2 shown]
	s_waitcnt lgkmcnt(6)
	;;#ASMSTART
	v_dot2_f32_f16 v94, v98, v102, v94
	;;#ASMEND
	;;#ASMSTART
	v_dot2_f32_f16 v94, v99, v103, v94
	;;#ASMEND
	;;#ASMSTART
	v_dot2_f32_f16 v94, v100, v104, v94
	;;#ASMEND
	;;#ASMSTART
	v_dot2_f32_f16 v94, v101, v105, v94
	;;#ASMEND
	s_waitcnt lgkmcnt(5)
	;;#ASMSTART
	v_dot2_f32_f16 v89, v98, v106, v89
	;;#ASMEND
	;;#ASMSTART
	v_dot2_f32_f16 v89, v99, v107, v89
	;;#ASMEND
	;;#ASMSTART
	v_dot2_f32_f16 v89, v100, v108, v89
	;;#ASMEND
	;;#ASMSTART
	v_dot2_f32_f16 v89, v101, v109, v89
	;;#ASMEND
	;; [unrolled: 13-line block ×5, first 2 shown]
	;;#ASMSTART
	v_dot2_f32_f16 v91, v118, v106, v91
	;;#ASMEND
	;;#ASMSTART
	v_dot2_f32_f16 v91, v119, v107, v91
	;;#ASMEND
	;; [unrolled: 3-line block ×12, first 2 shown]
	s_waitcnt lgkmcnt(1)
	;;#ASMSTART
	v_dot2_f32_f16 v96, v122, v102, v96
	;;#ASMEND
	;;#ASMSTART
	v_dot2_f32_f16 v96, v123, v103, v96
	;;#ASMEND
	;; [unrolled: 3-line block ×16, first 2 shown]
	s_waitcnt lgkmcnt(0)
	;;#ASMSTART
	v_dot2_f32_f16 v97, v126, v102, v97
	;;#ASMEND
	;;#ASMSTART
	v_dot2_f32_f16 v97, v127, v103, v97
	;;#ASMEND
	;; [unrolled: 3-line block ×16, first 2 shown]
	ds_load_b128 v[98:101], v54 offset:96
	ds_load_b128 v[102:105], v57 offset:96
	;; [unrolled: 1-line block ×8, first 2 shown]
	s_waitcnt lgkmcnt(6)
	;;#ASMSTART
	v_dot2_f32_f16 v94, v98, v102, v94
	;;#ASMEND
	;;#ASMSTART
	v_dot2_f32_f16 v94, v99, v103, v94
	;;#ASMEND
	;;#ASMSTART
	v_dot2_f32_f16 v94, v100, v104, v94
	;;#ASMEND
	;;#ASMSTART
	v_dot2_f32_f16 v94, v101, v105, v94
	;;#ASMEND
	s_waitcnt lgkmcnt(5)
	;;#ASMSTART
	v_dot2_f32_f16 v89, v98, v106, v89
	;;#ASMEND
	;;#ASMSTART
	v_dot2_f32_f16 v89, v99, v107, v89
	;;#ASMEND
	;;#ASMSTART
	v_dot2_f32_f16 v89, v100, v108, v89
	;;#ASMEND
	;;#ASMSTART
	v_dot2_f32_f16 v89, v101, v109, v89
	;;#ASMEND
	;; [unrolled: 13-line block ×5, first 2 shown]
	;;#ASMSTART
	v_dot2_f32_f16 v91, v118, v106, v91
	;;#ASMEND
	;;#ASMSTART
	v_dot2_f32_f16 v91, v119, v107, v91
	;;#ASMEND
	;; [unrolled: 3-line block ×12, first 2 shown]
	s_waitcnt lgkmcnt(1)
	;;#ASMSTART
	v_dot2_f32_f16 v96, v122, v102, v96
	;;#ASMEND
	;;#ASMSTART
	v_dot2_f32_f16 v96, v123, v103, v96
	;;#ASMEND
	;;#ASMSTART
	v_dot2_f32_f16 v96, v124, v104, v96
	;;#ASMEND
	;;#ASMSTART
	v_dot2_f32_f16 v96, v125, v105, v96
	;;#ASMEND
	;;#ASMSTART
	v_dot2_f32_f16 v92, v122, v106, v92
	;;#ASMEND
	;;#ASMSTART
	v_dot2_f32_f16 v92, v123, v107, v92
	;;#ASMEND
	;;#ASMSTART
	v_dot2_f32_f16 v92, v124, v108, v92
	;;#ASMEND
	;;#ASMSTART
	v_dot2_f32_f16 v92, v125, v109, v92
	;;#ASMEND
	;;#ASMSTART
	v_dot2_f32_f16 v88, v122, v110, v88
	;;#ASMEND
	;;#ASMSTART
	v_dot2_f32_f16 v88, v123, v111, v88
	;;#ASMEND
	;;#ASMSTART
	v_dot2_f32_f16 v88, v124, v112, v88
	;;#ASMEND
	;;#ASMSTART
	v_dot2_f32_f16 v88, v125, v113, v88
	;;#ASMEND
	;;#ASMSTART
	v_dot2_f32_f16 v84, v122, v114, v84
	;;#ASMEND
	;;#ASMSTART
	v_dot2_f32_f16 v84, v123, v115, v84
	;;#ASMEND
	;;#ASMSTART
	v_dot2_f32_f16 v84, v124, v116, v84
	;;#ASMEND
	;;#ASMSTART
	v_dot2_f32_f16 v84, v125, v117, v84
	;;#ASMEND
	s_waitcnt lgkmcnt(0)
	;;#ASMSTART
	v_dot2_f32_f16 v97, v126, v102, v97
	;;#ASMEND
	;;#ASMSTART
	v_dot2_f32_f16 v97, v127, v103, v97
	;;#ASMEND
	;;#ASMSTART
	v_dot2_f32_f16 v97, v128, v104, v97
	;;#ASMEND
	;;#ASMSTART
	v_dot2_f32_f16 v97, v129, v105, v97
	;;#ASMEND
	;;#ASMSTART
	v_dot2_f32_f16 v93, v126, v106, v93
	;;#ASMEND
	;;#ASMSTART
	v_dot2_f32_f16 v93, v127, v107, v93
	;;#ASMEND
	;;#ASMSTART
	v_dot2_f32_f16 v93, v128, v108, v93
	;;#ASMEND
	;;#ASMSTART
	v_dot2_f32_f16 v93, v129, v109, v93
	;;#ASMEND
	;;#ASMSTART
	v_dot2_f32_f16 v90, v126, v110, v90
	;;#ASMEND
	;;#ASMSTART
	v_dot2_f32_f16 v90, v127, v111, v90
	;;#ASMEND
	;;#ASMSTART
	v_dot2_f32_f16 v90, v128, v112, v90
	;;#ASMEND
	;;#ASMSTART
	v_dot2_f32_f16 v90, v129, v113, v90
	;;#ASMEND
	;;#ASMSTART
	v_dot2_f32_f16 v85, v126, v114, v85
	;;#ASMEND
	;;#ASMSTART
	v_dot2_f32_f16 v85, v127, v115, v85
	;;#ASMEND
	;;#ASMSTART
	v_dot2_f32_f16 v85, v128, v116, v85
	;;#ASMEND
	;;#ASMSTART
	v_dot2_f32_f16 v85, v129, v117, v85
	;;#ASMEND
	ds_load_b128 v[98:101], v54 offset:112
	ds_load_b128 v[102:105], v57 offset:112
	ds_load_b128 v[106:109], v57 offset:368
	ds_load_b128 v[110:113], v57 offset:624
	ds_load_b128 v[114:117], v57 offset:880
	ds_load_b128 v[118:121], v54 offset:4720
	ds_load_b128 v[122:125], v54 offset:9328
	ds_load_b128 v[126:129], v54 offset:13936
	s_waitcnt lgkmcnt(6)
	;;#ASMSTART
	v_dot2_f32_f16 v94, v98, v102, v94
	;;#ASMEND
	;;#ASMSTART
	v_dot2_f32_f16 v94, v99, v103, v94
	;;#ASMEND
	;;#ASMSTART
	v_dot2_f32_f16 v94, v100, v104, v94
	;;#ASMEND
	;;#ASMSTART
	v_dot2_f32_f16 v94, v101, v105, v94
	;;#ASMEND
	s_waitcnt lgkmcnt(5)
	;;#ASMSTART
	v_dot2_f32_f16 v89, v98, v106, v89
	;;#ASMEND
	;;#ASMSTART
	v_dot2_f32_f16 v89, v99, v107, v89
	;;#ASMEND
	;;#ASMSTART
	v_dot2_f32_f16 v89, v100, v108, v89
	;;#ASMEND
	;;#ASMSTART
	v_dot2_f32_f16 v89, v101, v109, v89
	;;#ASMEND
	;; [unrolled: 13-line block ×5, first 2 shown]
	;;#ASMSTART
	v_dot2_f32_f16 v91, v118, v106, v91
	;;#ASMEND
	;;#ASMSTART
	v_dot2_f32_f16 v91, v119, v107, v91
	;;#ASMEND
	;; [unrolled: 3-line block ×12, first 2 shown]
	s_waitcnt lgkmcnt(1)
	;;#ASMSTART
	v_dot2_f32_f16 v96, v122, v102, v96
	;;#ASMEND
	;;#ASMSTART
	v_dot2_f32_f16 v96, v123, v103, v96
	;;#ASMEND
	;;#ASMSTART
	v_dot2_f32_f16 v96, v124, v104, v96
	;;#ASMEND
	;;#ASMSTART
	v_dot2_f32_f16 v96, v125, v105, v96
	;;#ASMEND
	;;#ASMSTART
	v_dot2_f32_f16 v92, v122, v106, v92
	;;#ASMEND
	;;#ASMSTART
	v_dot2_f32_f16 v92, v123, v107, v92
	;;#ASMEND
	;;#ASMSTART
	v_dot2_f32_f16 v92, v124, v108, v92
	;;#ASMEND
	;;#ASMSTART
	v_dot2_f32_f16 v92, v125, v109, v92
	;;#ASMEND
	;;#ASMSTART
	v_dot2_f32_f16 v88, v122, v110, v88
	;;#ASMEND
	;;#ASMSTART
	v_dot2_f32_f16 v88, v123, v111, v88
	;;#ASMEND
	;;#ASMSTART
	v_dot2_f32_f16 v88, v124, v112, v88
	;;#ASMEND
	;;#ASMSTART
	v_dot2_f32_f16 v88, v125, v113, v88
	;;#ASMEND
	;;#ASMSTART
	v_dot2_f32_f16 v84, v122, v114, v84
	;;#ASMEND
	;;#ASMSTART
	v_dot2_f32_f16 v84, v123, v115, v84
	;;#ASMEND
	;;#ASMSTART
	v_dot2_f32_f16 v84, v124, v116, v84
	;;#ASMEND
	;;#ASMSTART
	v_dot2_f32_f16 v84, v125, v117, v84
	;;#ASMEND
	s_waitcnt lgkmcnt(0)
	;;#ASMSTART
	v_dot2_f32_f16 v97, v126, v102, v97
	;;#ASMEND
	;;#ASMSTART
	v_dot2_f32_f16 v97, v127, v103, v97
	;;#ASMEND
	;; [unrolled: 3-line block ×16, first 2 shown]
	s_barrier
	buffer_gl0_inv
	s_clause 0x3
	global_load_b128 v[98:101], v[1:2], off offset:128
	global_load_b128 v[1:4], v[3:4], off offset:128
	;; [unrolled: 1-line block ×4, first 2 shown]
	s_waitcnt vmcnt(3)
	ds_store_b128 v58, v[98:101]
	s_waitcnt vmcnt(2)
	ds_store_b128 v59, v[1:4]
	;; [unrolled: 2-line block ×4, first 2 shown]
	s_waitcnt lgkmcnt(0)
	s_barrier
	buffer_gl0_inv
	ds_load_b128 v[1:4], v54
	ds_load_b128 v[21:24], v57 offset:128
	ds_load_b128 v[98:101], v57 offset:384
	;; [unrolled: 1-line block ×7, first 2 shown]
	s_waitcnt lgkmcnt(6)
	;;#ASMSTART
	v_dot2_f32_f16 v94, v1, v21, v94
	;;#ASMEND
	;;#ASMSTART
	v_dot2_f32_f16 v94, v2, v22, v94
	;;#ASMEND
	;;#ASMSTART
	v_dot2_f32_f16 v94, v3, v23, v94
	;;#ASMEND
	;;#ASMSTART
	v_dot2_f32_f16 v94, v4, v24, v94
	;;#ASMEND
	s_waitcnt lgkmcnt(5)
	;;#ASMSTART
	v_dot2_f32_f16 v89, v1, v98, v89
	;;#ASMEND
	;;#ASMSTART
	v_dot2_f32_f16 v89, v2, v99, v89
	;;#ASMEND
	;;#ASMSTART
	v_dot2_f32_f16 v89, v3, v100, v89
	;;#ASMEND
	;;#ASMSTART
	v_dot2_f32_f16 v89, v4, v101, v89
	;;#ASMEND
	;; [unrolled: 13-line block ×5, first 2 shown]
	;;#ASMSTART
	v_dot2_f32_f16 v91, v110, v98, v91
	;;#ASMEND
	;;#ASMSTART
	v_dot2_f32_f16 v91, v111, v99, v91
	;;#ASMEND
	;; [unrolled: 3-line block ×12, first 2 shown]
	s_waitcnt lgkmcnt(1)
	;;#ASMSTART
	v_dot2_f32_f16 v96, v114, v21, v96
	;;#ASMEND
	;;#ASMSTART
	v_dot2_f32_f16 v96, v115, v22, v96
	;;#ASMEND
	;; [unrolled: 3-line block ×16, first 2 shown]
	s_waitcnt lgkmcnt(0)
	;;#ASMSTART
	v_dot2_f32_f16 v97, v118, v21, v97
	;;#ASMEND
	;;#ASMSTART
	v_dot2_f32_f16 v97, v119, v22, v97
	;;#ASMEND
	;;#ASMSTART
	v_dot2_f32_f16 v97, v120, v23, v97
	;;#ASMEND
	;;#ASMSTART
	v_dot2_f32_f16 v97, v121, v24, v97
	;;#ASMEND
	;;#ASMSTART
	v_dot2_f32_f16 v93, v118, v98, v93
	;;#ASMEND
	;;#ASMSTART
	v_dot2_f32_f16 v93, v119, v99, v93
	;;#ASMEND
	;;#ASMSTART
	v_dot2_f32_f16 v93, v120, v100, v93
	;;#ASMEND
	;;#ASMSTART
	v_dot2_f32_f16 v93, v121, v101, v93
	;;#ASMEND
	;;#ASMSTART
	v_dot2_f32_f16 v90, v118, v102, v90
	;;#ASMEND
	;;#ASMSTART
	v_dot2_f32_f16 v90, v119, v103, v90
	;;#ASMEND
	;;#ASMSTART
	v_dot2_f32_f16 v90, v120, v104, v90
	;;#ASMEND
	;;#ASMSTART
	v_dot2_f32_f16 v90, v121, v105, v90
	;;#ASMEND
	;;#ASMSTART
	v_dot2_f32_f16 v85, v118, v106, v85
	;;#ASMEND
	;;#ASMSTART
	v_dot2_f32_f16 v85, v119, v107, v85
	;;#ASMEND
	;;#ASMSTART
	v_dot2_f32_f16 v85, v120, v108, v85
	;;#ASMEND
	;;#ASMSTART
	v_dot2_f32_f16 v85, v121, v109, v85
	;;#ASMEND
	ds_load_b128 v[1:4], v54 offset:16
	ds_load_b128 v[21:24], v57 offset:144
	;; [unrolled: 1-line block ×8, first 2 shown]
	s_waitcnt lgkmcnt(6)
	;;#ASMSTART
	v_dot2_f32_f16 v94, v1, v21, v94
	;;#ASMEND
	;;#ASMSTART
	v_dot2_f32_f16 v94, v2, v22, v94
	;;#ASMEND
	;;#ASMSTART
	v_dot2_f32_f16 v94, v3, v23, v94
	;;#ASMEND
	;;#ASMSTART
	v_dot2_f32_f16 v94, v4, v24, v94
	;;#ASMEND
	s_waitcnt lgkmcnt(5)
	;;#ASMSTART
	v_dot2_f32_f16 v89, v1, v98, v89
	;;#ASMEND
	;;#ASMSTART
	v_dot2_f32_f16 v89, v2, v99, v89
	;;#ASMEND
	;;#ASMSTART
	v_dot2_f32_f16 v89, v3, v100, v89
	;;#ASMEND
	;;#ASMSTART
	v_dot2_f32_f16 v89, v4, v101, v89
	;;#ASMEND
	;; [unrolled: 13-line block ×5, first 2 shown]
	;;#ASMSTART
	v_dot2_f32_f16 v91, v110, v98, v91
	;;#ASMEND
	;;#ASMSTART
	v_dot2_f32_f16 v91, v111, v99, v91
	;;#ASMEND
	;; [unrolled: 3-line block ×12, first 2 shown]
	s_waitcnt lgkmcnt(1)
	;;#ASMSTART
	v_dot2_f32_f16 v96, v114, v21, v96
	;;#ASMEND
	;;#ASMSTART
	v_dot2_f32_f16 v96, v115, v22, v96
	;;#ASMEND
	;; [unrolled: 3-line block ×16, first 2 shown]
	s_waitcnt lgkmcnt(0)
	;;#ASMSTART
	v_dot2_f32_f16 v97, v118, v21, v97
	;;#ASMEND
	;;#ASMSTART
	v_dot2_f32_f16 v97, v119, v22, v97
	;;#ASMEND
	;;#ASMSTART
	v_dot2_f32_f16 v97, v120, v23, v97
	;;#ASMEND
	;;#ASMSTART
	v_dot2_f32_f16 v97, v121, v24, v97
	;;#ASMEND
	;;#ASMSTART
	v_dot2_f32_f16 v93, v118, v98, v93
	;;#ASMEND
	;;#ASMSTART
	v_dot2_f32_f16 v93, v119, v99, v93
	;;#ASMEND
	;;#ASMSTART
	v_dot2_f32_f16 v93, v120, v100, v93
	;;#ASMEND
	;;#ASMSTART
	v_dot2_f32_f16 v93, v121, v101, v93
	;;#ASMEND
	;;#ASMSTART
	v_dot2_f32_f16 v90, v118, v102, v90
	;;#ASMEND
	;;#ASMSTART
	v_dot2_f32_f16 v90, v119, v103, v90
	;;#ASMEND
	;;#ASMSTART
	v_dot2_f32_f16 v90, v120, v104, v90
	;;#ASMEND
	;;#ASMSTART
	v_dot2_f32_f16 v90, v121, v105, v90
	;;#ASMEND
	;;#ASMSTART
	v_dot2_f32_f16 v85, v118, v106, v85
	;;#ASMEND
	;;#ASMSTART
	v_dot2_f32_f16 v85, v119, v107, v85
	;;#ASMEND
	;;#ASMSTART
	v_dot2_f32_f16 v85, v120, v108, v85
	;;#ASMEND
	;;#ASMSTART
	v_dot2_f32_f16 v85, v121, v109, v85
	;;#ASMEND
	ds_load_b128 v[1:4], v54 offset:32
	ds_load_b128 v[21:24], v57 offset:160
	;; [unrolled: 1-line block ×8, first 2 shown]
	s_waitcnt lgkmcnt(6)
	;;#ASMSTART
	v_dot2_f32_f16 v94, v1, v21, v94
	;;#ASMEND
	;;#ASMSTART
	v_dot2_f32_f16 v94, v2, v22, v94
	;;#ASMEND
	;;#ASMSTART
	v_dot2_f32_f16 v94, v3, v23, v94
	;;#ASMEND
	;;#ASMSTART
	v_dot2_f32_f16 v94, v4, v24, v94
	;;#ASMEND
	s_waitcnt lgkmcnt(5)
	;;#ASMSTART
	v_dot2_f32_f16 v89, v1, v98, v89
	;;#ASMEND
	;;#ASMSTART
	v_dot2_f32_f16 v89, v2, v99, v89
	;;#ASMEND
	;;#ASMSTART
	v_dot2_f32_f16 v89, v3, v100, v89
	;;#ASMEND
	;;#ASMSTART
	v_dot2_f32_f16 v89, v4, v101, v89
	;;#ASMEND
	;; [unrolled: 13-line block ×5, first 2 shown]
	;;#ASMSTART
	v_dot2_f32_f16 v91, v110, v98, v91
	;;#ASMEND
	;;#ASMSTART
	v_dot2_f32_f16 v91, v111, v99, v91
	;;#ASMEND
	;; [unrolled: 3-line block ×12, first 2 shown]
	s_waitcnt lgkmcnt(1)
	;;#ASMSTART
	v_dot2_f32_f16 v96, v114, v21, v96
	;;#ASMEND
	;;#ASMSTART
	v_dot2_f32_f16 v96, v115, v22, v96
	;;#ASMEND
	;; [unrolled: 3-line block ×16, first 2 shown]
	s_waitcnt lgkmcnt(0)
	;;#ASMSTART
	v_dot2_f32_f16 v97, v118, v21, v97
	;;#ASMEND
	;;#ASMSTART
	v_dot2_f32_f16 v97, v119, v22, v97
	;;#ASMEND
	;; [unrolled: 3-line block ×16, first 2 shown]
	ds_load_b128 v[1:4], v54 offset:48
	ds_load_b128 v[21:24], v57 offset:176
	;; [unrolled: 1-line block ×8, first 2 shown]
	s_waitcnt lgkmcnt(6)
	;;#ASMSTART
	v_dot2_f32_f16 v94, v1, v21, v94
	;;#ASMEND
	;;#ASMSTART
	v_dot2_f32_f16 v94, v2, v22, v94
	;;#ASMEND
	;;#ASMSTART
	v_dot2_f32_f16 v94, v3, v23, v94
	;;#ASMEND
	;;#ASMSTART
	v_dot2_f32_f16 v94, v4, v24, v94
	;;#ASMEND
	s_waitcnt lgkmcnt(5)
	;;#ASMSTART
	v_dot2_f32_f16 v89, v1, v98, v89
	;;#ASMEND
	;;#ASMSTART
	v_dot2_f32_f16 v89, v2, v99, v89
	;;#ASMEND
	;;#ASMSTART
	v_dot2_f32_f16 v89, v3, v100, v89
	;;#ASMEND
	;;#ASMSTART
	v_dot2_f32_f16 v89, v4, v101, v89
	;;#ASMEND
	;; [unrolled: 13-line block ×5, first 2 shown]
	;;#ASMSTART
	v_dot2_f32_f16 v91, v110, v98, v91
	;;#ASMEND
	;;#ASMSTART
	v_dot2_f32_f16 v91, v111, v99, v91
	;;#ASMEND
	;; [unrolled: 3-line block ×12, first 2 shown]
	s_waitcnt lgkmcnt(1)
	;;#ASMSTART
	v_dot2_f32_f16 v96, v114, v21, v96
	;;#ASMEND
	;;#ASMSTART
	v_dot2_f32_f16 v96, v115, v22, v96
	;;#ASMEND
	;; [unrolled: 3-line block ×16, first 2 shown]
	s_waitcnt lgkmcnt(0)
	;;#ASMSTART
	v_dot2_f32_f16 v97, v118, v21, v97
	;;#ASMEND
	;;#ASMSTART
	v_dot2_f32_f16 v97, v119, v22, v97
	;;#ASMEND
	;; [unrolled: 3-line block ×16, first 2 shown]
	ds_load_b128 v[1:4], v54 offset:64
	ds_load_b128 v[21:24], v57 offset:192
	ds_load_b128 v[98:101], v57 offset:448
	ds_load_b128 v[102:105], v57 offset:704
	ds_load_b128 v[106:109], v57 offset:960
	ds_load_b128 v[110:113], v54 offset:4672
	ds_load_b128 v[114:117], v54 offset:9280
	ds_load_b128 v[118:121], v54 offset:13888
	s_waitcnt lgkmcnt(6)
	;;#ASMSTART
	v_dot2_f32_f16 v94, v1, v21, v94
	;;#ASMEND
	;;#ASMSTART
	v_dot2_f32_f16 v94, v2, v22, v94
	;;#ASMEND
	;;#ASMSTART
	v_dot2_f32_f16 v94, v3, v23, v94
	;;#ASMEND
	;;#ASMSTART
	v_dot2_f32_f16 v94, v4, v24, v94
	;;#ASMEND
	s_waitcnt lgkmcnt(5)
	;;#ASMSTART
	v_dot2_f32_f16 v89, v1, v98, v89
	;;#ASMEND
	;;#ASMSTART
	v_dot2_f32_f16 v89, v2, v99, v89
	;;#ASMEND
	;;#ASMSTART
	v_dot2_f32_f16 v89, v3, v100, v89
	;;#ASMEND
	;;#ASMSTART
	v_dot2_f32_f16 v89, v4, v101, v89
	;;#ASMEND
	;; [unrolled: 13-line block ×5, first 2 shown]
	;;#ASMSTART
	v_dot2_f32_f16 v91, v110, v98, v91
	;;#ASMEND
	;;#ASMSTART
	v_dot2_f32_f16 v91, v111, v99, v91
	;;#ASMEND
	;; [unrolled: 3-line block ×12, first 2 shown]
	s_waitcnt lgkmcnt(1)
	;;#ASMSTART
	v_dot2_f32_f16 v96, v114, v21, v96
	;;#ASMEND
	;;#ASMSTART
	v_dot2_f32_f16 v96, v115, v22, v96
	;;#ASMEND
	;; [unrolled: 3-line block ×16, first 2 shown]
	s_waitcnt lgkmcnt(0)
	;;#ASMSTART
	v_dot2_f32_f16 v97, v118, v21, v97
	;;#ASMEND
	;;#ASMSTART
	v_dot2_f32_f16 v97, v119, v22, v97
	;;#ASMEND
	;; [unrolled: 3-line block ×16, first 2 shown]
	ds_load_b128 v[1:4], v54 offset:80
	ds_load_b128 v[21:24], v57 offset:208
	;; [unrolled: 1-line block ×8, first 2 shown]
	s_waitcnt lgkmcnt(6)
	;;#ASMSTART
	v_dot2_f32_f16 v94, v1, v21, v94
	;;#ASMEND
	;;#ASMSTART
	v_dot2_f32_f16 v94, v2, v22, v94
	;;#ASMEND
	;;#ASMSTART
	v_dot2_f32_f16 v94, v3, v23, v94
	;;#ASMEND
	;;#ASMSTART
	v_dot2_f32_f16 v94, v4, v24, v94
	;;#ASMEND
	s_waitcnt lgkmcnt(5)
	;;#ASMSTART
	v_dot2_f32_f16 v89, v1, v98, v89
	;;#ASMEND
	;;#ASMSTART
	v_dot2_f32_f16 v89, v2, v99, v89
	;;#ASMEND
	;;#ASMSTART
	v_dot2_f32_f16 v89, v3, v100, v89
	;;#ASMEND
	;;#ASMSTART
	v_dot2_f32_f16 v89, v4, v101, v89
	;;#ASMEND
	;; [unrolled: 13-line block ×5, first 2 shown]
	;;#ASMSTART
	v_dot2_f32_f16 v91, v110, v98, v91
	;;#ASMEND
	;;#ASMSTART
	v_dot2_f32_f16 v91, v111, v99, v91
	;;#ASMEND
	;; [unrolled: 3-line block ×12, first 2 shown]
	s_waitcnt lgkmcnt(1)
	;;#ASMSTART
	v_dot2_f32_f16 v96, v114, v21, v96
	;;#ASMEND
	;;#ASMSTART
	v_dot2_f32_f16 v96, v115, v22, v96
	;;#ASMEND
	;; [unrolled: 3-line block ×16, first 2 shown]
	s_waitcnt lgkmcnt(0)
	;;#ASMSTART
	v_dot2_f32_f16 v97, v118, v21, v97
	;;#ASMEND
	;;#ASMSTART
	v_dot2_f32_f16 v97, v119, v22, v97
	;;#ASMEND
	;; [unrolled: 3-line block ×16, first 2 shown]
	ds_load_b128 v[1:4], v54 offset:96
	ds_load_b128 v[21:24], v57 offset:224
	;; [unrolled: 1-line block ×8, first 2 shown]
	s_waitcnt lgkmcnt(6)
	;;#ASMSTART
	v_dot2_f32_f16 v94, v1, v21, v94
	;;#ASMEND
	;;#ASMSTART
	v_dot2_f32_f16 v94, v2, v22, v94
	;;#ASMEND
	;;#ASMSTART
	v_dot2_f32_f16 v94, v3, v23, v94
	;;#ASMEND
	;;#ASMSTART
	v_dot2_f32_f16 v94, v4, v24, v94
	;;#ASMEND
	s_waitcnt lgkmcnt(5)
	;;#ASMSTART
	v_dot2_f32_f16 v89, v1, v98, v89
	;;#ASMEND
	;;#ASMSTART
	v_dot2_f32_f16 v89, v2, v99, v89
	;;#ASMEND
	;;#ASMSTART
	v_dot2_f32_f16 v89, v3, v100, v89
	;;#ASMEND
	;;#ASMSTART
	v_dot2_f32_f16 v89, v4, v101, v89
	;;#ASMEND
	;; [unrolled: 13-line block ×5, first 2 shown]
	;;#ASMSTART
	v_dot2_f32_f16 v91, v110, v98, v91
	;;#ASMEND
	;;#ASMSTART
	v_dot2_f32_f16 v91, v111, v99, v91
	;;#ASMEND
	;; [unrolled: 3-line block ×12, first 2 shown]
	s_waitcnt lgkmcnt(1)
	;;#ASMSTART
	v_dot2_f32_f16 v96, v114, v21, v96
	;;#ASMEND
	;;#ASMSTART
	v_dot2_f32_f16 v96, v115, v22, v96
	;;#ASMEND
	;; [unrolled: 3-line block ×16, first 2 shown]
	s_waitcnt lgkmcnt(0)
	;;#ASMSTART
	v_dot2_f32_f16 v97, v118, v21, v97
	;;#ASMEND
	;;#ASMSTART
	v_dot2_f32_f16 v97, v119, v22, v97
	;;#ASMEND
	;;#ASMSTART
	v_dot2_f32_f16 v97, v120, v23, v97
	;;#ASMEND
	;;#ASMSTART
	v_dot2_f32_f16 v97, v121, v24, v97
	;;#ASMEND
	;;#ASMSTART
	v_dot2_f32_f16 v93, v118, v98, v93
	;;#ASMEND
	;;#ASMSTART
	v_dot2_f32_f16 v93, v119, v99, v93
	;;#ASMEND
	;;#ASMSTART
	v_dot2_f32_f16 v93, v120, v100, v93
	;;#ASMEND
	;;#ASMSTART
	v_dot2_f32_f16 v93, v121, v101, v93
	;;#ASMEND
	;;#ASMSTART
	v_dot2_f32_f16 v90, v118, v102, v90
	;;#ASMEND
	;;#ASMSTART
	v_dot2_f32_f16 v90, v119, v103, v90
	;;#ASMEND
	;;#ASMSTART
	v_dot2_f32_f16 v90, v120, v104, v90
	;;#ASMEND
	;;#ASMSTART
	v_dot2_f32_f16 v90, v121, v105, v90
	;;#ASMEND
	;;#ASMSTART
	v_dot2_f32_f16 v85, v118, v106, v85
	;;#ASMEND
	;;#ASMSTART
	v_dot2_f32_f16 v85, v119, v107, v85
	;;#ASMEND
	;;#ASMSTART
	v_dot2_f32_f16 v85, v120, v108, v85
	;;#ASMEND
	;;#ASMSTART
	v_dot2_f32_f16 v85, v121, v109, v85
	;;#ASMEND
	ds_load_b128 v[21:24], v54 offset:112
	ds_load_b128 v[98:101], v57 offset:240
	;; [unrolled: 1-line block ×8, first 2 shown]
	s_waitcnt lgkmcnt(6)
	;;#ASMSTART
	v_dot2_f32_f16 v94, v21, v98, v94
	;;#ASMEND
	;;#ASMSTART
	v_dot2_f32_f16 v94, v22, v99, v94
	;;#ASMEND
	;;#ASMSTART
	v_dot2_f32_f16 v94, v23, v100, v94
	;;#ASMEND
	;;#ASMSTART
	v_dot2_f32_f16 v94, v24, v101, v94
	;;#ASMEND
	s_waitcnt lgkmcnt(5)
	;;#ASMSTART
	v_dot2_f32_f16 v89, v21, v102, v89
	;;#ASMEND
	;;#ASMSTART
	v_dot2_f32_f16 v89, v22, v103, v89
	;;#ASMEND
	;;#ASMSTART
	v_dot2_f32_f16 v89, v23, v104, v89
	;;#ASMEND
	;;#ASMSTART
	v_dot2_f32_f16 v89, v24, v105, v89
	;;#ASMEND
	;; [unrolled: 13-line block ×4, first 2 shown]
	;;#ASMSTART
	v_dot2_f32_f16 v95, v114, v98, v95
	;;#ASMEND
	;;#ASMSTART
	v_dot2_f32_f16 v95, v115, v99, v95
	;;#ASMEND
	;; [unrolled: 3-line block ×16, first 2 shown]
	s_waitcnt lgkmcnt(1)
	;;#ASMSTART
	v_dot2_f32_f16 v96, v118, v98, v96
	;;#ASMEND
	;;#ASMSTART
	v_dot2_f32_f16 v96, v119, v99, v96
	;;#ASMEND
	;; [unrolled: 3-line block ×11, first 2 shown]
	v_dual_mov_b32 v4, 0 :: v_dual_add_nc_u32 v3, s12, v34
	;;#ASMSTART
	v_dot2_f32_f16 v88, v121, v109, v88
	;;#ASMEND
	;;#ASMSTART
	v_dot2_f32_f16 v84, v118, v110, v84
	;;#ASMEND
	;; [unrolled: 3-line block ×5, first 2 shown]
	s_waitcnt lgkmcnt(0)
	;;#ASMSTART
	v_dot2_f32_f16 v97, v122, v98, v97
	;;#ASMEND
	;;#ASMSTART
	v_dot2_f32_f16 v97, v123, v99, v97
	;;#ASMEND
	v_add_nc_u32_e32 v1, v3, v62
	;;#ASMSTART
	v_dot2_f32_f16 v97, v124, v100, v97
	;;#ASMEND
	;;#ASMSTART
	v_dot2_f32_f16 v97, v125, v101, v97
	;;#ASMEND
	;; [unrolled: 3-line block ×7, first 2 shown]
	v_ashrrev_i32_e32 v2, 31, v1
	;;#ASMSTART
	v_dot2_f32_f16 v90, v123, v107, v90
	;;#ASMEND
	;;#ASMSTART
	v_dot2_f32_f16 v90, v124, v108, v90
	;;#ASMEND
	;; [unrolled: 3-line block ×7, first 2 shown]
	s_cbranch_vccnz .LBB56_10
; %bb.9:                                ;   in Loop: Header=BB56_8 Depth=1
	v_lshlrev_b64 v[21:22], 1, v[1:2]
	s_delay_alu instid0(VALU_DEP_1) | instskip(NEXT) | instid1(VALU_DEP_2)
	v_add_co_u32 v21, vcc_lo, s40, v21
	v_add_co_ci_u32_e32 v22, vcc_lo, s41, v22, vcc_lo
	flat_load_u16 v4, v[21:22]
	s_waitcnt vmcnt(0) lgkmcnt(0)
	v_cvt_f32_f16_e32 v4, v4
	s_delay_alu instid0(VALU_DEP_1)
	v_mul_f32_e32 v4, v43, v4
.LBB56_10:                              ;   in Loop: Header=BB56_8 Depth=1
	v_dual_mov_b32 v22, 0 :: v_dual_mov_b32 v23, 0
	s_and_not1_b32 vcc_lo, exec_lo, s21
	s_cbranch_vccnz .LBB56_12
; %bb.11:                               ;   in Loop: Header=BB56_8 Depth=1
	v_lshlrev_b64 v[23:24], 1, v[1:2]
	s_delay_alu instid0(VALU_DEP_1) | instskip(NEXT) | instid1(VALU_DEP_2)
	v_add_co_u32 v23, vcc_lo, s27, v23
	v_add_co_ci_u32_e32 v24, vcc_lo, s43, v24, vcc_lo
	flat_load_u16 v21, v[23:24]
	s_waitcnt vmcnt(0) lgkmcnt(0)
	v_cvt_f32_f16_e32 v21, v21
	s_delay_alu instid0(VALU_DEP_1)
	v_mul_f32_e32 v23, v43, v21
.LBB56_12:                              ;   in Loop: Header=BB56_8 Depth=1
	s_and_not1_b32 vcc_lo, exec_lo, s21
	s_cbranch_vccnz .LBB56_14
; %bb.13:                               ;   in Loop: Header=BB56_8 Depth=1
	v_lshlrev_b64 v[21:22], 1, v[1:2]
	s_delay_alu instid0(VALU_DEP_1) | instskip(NEXT) | instid1(VALU_DEP_2)
	v_add_co_u32 v21, vcc_lo, s44, v21
	v_add_co_ci_u32_e32 v22, vcc_lo, s45, v22, vcc_lo
	flat_load_u16 v21, v[21:22]
	s_waitcnt vmcnt(0) lgkmcnt(0)
	v_cvt_f32_f16_e32 v21, v21
	s_delay_alu instid0(VALU_DEP_1)
	v_mul_f32_e32 v22, v43, v21
.LBB56_14:                              ;   in Loop: Header=BB56_8 Depth=1
	v_dual_mov_b32 v99, 0 :: v_dual_mov_b32 v24, 0
	s_and_not1_b32 vcc_lo, exec_lo, s21
	s_cbranch_vccnz .LBB56_16
; %bb.15:                               ;   in Loop: Header=BB56_8 Depth=1
	v_lshlrev_b64 v[1:2], 1, v[1:2]
	s_delay_alu instid0(VALU_DEP_1) | instskip(NEXT) | instid1(VALU_DEP_2)
	v_add_co_u32 v1, vcc_lo, s46, v1
	v_add_co_ci_u32_e32 v2, vcc_lo, s47, v2, vcc_lo
	flat_load_u16 v1, v[1:2]
	s_waitcnt vmcnt(0) lgkmcnt(0)
	v_cvt_f32_f16_e32 v1, v1
	s_delay_alu instid0(VALU_DEP_1)
	v_mul_f32_e32 v24, v43, v1
.LBB56_16:                              ;   in Loop: Header=BB56_8 Depth=1
	v_dual_add_f32 v21, v94, v4 :: v_dual_add_f32 v98, v95, v23
	v_xor_b32_e32 v1, 16, v73
	s_delay_alu instid0(VALU_DEP_3) | instskip(NEXT) | instid1(VALU_DEP_3)
	v_dual_add_f32 v95, v96, v22 :: v_dual_add_f32 v94, v97, v24
	v_add_f32_e32 v2, 0x40051340, v21
	v_xor_b32_e32 v24, 2, v73
	s_delay_alu instid0(VALU_DEP_4) | instskip(SKIP_4) | instid1(VALU_DEP_4)
	v_cmp_gt_i32_e32 vcc_lo, 32, v1
	v_add_f32_e32 v4, 0x40051340, v98
	v_dual_add_f32 v22, 0x40051340, v95 :: v_dual_add_f32 v23, 0x40051340, v94
	v_xor_b32_e32 v96, 1, v73
	v_cndmask_b32_e32 v1, v73, v1, vcc_lo
	v_max3_f32 v2, v80, v2, v4
	s_delay_alu instid0(VALU_DEP_2) | instskip(NEXT) | instid1(VALU_DEP_2)
	v_lshlrev_b32_e32 v4, 2, v1
	v_max3_f32 v1, v2, v22, v23
	v_xor_b32_e32 v22, 8, v73
	v_xor_b32_e32 v23, 4, v73
	ds_bpermute_b32 v2, v4, v1
	v_cmp_gt_i32_e32 vcc_lo, 32, v22
	v_cndmask_b32_e32 v22, v73, v22, vcc_lo
	v_cmp_gt_i32_e32 vcc_lo, 32, v23
	v_cndmask_b32_e32 v23, v73, v23, vcc_lo
	v_cmp_gt_i32_e32 vcc_lo, 32, v24
	s_delay_alu instid0(VALU_DEP_2) | instskip(SKIP_3) | instid1(VALU_DEP_3)
	v_dual_cndmask_b32 v24, v73, v24 :: v_dual_lshlrev_b32 v23, 2, v23
	v_cmp_gt_i32_e32 vcc_lo, 32, v96
	s_waitcnt lgkmcnt(0)
	v_max_f32_e32 v2, v2, v2
	v_lshlrev_b32_e32 v24, 2, v24
	v_cndmask_b32_e32 v96, v73, v96, vcc_lo
	s_delay_alu instid0(VALU_DEP_3) | instskip(SKIP_1) | instid1(VALU_DEP_2)
	v_max_f32_e32 v1, v1, v2
	s_and_not1_b32 vcc_lo, exec_lo, s21
	v_lshlrev_b32_e32 v97, 2, v96
	v_lshlrev_b32_e32 v22, 2, v22
	ds_bpermute_b32 v2, v22, v1
	s_waitcnt lgkmcnt(0)
	v_max_f32_e32 v2, v2, v2
	s_delay_alu instid0(VALU_DEP_1) | instskip(SKIP_3) | instid1(VALU_DEP_1)
	v_max_f32_e32 v1, v1, v2
	ds_bpermute_b32 v2, v23, v1
	s_waitcnt lgkmcnt(0)
	v_max_f32_e32 v2, v2, v2
	v_max_f32_e32 v1, v1, v2
	ds_bpermute_b32 v2, v24, v1
	s_waitcnt lgkmcnt(0)
	v_max_f32_e32 v2, v2, v2
	s_delay_alu instid0(VALU_DEP_1)
	v_dual_max_f32 v100, v1, v2 :: v_dual_add_nc_u32 v1, v3, v63
	ds_bpermute_b32 v101, v97, v100
	v_ashrrev_i32_e32 v2, 31, v1
	s_cbranch_vccnz .LBB56_18
; %bb.17:                               ;   in Loop: Header=BB56_8 Depth=1
	s_delay_alu instid0(VALU_DEP_1) | instskip(NEXT) | instid1(VALU_DEP_1)
	v_lshlrev_b64 v[102:103], 1, v[1:2]
	v_add_co_u32 v102, vcc_lo, s40, v102
	s_delay_alu instid0(VALU_DEP_2) | instskip(SKIP_3) | instid1(VALU_DEP_1)
	v_add_co_ci_u32_e32 v103, vcc_lo, s41, v103, vcc_lo
	flat_load_u16 v96, v[102:103]
	s_waitcnt vmcnt(0) lgkmcnt(0)
	v_cvt_f32_f16_e32 v96, v96
	v_mul_f32_e32 v99, v43, v96
.LBB56_18:                              ;   in Loop: Header=BB56_8 Depth=1
	v_dual_mov_b32 v103, 0 :: v_dual_mov_b32 v96, 0
	s_and_not1_b32 vcc_lo, exec_lo, s21
	s_cbranch_vccnz .LBB56_20
; %bb.19:                               ;   in Loop: Header=BB56_8 Depth=1
	v_lshlrev_b64 v[104:105], 1, v[1:2]
	s_delay_alu instid0(VALU_DEP_1) | instskip(NEXT) | instid1(VALU_DEP_2)
	v_add_co_u32 v104, vcc_lo, s27, v104
	v_add_co_ci_u32_e32 v105, vcc_lo, s43, v105, vcc_lo
	flat_load_u16 v96, v[104:105]
	s_waitcnt vmcnt(0) lgkmcnt(0)
	v_cvt_f32_f16_e32 v96, v96
	s_delay_alu instid0(VALU_DEP_1)
	v_mul_f32_e32 v96, v43, v96
.LBB56_20:                              ;   in Loop: Header=BB56_8 Depth=1
	s_and_not1_b32 vcc_lo, exec_lo, s21
	s_cbranch_vccnz .LBB56_22
; %bb.21:                               ;   in Loop: Header=BB56_8 Depth=1
	v_lshlrev_b64 v[102:103], 1, v[1:2]
	s_delay_alu instid0(VALU_DEP_1) | instskip(NEXT) | instid1(VALU_DEP_2)
	v_add_co_u32 v102, vcc_lo, s44, v102
	v_add_co_ci_u32_e32 v103, vcc_lo, s45, v103, vcc_lo
	flat_load_u16 v102, v[102:103]
	s_waitcnt vmcnt(0) lgkmcnt(0)
	v_cvt_f32_f16_e32 v102, v102
	s_delay_alu instid0(VALU_DEP_1)
	v_mul_f32_e32 v103, v43, v102
.LBB56_22:                              ;   in Loop: Header=BB56_8 Depth=1
	v_mov_b32_e32 v102, 0
	v_mov_b32_e32 v104, 0
	s_and_not1_b32 vcc_lo, exec_lo, s21
	s_cbranch_vccnz .LBB56_24
; %bb.23:                               ;   in Loop: Header=BB56_8 Depth=1
	v_lshlrev_b64 v[1:2], 1, v[1:2]
	s_delay_alu instid0(VALU_DEP_1) | instskip(NEXT) | instid1(VALU_DEP_2)
	v_add_co_u32 v1, vcc_lo, s46, v1
	v_add_co_ci_u32_e32 v2, vcc_lo, s47, v2, vcc_lo
	flat_load_u16 v1, v[1:2]
	s_waitcnt vmcnt(0) lgkmcnt(0)
	v_cvt_f32_f16_e32 v1, v1
	s_delay_alu instid0(VALU_DEP_1)
	v_mul_f32_e32 v104, v43, v1
.LBB56_24:                              ;   in Loop: Header=BB56_8 Depth=1
	v_dual_add_f32 v99, v89, v99 :: v_dual_add_f32 v96, v91, v96
	v_add_f32_e32 v89, v92, v103
	s_delay_alu instid0(VALU_DEP_3) | instskip(SKIP_1) | instid1(VALU_DEP_3)
	v_add_f32_e32 v91, v93, v104
	s_and_not1_b32 vcc_lo, exec_lo, s21
	v_dual_add_f32 v2, 0x40051340, v96 :: v_dual_add_f32 v1, 0x40051340, v99
	s_delay_alu instid0(VALU_DEP_3) | instskip(NEXT) | instid1(VALU_DEP_2)
	v_add_f32_e32 v92, 0x40051340, v89
	v_max3_f32 v1, v81, v1, v2
	v_add_f32_e32 v2, 0x40051340, v91
	s_delay_alu instid0(VALU_DEP_1) | instskip(SKIP_3) | instid1(VALU_DEP_1)
	v_max3_f32 v1, v1, v92, v2
	ds_bpermute_b32 v2, v4, v1
	s_waitcnt lgkmcnt(0)
	v_max_f32_e32 v2, v2, v2
	v_max_f32_e32 v1, v1, v2
	ds_bpermute_b32 v2, v22, v1
	s_waitcnt lgkmcnt(0)
	v_max_f32_e32 v2, v2, v2
	s_delay_alu instid0(VALU_DEP_1) | instskip(SKIP_3) | instid1(VALU_DEP_1)
	v_max_f32_e32 v1, v1, v2
	ds_bpermute_b32 v2, v23, v1
	s_waitcnt lgkmcnt(0)
	v_max_f32_e32 v2, v2, v2
	v_max_f32_e32 v1, v1, v2
	ds_bpermute_b32 v2, v24, v1
	s_waitcnt lgkmcnt(0)
	v_max_f32_e32 v2, v2, v2
	s_delay_alu instid0(VALU_DEP_1)
	v_dual_max_f32 v92, v1, v2 :: v_dual_add_nc_u32 v1, v3, v64
	ds_bpermute_b32 v103, v97, v92
	v_ashrrev_i32_e32 v2, 31, v1
	s_cbranch_vccnz .LBB56_26
; %bb.25:                               ;   in Loop: Header=BB56_8 Depth=1
	s_delay_alu instid0(VALU_DEP_1) | instskip(NEXT) | instid1(VALU_DEP_1)
	v_lshlrev_b64 v[104:105], 1, v[1:2]
	v_add_co_u32 v104, vcc_lo, s40, v104
	s_delay_alu instid0(VALU_DEP_2) | instskip(SKIP_3) | instid1(VALU_DEP_1)
	v_add_co_ci_u32_e32 v105, vcc_lo, s41, v105, vcc_lo
	flat_load_u16 v93, v[104:105]
	s_waitcnt vmcnt(0) lgkmcnt(0)
	v_cvt_f32_f16_e32 v93, v93
	v_mul_f32_e32 v102, v43, v93
.LBB56_26:                              ;   in Loop: Header=BB56_8 Depth=1
	v_dual_mov_b32 v105, 0 :: v_dual_mov_b32 v106, 0
	s_and_not1_b32 vcc_lo, exec_lo, s21
	s_cbranch_vccnz .LBB56_28
; %bb.27:                               ;   in Loop: Header=BB56_8 Depth=1
	v_lshlrev_b64 v[106:107], 1, v[1:2]
	s_delay_alu instid0(VALU_DEP_1) | instskip(NEXT) | instid1(VALU_DEP_2)
	v_add_co_u32 v106, vcc_lo, s27, v106
	v_add_co_ci_u32_e32 v107, vcc_lo, s43, v107, vcc_lo
	flat_load_u16 v93, v[106:107]
	s_waitcnt vmcnt(0) lgkmcnt(0)
	v_cvt_f32_f16_e32 v93, v93
	s_delay_alu instid0(VALU_DEP_1)
	v_mul_f32_e32 v106, v43, v93
.LBB56_28:                              ;   in Loop: Header=BB56_8 Depth=1
	s_and_not1_b32 vcc_lo, exec_lo, s21
	s_cbranch_vccnz .LBB56_30
; %bb.29:                               ;   in Loop: Header=BB56_8 Depth=1
	v_lshlrev_b64 v[104:105], 1, v[1:2]
	s_delay_alu instid0(VALU_DEP_1) | instskip(NEXT) | instid1(VALU_DEP_2)
	v_add_co_u32 v104, vcc_lo, s44, v104
	v_add_co_ci_u32_e32 v105, vcc_lo, s45, v105, vcc_lo
	flat_load_u16 v93, v[104:105]
	s_waitcnt vmcnt(0) lgkmcnt(0)
	v_cvt_f32_f16_e32 v93, v93
	s_delay_alu instid0(VALU_DEP_1)
	v_mul_f32_e32 v105, v43, v93
.LBB56_30:                              ;   in Loop: Header=BB56_8 Depth=1
	v_dual_mov_b32 v104, 0 :: v_dual_mov_b32 v107, 0
	s_and_not1_b32 vcc_lo, exec_lo, s21
	s_cbranch_vccnz .LBB56_32
; %bb.31:                               ;   in Loop: Header=BB56_8 Depth=1
	v_lshlrev_b64 v[1:2], 1, v[1:2]
	s_delay_alu instid0(VALU_DEP_1) | instskip(NEXT) | instid1(VALU_DEP_2)
	v_add_co_u32 v1, vcc_lo, s46, v1
	v_add_co_ci_u32_e32 v2, vcc_lo, s47, v2, vcc_lo
	flat_load_u16 v1, v[1:2]
	s_waitcnt vmcnt(0) lgkmcnt(0)
	v_cvt_f32_f16_e32 v1, v1
	s_delay_alu instid0(VALU_DEP_1)
	v_mul_f32_e32 v107, v43, v1
.LBB56_32:                              ;   in Loop: Header=BB56_8 Depth=1
	s_delay_alu instid0(VALU_DEP_2) | instskip(NEXT) | instid1(VALU_DEP_2)
	v_dual_add_f32 v93, v86, v102 :: v_dual_add_f32 v86, v88, v105
	v_dual_add_f32 v87, v87, v106 :: v_dual_add_f32 v90, v90, v107
	s_and_not1_b32 vcc_lo, exec_lo, s21
	s_delay_alu instid0(VALU_DEP_2) | instskip(NEXT) | instid1(VALU_DEP_2)
	v_dual_add_f32 v1, 0x40051340, v93 :: v_dual_add_f32 v88, 0x40051340, v86
	v_add_f32_e32 v2, 0x40051340, v87
	s_delay_alu instid0(VALU_DEP_1) | instskip(SKIP_1) | instid1(VALU_DEP_1)
	v_max3_f32 v1, v79, v1, v2
	v_add_f32_e32 v2, 0x40051340, v90
	v_max3_f32 v1, v1, v88, v2
	ds_bpermute_b32 v2, v4, v1
	s_waitcnt lgkmcnt(0)
	v_max_f32_e32 v2, v2, v2
	s_delay_alu instid0(VALU_DEP_1) | instskip(SKIP_3) | instid1(VALU_DEP_1)
	v_max_f32_e32 v1, v1, v2
	ds_bpermute_b32 v2, v22, v1
	s_waitcnt lgkmcnt(0)
	v_max_f32_e32 v2, v2, v2
	v_max_f32_e32 v1, v1, v2
	ds_bpermute_b32 v2, v23, v1
	s_waitcnt lgkmcnt(0)
	v_max_f32_e32 v2, v2, v2
	s_delay_alu instid0(VALU_DEP_1) | instskip(SKIP_3) | instid1(VALU_DEP_1)
	v_max_f32_e32 v1, v1, v2
	ds_bpermute_b32 v2, v24, v1
	s_waitcnt lgkmcnt(0)
	v_max_f32_e32 v2, v2, v2
	v_max_f32_e32 v88, v1, v2
	v_add_nc_u32_e32 v1, v3, v66
	ds_bpermute_b32 v102, v97, v88
	v_ashrrev_i32_e32 v2, 31, v1
	s_cbranch_vccnz .LBB56_34
; %bb.33:                               ;   in Loop: Header=BB56_8 Depth=1
	s_delay_alu instid0(VALU_DEP_1) | instskip(NEXT) | instid1(VALU_DEP_1)
	v_lshlrev_b64 v[104:105], 1, v[1:2]
	v_add_co_u32 v104, vcc_lo, s40, v104
	s_delay_alu instid0(VALU_DEP_2) | instskip(SKIP_3) | instid1(VALU_DEP_1)
	v_add_co_ci_u32_e32 v105, vcc_lo, s41, v105, vcc_lo
	flat_load_u16 v3, v[104:105]
	s_waitcnt vmcnt(0) lgkmcnt(0)
	v_cvt_f32_f16_e32 v3, v3
	v_mul_f32_e32 v104, v43, v3
.LBB56_34:                              ;   in Loop: Header=BB56_8 Depth=1
	v_mov_b32_e32 v3, 0
	v_mov_b32_e32 v105, 0
	s_and_not1_b32 vcc_lo, exec_lo, s21
	s_cbranch_vccnz .LBB56_36
; %bb.35:                               ;   in Loop: Header=BB56_8 Depth=1
	v_lshlrev_b64 v[105:106], 1, v[1:2]
	s_delay_alu instid0(VALU_DEP_1) | instskip(NEXT) | instid1(VALU_DEP_2)
	v_add_co_u32 v105, vcc_lo, s27, v105
	v_add_co_ci_u32_e32 v106, vcc_lo, s43, v106, vcc_lo
	flat_load_u16 v105, v[105:106]
	s_waitcnt vmcnt(0) lgkmcnt(0)
	v_cvt_f32_f16_e32 v105, v105
	s_delay_alu instid0(VALU_DEP_1)
	v_mul_f32_e32 v105, v43, v105
.LBB56_36:                              ;   in Loop: Header=BB56_8 Depth=1
	s_and_not1_b32 vcc_lo, exec_lo, s21
	s_cbranch_vccnz .LBB56_38
; %bb.37:                               ;   in Loop: Header=BB56_8 Depth=1
	v_lshlrev_b64 v[106:107], 1, v[1:2]
	s_delay_alu instid0(VALU_DEP_1) | instskip(NEXT) | instid1(VALU_DEP_2)
	v_add_co_u32 v106, vcc_lo, s44, v106
	v_add_co_ci_u32_e32 v107, vcc_lo, s45, v107, vcc_lo
	flat_load_u16 v3, v[106:107]
	s_waitcnt vmcnt(0) lgkmcnt(0)
	v_cvt_f32_f16_e32 v3, v3
	s_delay_alu instid0(VALU_DEP_1)
	v_mul_f32_e32 v3, v43, v3
.LBB56_38:                              ;   in Loop: Header=BB56_8 Depth=1
	s_and_not1_b32 vcc_lo, exec_lo, s21
	s_cbranch_vccnz .LBB56_40
; %bb.39:                               ;   in Loop: Header=BB56_8 Depth=1
	v_lshlrev_b64 v[1:2], 1, v[1:2]
	s_delay_alu instid0(VALU_DEP_1) | instskip(NEXT) | instid1(VALU_DEP_2)
	v_add_co_u32 v1, vcc_lo, s46, v1
	v_add_co_ci_u32_e32 v2, vcc_lo, s47, v2, vcc_lo
	flat_load_u16 v1, v[1:2]
	s_waitcnt vmcnt(0) lgkmcnt(0)
	v_cvt_f32_f16_e32 v1, v1
	s_delay_alu instid0(VALU_DEP_1)
	v_mul_f32_e32 v106, v43, v1
	s_branch .LBB56_41
.LBB56_40:                              ;   in Loop: Header=BB56_8 Depth=1
	v_mov_b32_e32 v106, 0
.LBB56_41:                              ;   in Loop: Header=BB56_8 Depth=1
	v_dual_max_f32 v1, v103, v103 :: v_dual_max_f32 v2, v92, v92
	v_dual_max_f32 v92, v101, v101 :: v_dual_add_f32 v101, v84, v3
	v_dual_max_f32 v100, v100, v100 :: v_dual_add_f32 v83, v83, v105
	v_add_f32_e32 v82, v82, v104
	s_delay_alu instid0(VALU_DEP_4) | instskip(SKIP_1) | instid1(VALU_DEP_3)
	v_max_f32_e32 v2, v2, v1
	s_waitcnt lgkmcnt(0)
	v_dual_max_f32 v1, v100, v92 :: v_dual_add_f32 v92, v85, v106
	s_delay_alu instid0(VALU_DEP_3)
	v_dual_add_f32 v3, 0x40051340, v82 :: v_dual_add_f32 v84, 0x40051340, v83
	s_barrier
	buffer_gl0_inv
	v_add_f32_e32 v85, 0x40051340, v92
	v_sub_f32_e32 v21, v21, v1
	v_max3_f32 v3, v78, v3, v84
	v_add_f32_e32 v84, 0x40051340, v101
	v_dual_sub_f32 v80, v80, v1 :: v_dual_sub_f32 v81, v81, v2
	s_delay_alu instid0(VALU_DEP_4) | instskip(SKIP_1) | instid1(VALU_DEP_4)
	v_cmp_ngt_f32_e64 s5, 0xc2ce8ed0, v21
	v_cmp_nlt_f32_e64 s6, 0x42b17218, v21
	v_max3_f32 v84, v3, v84, v85
	v_max_f32_e32 v85, v88, v88
	ds_bpermute_b32 v4, v4, v84
	s_waitcnt lgkmcnt(0)
	v_dual_max_f32 v3, v102, v102 :: v_dual_max_f32 v4, v4, v4
	s_delay_alu instid0(VALU_DEP_1) | instskip(NEXT) | instid1(VALU_DEP_2)
	v_max_f32_e32 v3, v85, v3
	v_dual_sub_f32 v91, v91, v2 :: v_dual_max_f32 v4, v84, v4
	s_delay_alu instid0(VALU_DEP_2)
	v_sub_f32_e32 v86, v86, v3
	v_sub_f32_e32 v90, v90, v3
	v_add_nc_u32_e32 v102, v67, v37
	ds_bpermute_b32 v22, v22, v4
	s_waitcnt lgkmcnt(0)
	v_max_f32_e32 v22, v22, v22
	s_delay_alu instid0(VALU_DEP_1) | instskip(SKIP_3) | instid1(VALU_DEP_1)
	v_max_f32_e32 v4, v4, v22
	ds_bpermute_b32 v22, v23, v4
	s_waitcnt lgkmcnt(0)
	v_max_f32_e32 v22, v22, v22
	v_max_f32_e32 v4, v4, v22
	ds_bpermute_b32 v22, v24, v4
	s_waitcnt lgkmcnt(0)
	v_max_f32_e32 v22, v22, v22
	s_delay_alu instid0(VALU_DEP_1) | instskip(SKIP_3) | instid1(VALU_DEP_1)
	v_max_f32_e32 v4, v4, v22
	ds_bpermute_b32 v22, v97, v4
	s_waitcnt lgkmcnt(0)
	v_max_f32_e32 v22, v22, v22
	v_max_f32_e32 v4, v4, v22
	v_sub_f32_e32 v22, v99, v2
	s_delay_alu instid0(VALU_DEP_1) | instskip(SKIP_2) | instid1(VALU_DEP_3)
	v_mul_f32_e32 v23, 0x3fb8aa3b, v22
	v_cmp_ngt_f32_e32 vcc_lo, 0xc2ce8ed0, v22
	v_cmp_nlt_f32_e64 s4, 0x42b17218, v22
	v_fma_f32 v24, 0x3fb8aa3b, v22, -v23
	s_delay_alu instid0(VALU_DEP_1) | instskip(SKIP_1) | instid1(VALU_DEP_1)
	v_fmac_f32_e32 v24, 0x32a5705f, v22
	v_mul_f32_e32 v22, 0x3fb8aa3b, v21
	v_fma_f32 v84, 0x3fb8aa3b, v21, -v22
	s_delay_alu instid0(VALU_DEP_1) | instskip(NEXT) | instid1(VALU_DEP_1)
	v_dual_fmac_f32 v84, 0x32a5705f, v21 :: v_dual_sub_f32 v21, v93, v3
	v_mul_f32_e32 v85, 0x3fb8aa3b, v21
	v_cmp_ngt_f32_e64 s7, 0xc2ce8ed0, v21
	v_cmp_nlt_f32_e64 s8, 0x42b17218, v21
	s_delay_alu instid0(VALU_DEP_3) | instskip(NEXT) | instid1(VALU_DEP_1)
	v_fma_f32 v88, 0x3fb8aa3b, v21, -v85
	v_fmac_f32_e32 v88, 0x32a5705f, v21
	v_rndne_f32_e32 v21, v23
	s_delay_alu instid0(VALU_DEP_1) | instskip(SKIP_1) | instid1(VALU_DEP_2)
	v_sub_f32_e32 v23, v23, v21
	v_cvt_i32_f32_e32 v21, v21
	v_add_f32_e32 v23, v23, v24
	v_rndne_f32_e32 v24, v22
	s_delay_alu instid0(VALU_DEP_2) | instskip(SKIP_3) | instid1(VALU_DEP_2)
	v_exp_f32_e32 v23, v23
	s_waitcnt_depctr 0xfff
	v_ldexp_f32 v21, v23, v21
	v_cvt_i32_f32_e32 v23, v24
	v_cndmask_b32_e32 v21, 0, v21, vcc_lo
	v_sub_f32_e32 v83, v83, v4
	v_sub_f32_e32 v22, v22, v24
	;; [unrolled: 1-line block ×3, first 2 shown]
	s_delay_alu instid0(VALU_DEP_2) | instskip(SKIP_1) | instid1(VALU_DEP_2)
	v_add_f32_e32 v22, v22, v84
	v_rndne_f32_e32 v84, v85
	v_exp_f32_e32 v22, v22
	s_delay_alu instid0(VALU_DEP_1) | instskip(SKIP_1) | instid1(VALU_DEP_2)
	v_sub_f32_e32 v85, v85, v84
	v_cvt_i32_f32_e32 v84, v84
	v_add_f32_e32 v85, v85, v88
	s_waitcnt_depctr 0xfff
	v_ldexp_f32 v22, v22, v23
	v_sub_f32_e32 v23, v82, v4
	s_delay_alu instid0(VALU_DEP_2) | instskip(NEXT) | instid1(VALU_DEP_2)
	v_cndmask_b32_e64 v22, 0, v22, s5
	v_mul_f32_e32 v24, 0x3fb8aa3b, v23
	v_cmp_ngt_f32_e64 s9, 0xc2ce8ed0, v23
	v_cmp_nlt_f32_e64 s10, 0x42b17218, v23
	s_delay_alu instid0(VALU_DEP_3) | instskip(SKIP_1) | instid1(VALU_DEP_2)
	v_fma_f32 v82, 0x3fb8aa3b, v23, -v24
	v_rndne_f32_e32 v88, v24
	v_fmac_f32_e32 v82, 0x32a5705f, v23
	s_delay_alu instid0(VALU_DEP_2) | instskip(NEXT) | instid1(VALU_DEP_1)
	v_sub_f32_e32 v24, v24, v88
	v_add_f32_e32 v24, v24, v82
	v_exp_f32_e32 v82, v85
	s_delay_alu instid0(VALU_DEP_1) | instskip(SKIP_4) | instid1(VALU_DEP_2)
	v_exp_f32_e32 v23, v24
	v_cvt_i32_f32_e32 v24, v88
	s_waitcnt_depctr 0xfff
	v_ldexp_f32 v82, v82, v84
	v_ldexp_f32 v23, v23, v24
	v_cndmask_b32_e64 v82, 0, v82, s7
	v_cndmask_b32_e64 v24, 0x7f800000, v22, s6
	s_delay_alu instid0(VALU_DEP_3) | instskip(SKIP_1) | instid1(VALU_DEP_4)
	v_cndmask_b32_e64 v84, 0, v23, s9
	v_cndmask_b32_e64 v23, 0x7f800000, v21, s4
	;; [unrolled: 1-line block ×3, first 2 shown]
	s_delay_alu instid0(VALU_DEP_3) | instskip(NEXT) | instid1(VALU_DEP_3)
	v_cndmask_b32_e64 v21, 0x7f800000, v84, s10
	v_cvt_f16_f32_e32 v82, v23
	v_cvt_f16_f32_e32 v84, v24
	s_delay_alu instid0(VALU_DEP_1) | instskip(SKIP_2) | instid1(VALU_DEP_1)
	v_pack_b32_f16 v99, v84, v82
	v_cvt_f16_f32_e32 v82, v22
	v_cvt_f16_f32_e32 v84, v21
	v_pack_b32_f16 v100, v82, v84
	v_sub_f32_e32 v82, v98, v1
	s_delay_alu instid0(VALU_DEP_1) | instskip(SKIP_2) | instid1(VALU_DEP_3)
	v_mul_f32_e32 v84, 0x3fb8aa3b, v82
	v_cmp_ngt_f32_e32 vcc_lo, 0xc2ce8ed0, v82
	v_cmp_nlt_f32_e64 s4, 0x42b17218, v82
	v_fma_f32 v85, 0x3fb8aa3b, v82, -v84
	s_delay_alu instid0(VALU_DEP_1) | instskip(SKIP_1) | instid1(VALU_DEP_1)
	v_fmac_f32_e32 v85, 0x32a5705f, v82
	v_sub_f32_e32 v82, v96, v2
	v_mul_f32_e32 v88, 0x3fb8aa3b, v82
	v_cmp_ngt_f32_e64 s5, 0xc2ce8ed0, v82
	v_cmp_nlt_f32_e64 s6, 0x42b17218, v82
	s_delay_alu instid0(VALU_DEP_3) | instskip(NEXT) | instid1(VALU_DEP_1)
	v_fma_f32 v93, 0x3fb8aa3b, v82, -v88
	v_dual_fmac_f32 v93, 0x32a5705f, v82 :: v_dual_sub_f32 v82, v87, v3
	s_delay_alu instid0(VALU_DEP_1) | instskip(SKIP_2) | instid1(VALU_DEP_3)
	v_mul_f32_e32 v87, 0x3fb8aa3b, v82
	v_cmp_ngt_f32_e64 s7, 0xc2ce8ed0, v82
	v_cmp_nlt_f32_e64 s8, 0x42b17218, v82
	v_fma_f32 v96, 0x3fb8aa3b, v82, -v87
	s_delay_alu instid0(VALU_DEP_1) | instskip(SKIP_1) | instid1(VALU_DEP_1)
	v_fmac_f32_e32 v96, 0x32a5705f, v82
	v_rndne_f32_e32 v82, v84
	v_sub_f32_e32 v84, v84, v82
	v_cvt_i32_f32_e32 v82, v82
	s_delay_alu instid0(VALU_DEP_2) | instskip(SKIP_1) | instid1(VALU_DEP_2)
	v_add_f32_e32 v84, v84, v85
	v_rndne_f32_e32 v85, v88
	v_exp_f32_e32 v84, v84
	s_delay_alu instid0(VALU_DEP_1) | instskip(SKIP_1) | instid1(VALU_DEP_2)
	v_sub_f32_e32 v88, v88, v85
	v_cvt_i32_f32_e32 v85, v85
	v_add_f32_e32 v88, v88, v93
	v_rndne_f32_e32 v93, v87
	s_waitcnt_depctr 0xfff
	v_ldexp_f32 v82, v84, v82
	v_exp_f32_e32 v84, v88
	s_delay_alu instid0(VALU_DEP_1) | instskip(SKIP_1) | instid1(VALU_DEP_2)
	v_dual_sub_f32 v87, v87, v93 :: v_dual_cndmask_b32 v82, 0, v82
	v_cmp_ngt_f32_e64 s9, 0xc2ce8ed0, v83
	v_add_f32_e32 v87, v87, v96
	v_cmp_nlt_f32_e64 s10, 0x42b17218, v83
	s_waitcnt_depctr 0xfff
	v_ldexp_f32 v84, v84, v85
	v_mul_f32_e32 v85, 0x3fb8aa3b, v83
	v_exp_f32_e32 v87, v87
	s_delay_alu instid0(VALU_DEP_2) | instskip(NEXT) | instid1(VALU_DEP_2)
	v_cndmask_b32_e64 v84, 0, v84, s5
	v_fma_f32 v88, 0x3fb8aa3b, v83, -v85
	v_rndne_f32_e32 v96, v85
	s_delay_alu instid0(VALU_DEP_3) | instskip(NEXT) | instid1(VALU_DEP_2)
	v_cndmask_b32_e64 v84, 0x7f800000, v84, s6
	v_dual_fmac_f32 v88, 0x32a5705f, v83 :: v_dual_sub_f32 v85, v85, v96
	s_delay_alu instid0(VALU_DEP_2) | instskip(NEXT) | instid1(VALU_DEP_2)
	v_add_f32_e32 v23, v23, v84
	v_add_f32_e32 v85, v85, v88
	v_cvt_i32_f32_e32 v88, v93
	s_delay_alu instid0(VALU_DEP_2) | instskip(SKIP_1) | instid1(VALU_DEP_2)
	v_exp_f32_e32 v83, v85
	v_cvt_i32_f32_e32 v85, v96
	v_ldexp_f32 v87, v87, v88
	s_delay_alu instid0(VALU_DEP_1) | instskip(SKIP_4) | instid1(VALU_DEP_2)
	v_cndmask_b32_e64 v87, 0, v87, s7
	v_cmp_ngt_f32_e64 s7, 0xc2ce8ed0, v86
	s_waitcnt_depctr 0xfff
	v_ldexp_f32 v83, v83, v85
	v_cndmask_b32_e64 v85, 0x7f800000, v82, s4
	v_cndmask_b32_e64 v88, 0, v83, s9
	;; [unrolled: 1-line block ×3, first 2 shown]
	s_delay_alu instid0(VALU_DEP_3)
	v_cvt_f16_f32_e32 v87, v85
	v_cmp_nlt_f32_e64 s8, 0x42b17218, v86
	v_add_f32_e32 v24, v24, v85
	v_cndmask_b32_e64 v82, 0x7f800000, v88, s10
	v_cvt_f16_f32_e32 v88, v84
	v_add_f32_e32 v22, v22, v83
	s_delay_alu instid0(VALU_DEP_3) | instskip(NEXT) | instid1(VALU_DEP_3)
	v_cvt_f16_f32_e32 v93, v82
	v_pack_b32_f16 v87, v87, v88
	v_cvt_f16_f32_e32 v88, v83
	v_add_f32_e32 v21, v21, v82
	s_delay_alu instid0(VALU_DEP_2) | instskip(SKIP_2) | instid1(VALU_DEP_1)
	v_pack_b32_f16 v88, v88, v93
	ds_store_2addr_b64 v102, v[99:100], v[87:88] offset1:32
	v_sub_f32_e32 v87, v95, v1
	v_mul_f32_e32 v88, 0x3fb8aa3b, v87
	v_cmp_ngt_f32_e32 vcc_lo, 0xc2ce8ed0, v87
	v_cmp_nlt_f32_e64 s4, 0x42b17218, v87
	s_delay_alu instid0(VALU_DEP_3) | instskip(NEXT) | instid1(VALU_DEP_1)
	v_fma_f32 v93, 0x3fb8aa3b, v87, -v88
	v_fmac_f32_e32 v93, 0x32a5705f, v87
	v_sub_f32_e32 v87, v89, v2
	s_delay_alu instid0(VALU_DEP_1) | instskip(SKIP_2) | instid1(VALU_DEP_3)
	v_mul_f32_e32 v89, 0x3fb8aa3b, v87
	v_cmp_ngt_f32_e64 s5, 0xc2ce8ed0, v87
	v_cmp_nlt_f32_e64 s6, 0x42b17218, v87
	v_fma_f32 v95, 0x3fb8aa3b, v87, -v89
	s_delay_alu instid0(VALU_DEP_1) | instskip(SKIP_1) | instid1(VALU_DEP_1)
	v_fmac_f32_e32 v95, 0x32a5705f, v87
	v_mul_f32_e32 v87, 0x3fb8aa3b, v86
	v_fma_f32 v96, 0x3fb8aa3b, v86, -v87
	s_delay_alu instid0(VALU_DEP_1) | instskip(SKIP_1) | instid1(VALU_DEP_1)
	v_fmac_f32_e32 v96, 0x32a5705f, v86
	v_rndne_f32_e32 v86, v88
	v_sub_f32_e32 v88, v88, v86
	v_cvt_i32_f32_e32 v86, v86
	s_delay_alu instid0(VALU_DEP_2) | instskip(SKIP_1) | instid1(VALU_DEP_2)
	v_add_f32_e32 v88, v88, v93
	v_rndne_f32_e32 v93, v89
	v_exp_f32_e32 v88, v88
	s_delay_alu instid0(VALU_DEP_1) | instskip(NEXT) | instid1(VALU_DEP_1)
	v_sub_f32_e32 v89, v89, v93
	v_add_f32_e32 v89, v89, v95
	v_rndne_f32_e32 v95, v87
	s_waitcnt_depctr 0xfff
	v_ldexp_f32 v86, v88, v86
	v_exp_f32_e32 v88, v89
	v_cvt_i32_f32_e32 v89, v93
	v_sub_f32_e32 v87, v87, v95
	v_cvt_i32_f32_e32 v95, v95
	s_delay_alu instid0(VALU_DEP_2) | instskip(SKIP_4) | instid1(VALU_DEP_2)
	v_dual_cndmask_b32 v86, 0, v86 :: v_dual_add_f32 v87, v87, v96
	s_waitcnt_depctr 0xfff
	v_ldexp_f32 v88, v88, v89
	v_sub_f32_e32 v89, v101, v4
	v_exp_f32_e32 v87, v87
	v_cndmask_b32_e64 v88, 0, v88, s5
	s_delay_alu instid0(VALU_DEP_2)
	v_mul_f32_e32 v93, 0x3fb8aa3b, v89
	v_cmp_ngt_f32_e64 s9, 0xc2ce8ed0, v89
	v_cmp_nlt_f32_e64 s10, 0x42b17218, v89
	v_cmp_ngt_f32_e64 s5, 0xc2ce8ed0, v91
	v_cndmask_b32_e64 v88, 0x7f800000, v88, s6
	v_fma_f32 v96, 0x3fb8aa3b, v89, -v93
	v_rndne_f32_e32 v97, v93
	s_delay_alu instid0(TRANS32_DEP_1)
	v_ldexp_f32 v87, v87, v95
	v_cmp_nlt_f32_e64 s6, 0x42b17218, v91
	v_cvt_f16_f32_e32 v95, v88
	v_fmac_f32_e32 v96, 0x32a5705f, v89
	v_sub_f32_e32 v93, v93, v97
	v_cndmask_b32_e64 v87, 0, v87, s7
	v_cmp_ngt_f32_e64 s7, 0xc2ce8ed0, v90
	s_delay_alu instid0(VALU_DEP_3) | instskip(NEXT) | instid1(VALU_DEP_3)
	v_add_f32_e32 v93, v93, v96
	v_cndmask_b32_e64 v87, 0x7f800000, v87, s8
	v_cmp_nlt_f32_e64 s8, 0x42b17218, v90
	s_delay_alu instid0(VALU_DEP_3) | instskip(SKIP_1) | instid1(VALU_DEP_3)
	v_exp_f32_e32 v89, v93
	v_cvt_i32_f32_e32 v93, v97
	v_add_f32_e32 v22, v87, v22
	s_waitcnt_depctr 0xfff
	v_ldexp_f32 v89, v89, v93
	s_delay_alu instid0(VALU_DEP_1) | instskip(SKIP_1) | instid1(VALU_DEP_2)
	v_cndmask_b32_e64 v93, 0, v89, s9
	v_cndmask_b32_e64 v89, 0x7f800000, v86, s4
	;; [unrolled: 1-line block ×3, first 2 shown]
	s_delay_alu instid0(VALU_DEP_2) | instskip(SKIP_1) | instid1(VALU_DEP_3)
	v_cvt_f16_f32_e32 v93, v89
	v_add_f32_e32 v24, v89, v24
	v_cvt_f16_f32_e32 v96, v86
	s_delay_alu instid0(VALU_DEP_3) | instskip(SKIP_2) | instid1(VALU_DEP_2)
	v_pack_b32_f16 v95, v93, v95
	v_cvt_f16_f32_e32 v93, v87
	v_add_f32_e32 v21, v86, v21
	v_pack_b32_f16 v96, v93, v96
	v_sub_f32_e32 v93, v94, v1
	s_delay_alu instid0(VALU_DEP_1) | instskip(SKIP_2) | instid1(VALU_DEP_3)
	v_mul_f32_e32 v94, 0x3fb8aa3b, v93
	v_cmp_ngt_f32_e32 vcc_lo, 0xc2ce8ed0, v93
	v_cmp_nlt_f32_e64 s4, 0x42b17218, v93
	v_fma_f32 v97, 0x3fb8aa3b, v93, -v94
	v_rndne_f32_e32 v98, v94
	s_delay_alu instid0(VALU_DEP_1) | instskip(SKIP_1) | instid1(VALU_DEP_2)
	v_dual_fmac_f32 v97, 0x32a5705f, v93 :: v_dual_sub_f32 v94, v94, v98
	v_cvt_i32_f32_e32 v98, v98
	v_dual_add_f32 v94, v94, v97 :: v_dual_mul_f32 v97, 0x3fb8aa3b, v91
	s_delay_alu instid0(VALU_DEP_1) | instskip(SKIP_1) | instid1(VALU_DEP_2)
	v_fma_f32 v99, 0x3fb8aa3b, v91, -v97
	v_rndne_f32_e32 v100, v97
	v_fmac_f32_e32 v99, 0x32a5705f, v91
	s_delay_alu instid0(VALU_DEP_2) | instskip(SKIP_1) | instid1(VALU_DEP_2)
	v_sub_f32_e32 v97, v97, v100
	v_mul_f32_e32 v91, 0x3fb8aa3b, v90
	v_add_f32_e32 v97, v97, v99
	s_delay_alu instid0(VALU_DEP_1) | instskip(SKIP_4) | instid1(VALU_DEP_1)
	v_exp_f32_e32 v93, v97
	v_cvt_i32_f32_e32 v97, v100
	s_waitcnt_depctr 0xfff
	v_ldexp_f32 v93, v93, v97
	v_fma_f32 v97, 0x3fb8aa3b, v90, -v91
	v_fmac_f32_e32 v97, 0x32a5705f, v90
	v_exp_f32_e32 v94, v94
	s_waitcnt_depctr 0xfff
	v_ldexp_f32 v94, v94, v98
	v_rndne_f32_e32 v98, v91
	s_delay_alu instid0(VALU_DEP_1) | instskip(SKIP_1) | instid1(VALU_DEP_2)
	v_sub_f32_e32 v91, v91, v98
	v_cvt_i32_f32_e32 v98, v98
	v_add_f32_e32 v91, v91, v97
	v_mul_f32_e32 v97, 0x3fb8aa3b, v92
	s_delay_alu instid0(VALU_DEP_2) | instskip(NEXT) | instid1(VALU_DEP_1)
	v_exp_f32_e32 v91, v91
	v_fma_f32 v99, 0x3fb8aa3b, v92, -v97
	v_rndne_f32_e32 v100, v97
	s_delay_alu instid0(VALU_DEP_2) | instskip(NEXT) | instid1(VALU_DEP_2)
	v_fmac_f32_e32 v99, 0x32a5705f, v92
	v_sub_f32_e32 v97, v97, v100
	s_waitcnt_depctr 0xfff
	v_ldexp_f32 v91, v91, v98
	v_add_f32_e32 v97, v97, v99
	v_cmp_ngt_f32_e64 s9, 0xc2ce8ed0, v92
	v_cmp_nlt_f32_e64 s10, 0x42b17218, v92
	s_delay_alu instid0(VALU_DEP_4)
	v_cndmask_b32_e64 v91, 0, v91, s7
	v_cndmask_b32_e32 v92, 0, v94, vcc_lo
	v_exp_f32_e32 v90, v97
	v_cvt_i32_f32_e32 v97, v100
	v_cndmask_b32_e64 v94, 0, v93, s5
	v_cndmask_b32_e64 v91, 0x7f800000, v91, s8
	;; [unrolled: 1-line block ×3, first 2 shown]
	s_mul_hi_i32 s5, s12, s13
	s_mul_i32 s4, s12, s13
	v_cndmask_b32_e64 v92, 0x7f800000, v94, s6
	v_cvt_f16_f32_e32 v94, v91
	s_lshl_b64 s[4:5], s[4:5], 2
	v_ldexp_f32 v90, v90, v97
	s_add_u32 s4, s15, s4
	s_addc_u32 s5, s18, s5
	v_dual_add_f32 v24, v93, v24 :: v_dual_add_f32 v23, v88, v23
	v_add_f32_e32 v22, v91, v22
	v_cndmask_b32_e64 v90, 0, v90, s9
	s_delay_alu instid0(VALU_DEP_1) | instskip(NEXT) | instid1(VALU_DEP_1)
	v_cndmask_b32_e64 v90, 0x7f800000, v90, s10
	v_cvt_f16_f32_e32 v97, v90
	v_add_f32_e32 v21, v90, v21
	s_delay_alu instid0(VALU_DEP_2) | instskip(SKIP_2) | instid1(VALU_DEP_1)
	v_pack_b32_f16 v98, v94, v97
	v_cvt_f16_f32_e32 v94, v93
	v_cvt_f16_f32_e32 v97, v92
	v_pack_b32_f16 v97, v94, v97
	v_add_co_u32 v94, vcc_lo, s4, v13
	ds_store_2addr_b64 v102, v[95:96], v[97:98] offset0:64 offset1:96
	v_add_co_ci_u32_e32 v95, vcc_lo, s5, v14, vcc_lo
	v_add_co_u32 v94, vcc_lo, v94, v72
	s_delay_alu instid0(VALU_DEP_2)
	v_add_co_ci_u32_e32 v95, vcc_lo, 0, v95, vcc_lo
	global_load_b128 v[94:97], v[94:95], off
	s_waitcnt vmcnt(0)
	ds_store_b128 v65, v[94:97]
	v_add_co_u32 v94, vcc_lo, s4, v15
	v_add_co_ci_u32_e32 v95, vcc_lo, s5, v16, vcc_lo
	s_delay_alu instid0(VALU_DEP_2) | instskip(NEXT) | instid1(VALU_DEP_2)
	v_add_co_u32 v94, vcc_lo, v94, v72
	v_add_co_ci_u32_e32 v95, vcc_lo, 0, v95, vcc_lo
	global_load_b128 v[94:97], v[94:95], off
	s_waitcnt vmcnt(0)
	ds_store_b128 v68, v[94:97]
	v_add_co_u32 v94, vcc_lo, s4, v17
	v_add_co_ci_u32_e32 v95, vcc_lo, s5, v18, vcc_lo
	s_delay_alu instid0(VALU_DEP_2) | instskip(NEXT) | instid1(VALU_DEP_2)
	v_add_co_u32 v94, vcc_lo, v94, v72
	v_add_co_ci_u32_e32 v95, vcc_lo, 0, v95, vcc_lo
	global_load_b128 v[94:97], v[94:95], off
	s_waitcnt vmcnt(0)
	ds_store_b128 v69, v[94:97]
	v_add_co_u32 v94, vcc_lo, s4, v19
	v_add_co_ci_u32_e32 v95, vcc_lo, s5, v20, vcc_lo
	v_cmp_nlt_f32_e64 s4, 0x42b17218, v80
	s_delay_alu instid0(VALU_DEP_3) | instskip(NEXT) | instid1(VALU_DEP_3)
	v_add_co_u32 v94, vcc_lo, v94, v72
	v_add_co_ci_u32_e32 v95, vcc_lo, 0, v95, vcc_lo
	v_cmp_ngt_f32_e32 vcc_lo, 0xc2ce8ed0, v80
	global_load_b128 v[94:97], v[94:95], off
	s_waitcnt vmcnt(0)
	ds_store_b128 v70, v[94:97]
	v_mul_f32_e32 v94, 0x3fb8aa3b, v80
	s_waitcnt lgkmcnt(0)
	s_barrier
	buffer_gl0_inv
	v_fma_f32 v95, 0x3fb8aa3b, v80, -v94
	v_rndne_f32_e32 v96, v94
	s_delay_alu instid0(VALU_DEP_2) | instskip(NEXT) | instid1(VALU_DEP_2)
	v_fmac_f32_e32 v95, 0x32a5705f, v80
	v_sub_f32_e32 v94, v94, v96
	v_mul_f32_e32 v80, 0x3fb8aa3b, v81
	s_delay_alu instid0(VALU_DEP_2) | instskip(SKIP_1) | instid1(VALU_DEP_3)
	v_add_f32_e32 v94, v94, v95
	v_cvt_i32_f32_e32 v95, v96
	v_rndne_f32_e32 v102, v80
	s_delay_alu instid0(VALU_DEP_3)
	v_exp_f32_e32 v94, v94
	s_waitcnt_depctr 0xfff
	v_ldexp_f32 v94, v94, v95
	v_fma_f32 v95, 0x3fb8aa3b, v81, -v80
	v_sub_f32_e32 v80, v80, v102
	v_cvt_i32_f32_e32 v102, v102
	s_delay_alu instid0(VALU_DEP_3) | instskip(NEXT) | instid1(VALU_DEP_1)
	v_fmac_f32_e32 v95, 0x32a5705f, v81
	v_dual_add_f32 v103, v80, v95 :: v_dual_cndmask_b32 v80, 0, v94
	ds_load_2addr_b64 v[94:97], v37 offset1:32
	ds_load_b128 v[98:101], v67
	v_cmp_ngt_f32_e32 vcc_lo, 0xc2ce8ed0, v81
	v_exp_f32_e32 v103, v103
	v_cndmask_b32_e64 v80, 0x7f800000, v80, s4
	v_cmp_nlt_f32_e64 s4, 0x42b17218, v81
	v_sub_f32_e32 v81, v79, v3
	s_delay_alu instid0(VALU_DEP_3) | instskip(NEXT) | instid1(VALU_DEP_2)
	v_cvt_f16_f32_e32 v104, v80
	v_dual_fmac_f32 v24, v77, v80 :: v_dual_mul_f32 v79, 0x3fb8aa3b, v81
	s_waitcnt_depctr 0xfff
	v_ldexp_f32 v102, v103, v102
	v_pk_mul_f16 v49, v104, v49 op_sel_hi:[0,1]
	v_fma_f32 v103, 0x3fb8aa3b, v81, -v79
	s_waitcnt lgkmcnt(0)
	v_pk_mul_f16 v105, v94, v98 op_sel_hi:[1,0]
	s_delay_alu instid0(VALU_DEP_2) | instskip(SKIP_1) | instid1(VALU_DEP_3)
	v_fmac_f32_e32 v103, 0x32a5705f, v81
	v_pk_fma_f16 v49, v95, v98, v49 op_sel_hi:[1,0,1]
	v_pk_fma_f16 v48, v104, v48, v105 op_sel_hi:[0,1,1]
	v_rndne_f32_e32 v104, v79
	v_pk_mul_f16 v105, v94, v98 op_sel:[0,1]
	s_delay_alu instid0(VALU_DEP_4) | instskip(NEXT) | instid1(VALU_DEP_4)
	v_pk_fma_f16 v49, v97, v100, v49 op_sel_hi:[1,0,1]
	v_pk_fma_f16 v48, v96, v100, v48 op_sel_hi:[1,0,1]
	s_delay_alu instid0(VALU_DEP_4) | instskip(NEXT) | instid1(VALU_DEP_1)
	v_sub_f32_e32 v79, v79, v104
	v_add_f32_e32 v103, v79, v103
	v_cndmask_b32_e32 v79, 0, v102, vcc_lo
	v_cmp_ngt_f32_e32 vcc_lo, 0xc2ce8ed0, v81
	s_delay_alu instid0(VALU_DEP_2) | instskip(SKIP_2) | instid1(VALU_DEP_3)
	v_cndmask_b32_e64 v79, 0x7f800000, v79, s4
	v_cmp_nlt_f32_e64 s4, 0x42b17218, v81
	v_sub_f32_e32 v81, v78, v4
	v_cvt_f16_f32_e32 v102, v79
	s_delay_alu instid0(VALU_DEP_2) | instskip(NEXT) | instid1(VALU_DEP_2)
	v_mul_f32_e32 v78, 0x3fb8aa3b, v81
	v_pk_fma_f16 v46, v102, v46, v105 op_sel_hi:[0,1,1]
	v_pk_mul_f16 v47, v102, v47 op_sel_hi:[0,1]
	v_exp_f32_e32 v102, v103
	v_cvt_i32_f32_e32 v103, v104
	v_rndne_f32_e32 v104, v78
	v_pk_mul_f16 v105, v94, v99 op_sel_hi:[1,0]
	v_pk_fma_f16 v47, v95, v98, v47 op_sel:[0,1,0]
	v_pk_fma_f16 v98, v96, v100, v46 op_sel:[0,1,0]
	s_delay_alu instid0(VALU_DEP_2) | instskip(NEXT) | instid1(TRANS32_DEP_1)
	v_pk_fma_f16 v100, v97, v100, v47 op_sel:[0,1,0]
	v_ldexp_f32 v102, v102, v103
	v_fma_f32 v103, 0x3fb8aa3b, v81, -v78
	s_delay_alu instid0(VALU_DEP_1) | instskip(NEXT) | instid1(VALU_DEP_1)
	v_dual_sub_f32 v78, v78, v104 :: v_dual_fmac_f32 v103, 0x32a5705f, v81
	v_dual_add_f32 v103, v78, v103 :: v_dual_cndmask_b32 v78, 0, v102
	v_cmp_ngt_f32_e32 vcc_lo, 0xc2ce8ed0, v81
	s_delay_alu instid0(VALU_DEP_2) | instskip(SKIP_1) | instid1(VALU_DEP_2)
	v_cndmask_b32_e64 v78, 0x7f800000, v78, s4
	v_cmp_nlt_f32_e64 s4, 0x42b17218, v81
	v_dual_add_f32 v23, v92, v23 :: v_dual_fmac_f32 v22, v75, v78
	v_cvt_f16_f32_e32 v102, v78
	s_delay_alu instid0(VALU_DEP_2) | instskip(NEXT) | instid1(VALU_DEP_2)
	v_fmac_f32_e32 v23, v76, v79
	v_pk_fma_f16 v44, v102, v44, v105 op_sel_hi:[0,1,1]
	v_pk_mul_f16 v45, v102, v45 op_sel_hi:[0,1]
	v_exp_f32_e32 v102, v103
	v_cvt_i32_f32_e32 v103, v104
	s_delay_alu instid0(VALU_DEP_2) | instskip(SKIP_2) | instid1(VALU_DEP_1)
	v_pk_fma_f16 v45, v95, v99, v45 op_sel_hi:[1,0,1]
	s_waitcnt_depctr 0xfff
	v_ldexp_f32 v102, v102, v103
	v_cndmask_b32_e32 v81, 0, v102, vcc_lo
	s_delay_alu instid0(VALU_DEP_1) | instskip(SKIP_1) | instid1(SALU_CYCLE_1)
	v_cndmask_b32_e64 v81, 0x7f800000, v81, s4
	s_or_b32 s4, s12, 64
	s_mul_hi_i32 s5, s4, s13
	s_mul_i32 s4, s4, s13
	s_delay_alu instid0(VALU_DEP_1)
	v_cvt_f16_f32_e32 v102, v81
	s_lshl_b64 s[4:5], s[4:5], 2
	v_fmac_f32_e32 v21, v74, v81
	s_add_u32 s4, s15, s4
	s_addc_u32 s5, s18, s5
	v_pk_mul_f16 v42, v102, v42 op_sel_hi:[0,1]
	v_pk_mul_f16 v41, v102, v41 op_sel_hi:[0,1]
	v_pk_fma_f16 v102, v97, v101, v45 op_sel_hi:[1,0,1]
	s_delay_alu instid0(VALU_DEP_3) | instskip(NEXT) | instid1(VALU_DEP_3)
	v_pk_fma_f16 v42, v94, v99, v42 op_sel:[0,1,0]
	v_pk_fma_f16 v41, v95, v99, v41 op_sel:[0,1,0]
	v_pk_fma_f16 v99, v96, v101, v44 op_sel_hi:[1,0,1]
	s_delay_alu instid0(VALU_DEP_3) | instskip(NEXT) | instid1(VALU_DEP_3)
	v_pk_fma_f16 v42, v96, v101, v42 op_sel:[0,1,0]
	v_pk_fma_f16 v41, v97, v101, v41 op_sel:[0,1,0]
	ds_load_b128 v[44:47], v67 offset:16
	ds_load_2addr_b64 v[94:97], v37 offset0:64 offset1:96
	s_waitcnt lgkmcnt(0)
	v_pk_fma_f16 v48, v94, v44, v48 op_sel_hi:[1,0,1]
	v_pk_fma_f16 v98, v94, v44, v98 op_sel:[0,1,0]
	v_pk_fma_f16 v99, v94, v45, v99 op_sel_hi:[1,0,1]
	v_pk_fma_f16 v42, v94, v45, v42 op_sel:[0,1,0]
	;; [unrolled: 2-line block ×8, first 2 shown]
	ds_load_b128 v[44:47], v67 offset:32
	ds_load_2addr_b64 v[94:97], v37 offset0:128 offset1:160
	s_waitcnt lgkmcnt(0)
	v_pk_fma_f16 v48, v94, v44, v48 op_sel_hi:[1,0,1]
	v_pk_fma_f16 v98, v94, v44, v98 op_sel:[0,1,0]
	v_pk_fma_f16 v99, v94, v45, v99 op_sel_hi:[1,0,1]
	v_pk_fma_f16 v42, v94, v45, v42 op_sel:[0,1,0]
	;; [unrolled: 2-line block ×8, first 2 shown]
	ds_load_b128 v[44:47], v67 offset:48
	ds_load_2addr_b64 v[94:97], v37 offset0:192 offset1:224
	s_waitcnt lgkmcnt(0)
	v_pk_fma_f16 v48, v94, v44, v48 op_sel_hi:[1,0,1]
	v_pk_fma_f16 v98, v94, v44, v98 op_sel:[0,1,0]
	v_pk_fma_f16 v49, v95, v44, v49 op_sel_hi:[1,0,1]
	v_pk_fma_f16 v44, v95, v44, v100 op_sel:[0,1,0]
	;; [unrolled: 2-line block ×6, first 2 shown]
	v_add_nc_u32_e32 v46, 0x800, v37
	v_pk_fma_f16 v102, v96, v47, v99 op_sel_hi:[1,0,1]
	v_pk_fma_f16 v42, v96, v47, v42 op_sel:[0,1,0]
	v_pk_fma_f16 v103, v97, v47, v94 op_sel_hi:[1,0,1]
	v_pk_fma_f16 v41, v97, v47, v41 op_sel:[0,1,0]
	ds_load_2addr_b64 v[94:97], v46 offset1:32
	ds_load_b128 v[98:101], v67 offset:64
	s_waitcnt lgkmcnt(0)
	v_pk_fma_f16 v45, v94, v98, v45 op_sel_hi:[1,0,1]
	v_pk_fma_f16 v47, v94, v98, v48 op_sel:[0,1,0]
	v_pk_fma_f16 v48, v94, v99, v102 op_sel_hi:[1,0,1]
	v_pk_fma_f16 v42, v94, v99, v42 op_sel:[0,1,0]
	v_pk_fma_f16 v49, v95, v98, v49 op_sel_hi:[1,0,1]
	v_pk_fma_f16 v44, v95, v98, v44 op_sel:[0,1,0]
	v_pk_fma_f16 v94, v95, v99, v103 op_sel_hi:[1,0,1]
	v_pk_fma_f16 v41, v95, v99, v41 op_sel:[0,1,0]
	v_pk_fma_f16 v45, v96, v100, v45 op_sel_hi:[1,0,1]
	v_pk_fma_f16 v47, v96, v100, v47 op_sel:[0,1,0]
	v_pk_fma_f16 v48, v96, v101, v48 op_sel_hi:[1,0,1]
	v_pk_fma_f16 v42, v96, v101, v42 op_sel:[0,1,0]
	v_pk_fma_f16 v49, v97, v100, v49 op_sel_hi:[1,0,1]
	v_pk_fma_f16 v44, v97, v100, v44 op_sel:[0,1,0]
	v_pk_fma_f16 v102, v97, v101, v94 op_sel_hi:[1,0,1]
	v_pk_fma_f16 v41, v97, v101, v41 op_sel:[0,1,0]
	ds_load_2addr_b64 v[94:97], v46 offset0:64 offset1:96
	ds_load_b128 v[98:101], v67 offset:80
	s_waitcnt lgkmcnt(0)
	v_pk_fma_f16 v45, v94, v98, v45 op_sel_hi:[1,0,1]
	v_pk_fma_f16 v47, v94, v98, v47 op_sel:[0,1,0]
	v_pk_fma_f16 v48, v94, v99, v48 op_sel_hi:[1,0,1]
	v_pk_fma_f16 v42, v94, v99, v42 op_sel:[0,1,0]
	v_pk_fma_f16 v49, v95, v98, v49 op_sel_hi:[1,0,1]
	v_pk_fma_f16 v44, v95, v98, v44 op_sel:[0,1,0]
	v_pk_fma_f16 v94, v95, v99, v102 op_sel_hi:[1,0,1]
	v_pk_fma_f16 v41, v95, v99, v41 op_sel:[0,1,0]
	v_pk_fma_f16 v45, v96, v100, v45 op_sel_hi:[1,0,1]
	v_pk_fma_f16 v47, v96, v100, v47 op_sel:[0,1,0]
	v_pk_fma_f16 v48, v96, v101, v48 op_sel_hi:[1,0,1]
	v_pk_fma_f16 v42, v96, v101, v42 op_sel:[0,1,0]
	v_pk_fma_f16 v49, v97, v100, v49 op_sel_hi:[1,0,1]
	v_pk_fma_f16 v44, v97, v100, v44 op_sel:[0,1,0]
	v_pk_fma_f16 v102, v97, v101, v94 op_sel_hi:[1,0,1]
	v_pk_fma_f16 v41, v97, v101, v41 op_sel:[0,1,0]
	ds_load_2addr_b64 v[94:97], v46 offset0:128 offset1:160
	;; [unrolled: 19-line block ×3, first 2 shown]
	ds_load_b128 v[98:101], v67 offset:112
	s_waitcnt lgkmcnt(0)
	v_pk_fma_f16 v47, v94, v98, v47 op_sel:[0,1,0]
	v_pk_fma_f16 v45, v94, v98, v45 op_sel_hi:[1,0,1]
	v_pk_fma_f16 v48, v94, v99, v48 op_sel_hi:[1,0,1]
	v_pk_fma_f16 v42, v94, v99, v42 op_sel:[0,1,0]
	v_pk_fma_f16 v49, v95, v98, v49 op_sel_hi:[1,0,1]
	v_pk_fma_f16 v44, v95, v98, v44 op_sel:[0,1,0]
	;; [unrolled: 2-line block ×3, first 2 shown]
	v_pk_fma_f16 v102, v96, v100, v47 op_sel:[0,1,0]
	v_add_nc_u32_e32 v47, 0x1000, v37
	v_pk_fma_f16 v45, v96, v100, v45 op_sel_hi:[1,0,1]
	v_pk_fma_f16 v48, v96, v101, v48 op_sel_hi:[1,0,1]
	v_pk_fma_f16 v42, v96, v101, v42 op_sel:[0,1,0]
	v_pk_fma_f16 v49, v97, v100, v49 op_sel_hi:[1,0,1]
	v_pk_fma_f16 v44, v97, v100, v44 op_sel:[0,1,0]
	;; [unrolled: 2-line block ×3, first 2 shown]
	ds_load_2addr_b64 v[94:97], v47 offset1:32
	ds_load_b128 v[98:101], v67 offset:128
	s_waitcnt lgkmcnt(0)
	v_pk_fma_f16 v45, v94, v98, v45 op_sel_hi:[1,0,1]
	v_pk_fma_f16 v102, v94, v98, v102 op_sel:[0,1,0]
	v_pk_fma_f16 v48, v94, v99, v48 op_sel_hi:[1,0,1]
	v_pk_fma_f16 v42, v94, v99, v42 op_sel:[0,1,0]
	v_pk_fma_f16 v49, v95, v98, v49 op_sel_hi:[1,0,1]
	v_pk_fma_f16 v44, v95, v98, v44 op_sel:[0,1,0]
	v_pk_fma_f16 v94, v95, v99, v103 op_sel_hi:[1,0,1]
	v_pk_fma_f16 v41, v95, v99, v41 op_sel:[0,1,0]
	v_pk_fma_f16 v45, v96, v100, v45 op_sel_hi:[1,0,1]
	v_pk_fma_f16 v102, v96, v100, v102 op_sel:[0,1,0]
	v_pk_fma_f16 v48, v96, v101, v48 op_sel_hi:[1,0,1]
	v_pk_fma_f16 v42, v96, v101, v42 op_sel:[0,1,0]
	v_pk_fma_f16 v49, v97, v100, v49 op_sel_hi:[1,0,1]
	v_pk_fma_f16 v44, v97, v100, v44 op_sel:[0,1,0]
	v_pk_fma_f16 v103, v97, v101, v94 op_sel_hi:[1,0,1]
	v_pk_fma_f16 v41, v97, v101, v41 op_sel:[0,1,0]
	ds_load_2addr_b64 v[94:97], v47 offset0:64 offset1:96
	ds_load_b128 v[98:101], v67 offset:144
	s_waitcnt lgkmcnt(0)
	v_pk_fma_f16 v45, v94, v98, v45 op_sel_hi:[1,0,1]
	v_pk_fma_f16 v102, v94, v98, v102 op_sel:[0,1,0]
	v_pk_fma_f16 v48, v94, v99, v48 op_sel_hi:[1,0,1]
	v_pk_fma_f16 v42, v94, v99, v42 op_sel:[0,1,0]
	v_pk_fma_f16 v49, v95, v98, v49 op_sel_hi:[1,0,1]
	v_pk_fma_f16 v44, v95, v98, v44 op_sel:[0,1,0]
	v_pk_fma_f16 v94, v95, v99, v103 op_sel_hi:[1,0,1]
	v_pk_fma_f16 v41, v95, v99, v41 op_sel:[0,1,0]
	v_pk_fma_f16 v45, v96, v100, v45 op_sel_hi:[1,0,1]
	v_pk_fma_f16 v102, v96, v100, v102 op_sel:[0,1,0]
	v_pk_fma_f16 v48, v96, v101, v48 op_sel_hi:[1,0,1]
	v_pk_fma_f16 v42, v96, v101, v42 op_sel:[0,1,0]
	v_pk_fma_f16 v49, v97, v100, v49 op_sel_hi:[1,0,1]
	v_pk_fma_f16 v44, v97, v100, v44 op_sel:[0,1,0]
	v_pk_fma_f16 v103, v97, v101, v94 op_sel_hi:[1,0,1]
	v_pk_fma_f16 v41, v97, v101, v41 op_sel:[0,1,0]
	ds_load_2addr_b64 v[94:97], v47 offset0:128 offset1:160
	;; [unrolled: 19-line block ×3, first 2 shown]
	ds_load_b128 v[98:101], v67 offset:176
	s_waitcnt lgkmcnt(0)
	v_pk_fma_f16 v48, v94, v99, v48 op_sel_hi:[1,0,1]
	v_pk_fma_f16 v45, v94, v98, v45 op_sel_hi:[1,0,1]
	v_pk_fma_f16 v102, v94, v98, v102 op_sel:[0,1,0]
	v_pk_fma_f16 v42, v94, v99, v42 op_sel:[0,1,0]
	v_pk_fma_f16 v49, v95, v98, v49 op_sel_hi:[1,0,1]
	v_pk_fma_f16 v44, v95, v98, v44 op_sel:[0,1,0]
	v_pk_fma_f16 v94, v95, v99, v103 op_sel_hi:[1,0,1]
	;; [unrolled: 2-line block ×3, first 2 shown]
	v_add_nc_u32_e32 v48, 0x1800, v37
	v_pk_fma_f16 v45, v96, v100, v45 op_sel_hi:[1,0,1]
	v_pk_fma_f16 v102, v96, v100, v102 op_sel:[0,1,0]
	v_pk_fma_f16 v42, v96, v101, v42 op_sel:[0,1,0]
	v_pk_fma_f16 v49, v97, v100, v49 op_sel_hi:[1,0,1]
	v_pk_fma_f16 v44, v97, v100, v44 op_sel:[0,1,0]
	v_pk_fma_f16 v104, v97, v101, v94 op_sel_hi:[1,0,1]
	v_pk_fma_f16 v41, v97, v101, v41 op_sel:[0,1,0]
	ds_load_2addr_b64 v[94:97], v48 offset1:32
	ds_load_b128 v[98:101], v67 offset:192
	s_waitcnt lgkmcnt(0)
	v_pk_fma_f16 v45, v94, v98, v45 op_sel_hi:[1,0,1]
	v_pk_fma_f16 v102, v94, v98, v102 op_sel:[0,1,0]
	v_pk_fma_f16 v103, v94, v99, v103 op_sel_hi:[1,0,1]
	v_pk_fma_f16 v42, v94, v99, v42 op_sel:[0,1,0]
	v_pk_fma_f16 v49, v95, v98, v49 op_sel_hi:[1,0,1]
	v_pk_fma_f16 v44, v95, v98, v44 op_sel:[0,1,0]
	v_pk_fma_f16 v94, v95, v99, v104 op_sel_hi:[1,0,1]
	v_pk_fma_f16 v41, v95, v99, v41 op_sel:[0,1,0]
	v_pk_fma_f16 v45, v96, v100, v45 op_sel_hi:[1,0,1]
	v_pk_fma_f16 v102, v96, v100, v102 op_sel:[0,1,0]
	v_pk_fma_f16 v103, v96, v101, v103 op_sel_hi:[1,0,1]
	v_pk_fma_f16 v42, v96, v101, v42 op_sel:[0,1,0]
	v_pk_fma_f16 v49, v97, v100, v49 op_sel_hi:[1,0,1]
	v_pk_fma_f16 v44, v97, v100, v44 op_sel:[0,1,0]
	v_pk_fma_f16 v104, v97, v101, v94 op_sel_hi:[1,0,1]
	v_pk_fma_f16 v41, v97, v101, v41 op_sel:[0,1,0]
	ds_load_2addr_b64 v[94:97], v48 offset0:64 offset1:96
	ds_load_b128 v[98:101], v67 offset:208
	s_waitcnt lgkmcnt(0)
	v_pk_fma_f16 v45, v94, v98, v45 op_sel_hi:[1,0,1]
	v_pk_fma_f16 v102, v94, v98, v102 op_sel:[0,1,0]
	v_pk_fma_f16 v103, v94, v99, v103 op_sel_hi:[1,0,1]
	v_pk_fma_f16 v42, v94, v99, v42 op_sel:[0,1,0]
	v_pk_fma_f16 v49, v95, v98, v49 op_sel_hi:[1,0,1]
	v_pk_fma_f16 v44, v95, v98, v44 op_sel:[0,1,0]
	v_pk_fma_f16 v94, v95, v99, v104 op_sel_hi:[1,0,1]
	v_pk_fma_f16 v41, v95, v99, v41 op_sel:[0,1,0]
	v_pk_fma_f16 v45, v96, v100, v45 op_sel_hi:[1,0,1]
	v_pk_fma_f16 v102, v96, v100, v102 op_sel:[0,1,0]
	v_pk_fma_f16 v103, v96, v101, v103 op_sel_hi:[1,0,1]
	v_pk_fma_f16 v42, v96, v101, v42 op_sel:[0,1,0]
	v_pk_fma_f16 v49, v97, v100, v49 op_sel_hi:[1,0,1]
	v_pk_fma_f16 v44, v97, v100, v44 op_sel:[0,1,0]
	v_pk_fma_f16 v104, v97, v101, v94 op_sel_hi:[1,0,1]
	v_pk_fma_f16 v41, v97, v101, v41 op_sel:[0,1,0]
	ds_load_2addr_b64 v[94:97], v48 offset0:128 offset1:160
	ds_load_b128 v[98:101], v67 offset:224
	s_waitcnt lgkmcnt(0)
	v_pk_fma_f16 v45, v94, v98, v45 op_sel_hi:[1,0,1]
	v_pk_fma_f16 v102, v94, v98, v102 op_sel:[0,1,0]
	v_pk_fma_f16 v103, v94, v99, v103 op_sel_hi:[1,0,1]
	v_pk_fma_f16 v42, v94, v99, v42 op_sel:[0,1,0]
	v_pk_fma_f16 v49, v95, v98, v49 op_sel_hi:[1,0,1]
	v_pk_fma_f16 v44, v95, v98, v44 op_sel:[0,1,0]
	v_pk_fma_f16 v94, v95, v99, v104 op_sel_hi:[1,0,1]
	v_pk_fma_f16 v41, v95, v99, v41 op_sel:[0,1,0]
	v_pk_fma_f16 v45, v96, v100, v45 op_sel_hi:[1,0,1]
	v_pk_fma_f16 v102, v96, v100, v102 op_sel:[0,1,0]
	v_pk_fma_f16 v103, v96, v101, v103 op_sel_hi:[1,0,1]
	v_pk_fma_f16 v42, v96, v101, v42 op_sel:[0,1,0]
	v_pk_fma_f16 v49, v97, v100, v49 op_sel_hi:[1,0,1]
	v_pk_fma_f16 v44, v97, v100, v44 op_sel:[0,1,0]
	v_pk_fma_f16 v104, v97, v101, v94 op_sel_hi:[1,0,1]
	v_pk_fma_f16 v41, v97, v101, v41 op_sel:[0,1,0]
	ds_load_2addr_b64 v[94:97], v48 offset0:192 offset1:224
	ds_load_b128 v[98:101], v67 offset:240
	s_waitcnt lgkmcnt(0)
	v_pk_fma_f16 v45, v94, v98, v45 op_sel_hi:[1,0,1]
	v_pk_fma_f16 v102, v94, v98, v102 op_sel:[0,1,0]
	v_pk_fma_f16 v103, v94, v99, v103 op_sel_hi:[1,0,1]
	v_pk_fma_f16 v42, v94, v99, v42 op_sel:[0,1,0]
	;; [unrolled: 2-line block ×4, first 2 shown]
	v_pk_fma_f16 v104, v96, v100, v45 op_sel_hi:[1,0,1]
	v_add_nc_u32_e32 v45, 0x2000, v37
	v_pk_fma_f16 v102, v96, v100, v102 op_sel:[0,1,0]
	v_pk_fma_f16 v103, v96, v101, v103 op_sel_hi:[1,0,1]
	v_pk_fma_f16 v42, v96, v101, v42 op_sel:[0,1,0]
	v_pk_fma_f16 v49, v97, v100, v49 op_sel_hi:[1,0,1]
	;; [unrolled: 2-line block ×3, first 2 shown]
	v_pk_fma_f16 v41, v97, v101, v41 op_sel:[0,1,0]
	ds_load_2addr_b64 v[94:97], v45 offset1:32
	ds_load_b128 v[98:101], v67 offset:256
	s_waitcnt lgkmcnt(0)
	v_pk_fma_f16 v104, v94, v98, v104 op_sel_hi:[1,0,1]
	v_pk_fma_f16 v102, v94, v98, v102 op_sel:[0,1,0]
	v_pk_fma_f16 v103, v94, v99, v103 op_sel_hi:[1,0,1]
	v_pk_fma_f16 v42, v94, v99, v42 op_sel:[0,1,0]
	v_pk_fma_f16 v49, v95, v98, v49 op_sel_hi:[1,0,1]
	v_pk_fma_f16 v44, v95, v98, v44 op_sel:[0,1,0]
	v_pk_fma_f16 v94, v95, v99, v105 op_sel_hi:[1,0,1]
	v_pk_fma_f16 v41, v95, v99, v41 op_sel:[0,1,0]
	v_pk_fma_f16 v104, v96, v100, v104 op_sel_hi:[1,0,1]
	v_pk_fma_f16 v102, v96, v100, v102 op_sel:[0,1,0]
	v_pk_fma_f16 v103, v96, v101, v103 op_sel_hi:[1,0,1]
	v_pk_fma_f16 v42, v96, v101, v42 op_sel:[0,1,0]
	v_pk_fma_f16 v49, v97, v100, v49 op_sel_hi:[1,0,1]
	v_pk_fma_f16 v44, v97, v100, v44 op_sel:[0,1,0]
	v_pk_fma_f16 v105, v97, v101, v94 op_sel_hi:[1,0,1]
	v_pk_fma_f16 v41, v97, v101, v41 op_sel:[0,1,0]
	ds_load_2addr_b64 v[94:97], v45 offset0:64 offset1:96
	ds_load_b128 v[98:101], v67 offset:272
	s_waitcnt lgkmcnt(0)
	v_pk_fma_f16 v104, v94, v98, v104 op_sel_hi:[1,0,1]
	v_pk_fma_f16 v102, v94, v98, v102 op_sel:[0,1,0]
	v_pk_fma_f16 v103, v94, v99, v103 op_sel_hi:[1,0,1]
	v_pk_fma_f16 v42, v94, v99, v42 op_sel:[0,1,0]
	v_pk_fma_f16 v49, v95, v98, v49 op_sel_hi:[1,0,1]
	v_pk_fma_f16 v44, v95, v98, v44 op_sel:[0,1,0]
	v_pk_fma_f16 v94, v95, v99, v105 op_sel_hi:[1,0,1]
	v_pk_fma_f16 v41, v95, v99, v41 op_sel:[0,1,0]
	v_pk_fma_f16 v104, v96, v100, v104 op_sel_hi:[1,0,1]
	v_pk_fma_f16 v102, v96, v100, v102 op_sel:[0,1,0]
	v_pk_fma_f16 v103, v96, v101, v103 op_sel_hi:[1,0,1]
	v_pk_fma_f16 v42, v96, v101, v42 op_sel:[0,1,0]
	v_pk_fma_f16 v49, v97, v100, v49 op_sel_hi:[1,0,1]
	v_pk_fma_f16 v44, v97, v100, v44 op_sel:[0,1,0]
	v_pk_fma_f16 v105, v97, v101, v94 op_sel_hi:[1,0,1]
	v_pk_fma_f16 v41, v97, v101, v41 op_sel:[0,1,0]
	ds_load_2addr_b64 v[94:97], v45 offset0:128 offset1:160
	;; [unrolled: 19-line block ×3, first 2 shown]
	ds_load_b128 v[98:101], v67 offset:304
	s_waitcnt lgkmcnt(0)
	v_pk_fma_f16 v44, v95, v98, v44 op_sel:[0,1,0]
	v_pk_fma_f16 v104, v94, v98, v104 op_sel_hi:[1,0,1]
	v_pk_fma_f16 v102, v94, v98, v102 op_sel:[0,1,0]
	v_pk_fma_f16 v103, v94, v99, v103 op_sel_hi:[1,0,1]
	;; [unrolled: 2-line block ×3, first 2 shown]
	v_pk_fma_f16 v94, v95, v99, v105 op_sel_hi:[1,0,1]
	v_pk_fma_f16 v41, v95, v99, v41 op_sel:[0,1,0]
	v_pk_fma_f16 v105, v97, v100, v44 op_sel:[0,1,0]
	v_add_nc_u32_e32 v44, 0x2800, v37
	v_pk_fma_f16 v104, v96, v100, v104 op_sel_hi:[1,0,1]
	v_pk_fma_f16 v102, v96, v100, v102 op_sel:[0,1,0]
	v_pk_fma_f16 v103, v96, v101, v103 op_sel_hi:[1,0,1]
	v_pk_fma_f16 v42, v96, v101, v42 op_sel:[0,1,0]
	v_pk_fma_f16 v49, v97, v100, v49 op_sel_hi:[1,0,1]
	v_pk_fma_f16 v106, v97, v101, v94 op_sel_hi:[1,0,1]
	v_pk_fma_f16 v41, v97, v101, v41 op_sel:[0,1,0]
	ds_load_2addr_b64 v[94:97], v44 offset1:32
	ds_load_b128 v[98:101], v67 offset:320
	s_waitcnt lgkmcnt(0)
	v_pk_fma_f16 v104, v94, v98, v104 op_sel_hi:[1,0,1]
	v_pk_fma_f16 v102, v94, v98, v102 op_sel:[0,1,0]
	v_pk_fma_f16 v103, v94, v99, v103 op_sel_hi:[1,0,1]
	v_pk_fma_f16 v42, v94, v99, v42 op_sel:[0,1,0]
	v_pk_fma_f16 v49, v95, v98, v49 op_sel_hi:[1,0,1]
	v_pk_fma_f16 v94, v95, v98, v105 op_sel:[0,1,0]
	v_pk_fma_f16 v98, v95, v99, v106 op_sel_hi:[1,0,1]
	v_pk_fma_f16 v41, v95, v99, v41 op_sel:[0,1,0]
	v_pk_fma_f16 v104, v96, v100, v104 op_sel_hi:[1,0,1]
	v_pk_fma_f16 v102, v96, v100, v102 op_sel:[0,1,0]
	v_pk_fma_f16 v103, v96, v101, v103 op_sel_hi:[1,0,1]
	v_pk_fma_f16 v42, v96, v101, v42 op_sel:[0,1,0]
	v_pk_fma_f16 v49, v97, v100, v49 op_sel_hi:[1,0,1]
	v_pk_fma_f16 v105, v97, v100, v94 op_sel:[0,1,0]
	v_pk_fma_f16 v106, v97, v101, v98 op_sel_hi:[1,0,1]
	v_pk_fma_f16 v41, v97, v101, v41 op_sel:[0,1,0]
	ds_load_2addr_b64 v[94:97], v44 offset0:64 offset1:96
	ds_load_b128 v[98:101], v67 offset:336
	s_waitcnt lgkmcnt(0)
	v_pk_fma_f16 v104, v94, v98, v104 op_sel_hi:[1,0,1]
	v_pk_fma_f16 v102, v94, v98, v102 op_sel:[0,1,0]
	v_pk_fma_f16 v103, v94, v99, v103 op_sel_hi:[1,0,1]
	v_pk_fma_f16 v42, v94, v99, v42 op_sel:[0,1,0]
	v_pk_fma_f16 v49, v95, v98, v49 op_sel_hi:[1,0,1]
	v_pk_fma_f16 v94, v95, v98, v105 op_sel:[0,1,0]
	v_pk_fma_f16 v98, v95, v99, v106 op_sel_hi:[1,0,1]
	v_pk_fma_f16 v41, v95, v99, v41 op_sel:[0,1,0]
	v_pk_fma_f16 v104, v96, v100, v104 op_sel_hi:[1,0,1]
	v_pk_fma_f16 v102, v96, v100, v102 op_sel:[0,1,0]
	v_pk_fma_f16 v103, v96, v101, v103 op_sel_hi:[1,0,1]
	v_pk_fma_f16 v42, v96, v101, v42 op_sel:[0,1,0]
	v_pk_fma_f16 v49, v97, v100, v49 op_sel_hi:[1,0,1]
	v_pk_fma_f16 v105, v97, v100, v94 op_sel:[0,1,0]
	v_pk_fma_f16 v106, v97, v101, v98 op_sel_hi:[1,0,1]
	v_pk_fma_f16 v41, v97, v101, v41 op_sel:[0,1,0]
	ds_load_2addr_b64 v[94:97], v44 offset0:128 offset1:160
	;; [unrolled: 19-line block ×3, first 2 shown]
	ds_load_b128 v[98:101], v67 offset:368
	s_waitcnt lgkmcnt(0)
	v_pk_fma_f16 v42, v94, v99, v42 op_sel:[0,1,0]
	v_pk_fma_f16 v104, v94, v98, v104 op_sel_hi:[1,0,1]
	v_pk_fma_f16 v102, v94, v98, v102 op_sel:[0,1,0]
	v_pk_fma_f16 v103, v94, v99, v103 op_sel_hi:[1,0,1]
	v_pk_fma_f16 v49, v95, v98, v49 op_sel_hi:[1,0,1]
	v_pk_fma_f16 v94, v95, v98, v105 op_sel:[0,1,0]
	v_pk_fma_f16 v98, v95, v99, v106 op_sel_hi:[1,0,1]
	v_pk_fma_f16 v41, v95, v99, v41 op_sel:[0,1,0]
	v_pk_fma_f16 v105, v96, v101, v42 op_sel:[0,1,0]
	v_add_nc_u32_e32 v42, 0x3000, v37
	v_pk_fma_f16 v104, v96, v100, v104 op_sel_hi:[1,0,1]
	v_pk_fma_f16 v102, v96, v100, v102 op_sel:[0,1,0]
	v_pk_fma_f16 v103, v96, v101, v103 op_sel_hi:[1,0,1]
	v_pk_fma_f16 v49, v97, v100, v49 op_sel_hi:[1,0,1]
	v_pk_fma_f16 v106, v97, v100, v94 op_sel:[0,1,0]
	v_pk_fma_f16 v107, v97, v101, v98 op_sel_hi:[1,0,1]
	v_pk_fma_f16 v41, v97, v101, v41 op_sel:[0,1,0]
	ds_load_2addr_b64 v[94:97], v42 offset1:32
	ds_load_b128 v[98:101], v67 offset:384
	s_waitcnt lgkmcnt(0)
	v_pk_fma_f16 v104, v94, v98, v104 op_sel_hi:[1,0,1]
	v_pk_fma_f16 v102, v94, v98, v102 op_sel:[0,1,0]
	v_pk_fma_f16 v103, v94, v99, v103 op_sel_hi:[1,0,1]
	v_pk_fma_f16 v94, v94, v99, v105 op_sel:[0,1,0]
	v_pk_fma_f16 v49, v95, v98, v49 op_sel_hi:[1,0,1]
	v_pk_fma_f16 v98, v95, v98, v106 op_sel:[0,1,0]
	v_pk_fma_f16 v105, v95, v99, v107 op_sel_hi:[1,0,1]
	v_pk_fma_f16 v41, v95, v99, v41 op_sel:[0,1,0]
	v_pk_fma_f16 v104, v96, v100, v104 op_sel_hi:[1,0,1]
	v_pk_fma_f16 v102, v96, v100, v102 op_sel:[0,1,0]
	v_pk_fma_f16 v103, v96, v101, v103 op_sel_hi:[1,0,1]
	v_pk_fma_f16 v106, v96, v101, v94 op_sel:[0,1,0]
	v_pk_fma_f16 v49, v97, v100, v49 op_sel_hi:[1,0,1]
	v_pk_fma_f16 v107, v97, v100, v98 op_sel:[0,1,0]
	v_pk_fma_f16 v105, v97, v101, v105 op_sel_hi:[1,0,1]
	v_pk_fma_f16 v41, v97, v101, v41 op_sel:[0,1,0]
	ds_load_2addr_b64 v[94:97], v42 offset0:64 offset1:96
	ds_load_b128 v[98:101], v67 offset:400
	s_waitcnt lgkmcnt(0)
	v_pk_fma_f16 v104, v94, v98, v104 op_sel_hi:[1,0,1]
	v_pk_fma_f16 v102, v94, v98, v102 op_sel:[0,1,0]
	v_pk_fma_f16 v103, v94, v99, v103 op_sel_hi:[1,0,1]
	v_pk_fma_f16 v94, v94, v99, v106 op_sel:[0,1,0]
	v_pk_fma_f16 v49, v95, v98, v49 op_sel_hi:[1,0,1]
	v_pk_fma_f16 v98, v95, v98, v107 op_sel:[0,1,0]
	v_pk_fma_f16 v105, v95, v99, v105 op_sel_hi:[1,0,1]
	v_pk_fma_f16 v41, v95, v99, v41 op_sel:[0,1,0]
	v_pk_fma_f16 v104, v96, v100, v104 op_sel_hi:[1,0,1]
	v_pk_fma_f16 v102, v96, v100, v102 op_sel:[0,1,0]
	v_pk_fma_f16 v103, v96, v101, v103 op_sel_hi:[1,0,1]
	v_pk_fma_f16 v106, v96, v101, v94 op_sel:[0,1,0]
	v_pk_fma_f16 v49, v97, v100, v49 op_sel_hi:[1,0,1]
	v_pk_fma_f16 v107, v97, v100, v98 op_sel:[0,1,0]
	v_pk_fma_f16 v105, v97, v101, v105 op_sel_hi:[1,0,1]
	v_pk_fma_f16 v41, v97, v101, v41 op_sel:[0,1,0]
	ds_load_2addr_b64 v[94:97], v42 offset0:128 offset1:160
	;; [unrolled: 19-line block ×3, first 2 shown]
	ds_load_b128 v[98:101], v67 offset:432
	s_waitcnt lgkmcnt(0)
	v_pk_fma_f16 v41, v95, v99, v41 op_sel:[0,1,0]
	v_pk_fma_f16 v104, v94, v98, v104 op_sel_hi:[1,0,1]
	v_pk_fma_f16 v102, v94, v98, v102 op_sel:[0,1,0]
	v_pk_fma_f16 v103, v94, v99, v103 op_sel_hi:[1,0,1]
	;; [unrolled: 2-line block ×4, first 2 shown]
	v_pk_fma_f16 v108, v97, v101, v41 op_sel:[0,1,0]
	v_add_nc_u32_e32 v41, 0x3800, v37
	v_pk_fma_f16 v104, v96, v100, v104 op_sel_hi:[1,0,1]
	v_pk_fma_f16 v102, v96, v100, v102 op_sel:[0,1,0]
	v_pk_fma_f16 v103, v96, v101, v103 op_sel_hi:[1,0,1]
	v_pk_fma_f16 v106, v96, v101, v94 op_sel:[0,1,0]
	;; [unrolled: 2-line block ×3, first 2 shown]
	v_pk_fma_f16 v105, v97, v101, v105 op_sel_hi:[1,0,1]
	ds_load_2addr_b64 v[94:97], v41 offset1:32
	ds_load_b128 v[98:101], v67 offset:448
	s_waitcnt lgkmcnt(0)
	v_pk_fma_f16 v104, v94, v98, v104 op_sel_hi:[1,0,1]
	v_pk_fma_f16 v102, v94, v98, v102 op_sel:[0,1,0]
	v_pk_fma_f16 v103, v94, v99, v103 op_sel_hi:[1,0,1]
	v_pk_fma_f16 v94, v94, v99, v106 op_sel:[0,1,0]
	v_pk_fma_f16 v49, v95, v98, v49 op_sel_hi:[1,0,1]
	v_pk_fma_f16 v98, v95, v98, v107 op_sel:[0,1,0]
	v_pk_fma_f16 v105, v95, v99, v105 op_sel_hi:[1,0,1]
	v_pk_fma_f16 v95, v95, v99, v108 op_sel:[0,1,0]
	v_pk_fma_f16 v104, v96, v100, v104 op_sel_hi:[1,0,1]
	v_pk_fma_f16 v102, v96, v100, v102 op_sel:[0,1,0]
	v_pk_fma_f16 v103, v96, v101, v103 op_sel_hi:[1,0,1]
	v_pk_fma_f16 v106, v96, v101, v94 op_sel:[0,1,0]
	v_pk_fma_f16 v49, v97, v100, v49 op_sel_hi:[1,0,1]
	v_pk_fma_f16 v107, v97, v100, v98 op_sel:[0,1,0]
	v_pk_fma_f16 v105, v97, v101, v105 op_sel_hi:[1,0,1]
	v_pk_fma_f16 v108, v97, v101, v95 op_sel:[0,1,0]
	ds_load_2addr_b64 v[94:97], v41 offset0:64 offset1:96
	ds_load_b128 v[98:101], v67 offset:464
	s_waitcnt lgkmcnt(0)
	v_pk_fma_f16 v104, v94, v98, v104 op_sel_hi:[1,0,1]
	v_pk_fma_f16 v102, v94, v98, v102 op_sel:[0,1,0]
	v_pk_fma_f16 v103, v94, v99, v103 op_sel_hi:[1,0,1]
	v_pk_fma_f16 v94, v94, v99, v106 op_sel:[0,1,0]
	v_pk_fma_f16 v49, v95, v98, v49 op_sel_hi:[1,0,1]
	v_pk_fma_f16 v98, v95, v98, v107 op_sel:[0,1,0]
	v_pk_fma_f16 v105, v95, v99, v105 op_sel_hi:[1,0,1]
	v_pk_fma_f16 v95, v95, v99, v108 op_sel:[0,1,0]
	v_pk_fma_f16 v104, v96, v100, v104 op_sel_hi:[1,0,1]
	v_pk_fma_f16 v102, v96, v100, v102 op_sel:[0,1,0]
	v_pk_fma_f16 v103, v96, v101, v103 op_sel_hi:[1,0,1]
	v_pk_fma_f16 v106, v96, v101, v94 op_sel:[0,1,0]
	v_pk_fma_f16 v49, v97, v100, v49 op_sel_hi:[1,0,1]
	v_pk_fma_f16 v107, v97, v100, v98 op_sel:[0,1,0]
	v_pk_fma_f16 v105, v97, v101, v105 op_sel_hi:[1,0,1]
	v_pk_fma_f16 v108, v97, v101, v95 op_sel:[0,1,0]
	ds_load_2addr_b64 v[94:97], v41 offset0:128 offset1:160
	;; [unrolled: 19-line block ×3, first 2 shown]
	ds_load_b128 v[98:101], v67 offset:496
	s_waitcnt lgkmcnt(0)
	s_barrier
	buffer_gl0_inv
	v_pk_fma_f16 v104, v94, v98, v104 op_sel_hi:[1,0,1]
	v_pk_fma_f16 v102, v94, v98, v102 op_sel:[0,1,0]
	v_pk_fma_f16 v103, v94, v99, v103 op_sel_hi:[1,0,1]
	v_pk_fma_f16 v94, v94, v99, v106 op_sel:[0,1,0]
	;; [unrolled: 2-line block ×4, first 2 shown]
	v_pk_fma_f16 v106, v96, v101, v94 op_sel:[0,1,0]
	v_add_co_u32 v94, vcc_lo, s4, v13
	v_pk_fma_f16 v104, v96, v100, v104 op_sel_hi:[1,0,1]
	s_delay_alu instid0(VALU_DEP_4) | instskip(SKIP_1) | instid1(VALU_DEP_4)
	v_pk_fma_f16 v108, v97, v101, v95 op_sel:[0,1,0]
	v_add_co_ci_u32_e32 v95, vcc_lo, s5, v14, vcc_lo
	v_add_co_u32 v94, vcc_lo, v94, v72
	v_pk_fma_f16 v102, v96, v100, v102 op_sel:[0,1,0]
	s_delay_alu instid0(VALU_DEP_3)
	v_add_co_ci_u32_e32 v95, vcc_lo, 0, v95, vcc_lo
	v_pk_fma_f16 v103, v96, v101, v103 op_sel_hi:[1,0,1]
	v_pk_fma_f16 v49, v97, v100, v49 op_sel_hi:[1,0,1]
	v_pk_fma_f16 v107, v97, v100, v98 op_sel:[0,1,0]
	v_pk_fma_f16 v105, v97, v101, v105 op_sel_hi:[1,0,1]
	global_load_b128 v[94:97], v[94:95], off
	s_waitcnt vmcnt(0)
	ds_store_b128 v65, v[94:97]
	v_add_co_u32 v94, vcc_lo, s4, v15
	v_add_co_ci_u32_e32 v95, vcc_lo, s5, v16, vcc_lo
	s_delay_alu instid0(VALU_DEP_2) | instskip(NEXT) | instid1(VALU_DEP_2)
	v_add_co_u32 v94, vcc_lo, v94, v72
	v_add_co_ci_u32_e32 v95, vcc_lo, 0, v95, vcc_lo
	global_load_b128 v[94:97], v[94:95], off
	s_waitcnt vmcnt(0)
	ds_store_b128 v68, v[94:97]
	v_add_co_u32 v94, vcc_lo, s4, v17
	v_add_co_ci_u32_e32 v95, vcc_lo, s5, v18, vcc_lo
	s_delay_alu instid0(VALU_DEP_2) | instskip(NEXT) | instid1(VALU_DEP_2)
	v_add_co_u32 v94, vcc_lo, v94, v72
	v_add_co_ci_u32_e32 v95, vcc_lo, 0, v95, vcc_lo
	;; [unrolled: 8-line block ×3, first 2 shown]
	global_load_b128 v[94:97], v[94:95], off
	s_waitcnt vmcnt(0)
	ds_store_b128 v70, v[94:97]
	s_waitcnt lgkmcnt(0)
	s_barrier
	buffer_gl0_inv
	ds_load_2addr_b64 v[94:97], v37 offset1:32
	ds_load_b128 v[98:101], v67 offset:512
	s_waitcnt lgkmcnt(0)
	v_pk_fma_f16 v104, v94, v98, v104 op_sel_hi:[1,0,1]
	v_pk_fma_f16 v102, v94, v98, v102 op_sel:[0,1,0]
	v_pk_fma_f16 v103, v94, v99, v103 op_sel_hi:[1,0,1]
	v_pk_fma_f16 v94, v94, v99, v106 op_sel:[0,1,0]
	v_pk_fma_f16 v49, v95, v98, v49 op_sel_hi:[1,0,1]
	v_pk_fma_f16 v98, v95, v98, v107 op_sel:[0,1,0]
	v_pk_fma_f16 v105, v95, v99, v105 op_sel_hi:[1,0,1]
	v_pk_fma_f16 v95, v95, v99, v108 op_sel:[0,1,0]
	v_pk_fma_f16 v104, v96, v100, v104 op_sel_hi:[1,0,1]
	v_pk_fma_f16 v102, v96, v100, v102 op_sel:[0,1,0]
	v_pk_fma_f16 v103, v96, v101, v103 op_sel_hi:[1,0,1]
	v_pk_fma_f16 v106, v96, v101, v94 op_sel:[0,1,0]
	v_pk_fma_f16 v49, v97, v100, v49 op_sel_hi:[1,0,1]
	v_pk_fma_f16 v107, v97, v100, v98 op_sel:[0,1,0]
	v_pk_fma_f16 v105, v97, v101, v105 op_sel_hi:[1,0,1]
	v_pk_fma_f16 v108, v97, v101, v95 op_sel:[0,1,0]
	ds_load_b128 v[94:97], v67 offset:528
	ds_load_2addr_b64 v[98:101], v37 offset0:64 offset1:96
	s_waitcnt lgkmcnt(0)
	v_pk_fma_f16 v104, v98, v94, v104 op_sel_hi:[1,0,1]
	v_pk_fma_f16 v102, v98, v94, v102 op_sel:[0,1,0]
	v_pk_fma_f16 v103, v98, v95, v103 op_sel_hi:[1,0,1]
	v_pk_fma_f16 v98, v98, v95, v106 op_sel:[0,1,0]
	v_pk_fma_f16 v49, v99, v94, v49 op_sel_hi:[1,0,1]
	v_pk_fma_f16 v94, v99, v94, v107 op_sel:[0,1,0]
	v_pk_fma_f16 v105, v99, v95, v105 op_sel_hi:[1,0,1]
	v_pk_fma_f16 v95, v99, v95, v108 op_sel:[0,1,0]
	v_pk_fma_f16 v104, v100, v96, v104 op_sel_hi:[1,0,1]
	v_pk_fma_f16 v102, v100, v96, v102 op_sel:[0,1,0]
	v_pk_fma_f16 v103, v100, v97, v103 op_sel_hi:[1,0,1]
	v_pk_fma_f16 v106, v100, v97, v98 op_sel:[0,1,0]
	v_pk_fma_f16 v49, v101, v96, v49 op_sel_hi:[1,0,1]
	v_pk_fma_f16 v107, v101, v96, v94 op_sel:[0,1,0]
	v_pk_fma_f16 v105, v101, v97, v105 op_sel_hi:[1,0,1]
	v_pk_fma_f16 v108, v101, v97, v95 op_sel:[0,1,0]
	ds_load_b128 v[94:97], v67 offset:544
	ds_load_2addr_b64 v[98:101], v37 offset0:128 offset1:160
	;; [unrolled: 19-line block ×3, first 2 shown]
	s_waitcnt lgkmcnt(0)
	v_pk_fma_f16 v104, v98, v94, v104 op_sel_hi:[1,0,1]
	v_pk_fma_f16 v102, v98, v94, v102 op_sel:[0,1,0]
	v_pk_fma_f16 v103, v98, v95, v103 op_sel_hi:[1,0,1]
	v_pk_fma_f16 v98, v98, v95, v106 op_sel:[0,1,0]
	;; [unrolled: 2-line block ×8, first 2 shown]
	ds_load_2addr_b64 v[94:97], v46 offset1:32
	ds_load_b128 v[98:101], v67 offset:576
	s_waitcnt lgkmcnt(0)
	v_pk_fma_f16 v104, v94, v98, v104 op_sel_hi:[1,0,1]
	v_pk_fma_f16 v102, v94, v98, v102 op_sel:[0,1,0]
	v_pk_fma_f16 v103, v94, v99, v103 op_sel_hi:[1,0,1]
	v_pk_fma_f16 v94, v94, v99, v106 op_sel:[0,1,0]
	v_pk_fma_f16 v49, v95, v98, v49 op_sel_hi:[1,0,1]
	v_pk_fma_f16 v98, v95, v98, v107 op_sel:[0,1,0]
	v_pk_fma_f16 v105, v95, v99, v105 op_sel_hi:[1,0,1]
	v_pk_fma_f16 v95, v95, v99, v108 op_sel:[0,1,0]
	v_pk_fma_f16 v104, v96, v100, v104 op_sel_hi:[1,0,1]
	v_pk_fma_f16 v102, v96, v100, v102 op_sel:[0,1,0]
	v_pk_fma_f16 v103, v96, v101, v103 op_sel_hi:[1,0,1]
	v_pk_fma_f16 v106, v96, v101, v94 op_sel:[0,1,0]
	v_pk_fma_f16 v49, v97, v100, v49 op_sel_hi:[1,0,1]
	v_pk_fma_f16 v107, v97, v100, v98 op_sel:[0,1,0]
	v_pk_fma_f16 v105, v97, v101, v105 op_sel_hi:[1,0,1]
	v_pk_fma_f16 v108, v97, v101, v95 op_sel:[0,1,0]
	ds_load_2addr_b64 v[94:97], v46 offset0:64 offset1:96
	ds_load_b128 v[98:101], v67 offset:592
	s_waitcnt lgkmcnt(0)
	v_pk_fma_f16 v104, v94, v98, v104 op_sel_hi:[1,0,1]
	v_pk_fma_f16 v102, v94, v98, v102 op_sel:[0,1,0]
	v_pk_fma_f16 v103, v94, v99, v103 op_sel_hi:[1,0,1]
	v_pk_fma_f16 v94, v94, v99, v106 op_sel:[0,1,0]
	v_pk_fma_f16 v49, v95, v98, v49 op_sel_hi:[1,0,1]
	v_pk_fma_f16 v98, v95, v98, v107 op_sel:[0,1,0]
	v_pk_fma_f16 v105, v95, v99, v105 op_sel_hi:[1,0,1]
	v_pk_fma_f16 v95, v95, v99, v108 op_sel:[0,1,0]
	v_pk_fma_f16 v104, v96, v100, v104 op_sel_hi:[1,0,1]
	v_pk_fma_f16 v102, v96, v100, v102 op_sel:[0,1,0]
	v_pk_fma_f16 v103, v96, v101, v103 op_sel_hi:[1,0,1]
	v_pk_fma_f16 v106, v96, v101, v94 op_sel:[0,1,0]
	v_pk_fma_f16 v49, v97, v100, v49 op_sel_hi:[1,0,1]
	v_pk_fma_f16 v107, v97, v100, v98 op_sel:[0,1,0]
	v_pk_fma_f16 v105, v97, v101, v105 op_sel_hi:[1,0,1]
	v_pk_fma_f16 v108, v97, v101, v95 op_sel:[0,1,0]
	ds_load_2addr_b64 v[94:97], v46 offset0:128 offset1:160
	;; [unrolled: 19-line block ×3, first 2 shown]
	ds_load_b128 v[98:101], v67 offset:624
	s_waitcnt lgkmcnt(0)
	v_pk_fma_f16 v46, v94, v98, v104 op_sel_hi:[1,0,1]
	v_pk_fma_f16 v102, v94, v98, v102 op_sel:[0,1,0]
	v_pk_fma_f16 v103, v94, v99, v103 op_sel_hi:[1,0,1]
	v_pk_fma_f16 v94, v94, v99, v106 op_sel:[0,1,0]
	;; [unrolled: 2-line block ×8, first 2 shown]
	ds_load_2addr_b64 v[94:97], v47 offset1:32
	ds_load_b128 v[98:101], v67 offset:640
	s_waitcnt lgkmcnt(0)
	v_pk_fma_f16 v46, v94, v98, v46 op_sel_hi:[1,0,1]
	v_pk_fma_f16 v102, v94, v98, v102 op_sel:[0,1,0]
	v_pk_fma_f16 v103, v94, v99, v103 op_sel_hi:[1,0,1]
	v_pk_fma_f16 v94, v94, v99, v105 op_sel:[0,1,0]
	v_pk_fma_f16 v49, v95, v98, v49 op_sel_hi:[1,0,1]
	v_pk_fma_f16 v98, v95, v98, v106 op_sel:[0,1,0]
	v_pk_fma_f16 v104, v95, v99, v104 op_sel_hi:[1,0,1]
	v_pk_fma_f16 v95, v95, v99, v107 op_sel:[0,1,0]
	v_pk_fma_f16 v46, v96, v100, v46 op_sel_hi:[1,0,1]
	v_pk_fma_f16 v102, v96, v100, v102 op_sel:[0,1,0]
	v_pk_fma_f16 v103, v96, v101, v103 op_sel_hi:[1,0,1]
	v_pk_fma_f16 v105, v96, v101, v94 op_sel:[0,1,0]
	v_pk_fma_f16 v49, v97, v100, v49 op_sel_hi:[1,0,1]
	v_pk_fma_f16 v106, v97, v100, v98 op_sel:[0,1,0]
	v_pk_fma_f16 v104, v97, v101, v104 op_sel_hi:[1,0,1]
	v_pk_fma_f16 v107, v97, v101, v95 op_sel:[0,1,0]
	ds_load_2addr_b64 v[94:97], v47 offset0:64 offset1:96
	ds_load_b128 v[98:101], v67 offset:656
	s_waitcnt lgkmcnt(0)
	v_pk_fma_f16 v46, v94, v98, v46 op_sel_hi:[1,0,1]
	v_pk_fma_f16 v102, v94, v98, v102 op_sel:[0,1,0]
	v_pk_fma_f16 v103, v94, v99, v103 op_sel_hi:[1,0,1]
	v_pk_fma_f16 v94, v94, v99, v105 op_sel:[0,1,0]
	v_pk_fma_f16 v49, v95, v98, v49 op_sel_hi:[1,0,1]
	v_pk_fma_f16 v98, v95, v98, v106 op_sel:[0,1,0]
	v_pk_fma_f16 v104, v95, v99, v104 op_sel_hi:[1,0,1]
	v_pk_fma_f16 v95, v95, v99, v107 op_sel:[0,1,0]
	v_pk_fma_f16 v46, v96, v100, v46 op_sel_hi:[1,0,1]
	v_pk_fma_f16 v102, v96, v100, v102 op_sel:[0,1,0]
	v_pk_fma_f16 v103, v96, v101, v103 op_sel_hi:[1,0,1]
	v_pk_fma_f16 v105, v96, v101, v94 op_sel:[0,1,0]
	v_pk_fma_f16 v49, v97, v100, v49 op_sel_hi:[1,0,1]
	v_pk_fma_f16 v106, v97, v100, v98 op_sel:[0,1,0]
	v_pk_fma_f16 v104, v97, v101, v104 op_sel_hi:[1,0,1]
	v_pk_fma_f16 v107, v97, v101, v95 op_sel:[0,1,0]
	ds_load_2addr_b64 v[94:97], v47 offset0:128 offset1:160
	ds_load_b128 v[98:101], v67 offset:672
	s_waitcnt lgkmcnt(0)
	v_pk_fma_f16 v46, v94, v98, v46 op_sel_hi:[1,0,1]
	v_pk_fma_f16 v102, v94, v98, v102 op_sel:[0,1,0]
	v_pk_fma_f16 v103, v94, v99, v103 op_sel_hi:[1,0,1]
	v_pk_fma_f16 v94, v94, v99, v105 op_sel:[0,1,0]
	v_pk_fma_f16 v49, v95, v98, v49 op_sel_hi:[1,0,1]
	v_pk_fma_f16 v98, v95, v98, v106 op_sel:[0,1,0]
	v_pk_fma_f16 v104, v95, v99, v104 op_sel_hi:[1,0,1]
	v_pk_fma_f16 v95, v95, v99, v107 op_sel:[0,1,0]
	v_pk_fma_f16 v46, v96, v100, v46 op_sel_hi:[1,0,1]
	v_pk_fma_f16 v102, v96, v100, v102 op_sel:[0,1,0]
	v_pk_fma_f16 v103, v96, v101, v103 op_sel_hi:[1,0,1]
	v_pk_fma_f16 v105, v96, v101, v94 op_sel:[0,1,0]
	v_pk_fma_f16 v49, v97, v100, v49 op_sel_hi:[1,0,1]
	v_pk_fma_f16 v106, v97, v100, v98 op_sel:[0,1,0]
	v_pk_fma_f16 v104, v97, v101, v104 op_sel_hi:[1,0,1]
	v_pk_fma_f16 v107, v97, v101, v95 op_sel:[0,1,0]
	ds_load_2addr_b64 v[94:97], v47 offset0:192 offset1:224
	ds_load_b128 v[98:101], v67 offset:688
	s_waitcnt lgkmcnt(0)
	v_pk_fma_f16 v46, v94, v98, v46 op_sel_hi:[1,0,1]
	v_pk_fma_f16 v47, v94, v98, v102 op_sel:[0,1,0]
	v_pk_fma_f16 v102, v94, v99, v103 op_sel_hi:[1,0,1]
	v_pk_fma_f16 v94, v94, v99, v105 op_sel:[0,1,0]
	;; [unrolled: 2-line block ×8, first 2 shown]
	ds_load_2addr_b64 v[94:97], v48 offset1:32
	ds_load_b128 v[98:101], v67 offset:704
	s_waitcnt lgkmcnt(0)
	v_pk_fma_f16 v46, v94, v98, v46 op_sel_hi:[1,0,1]
	v_pk_fma_f16 v47, v94, v98, v47 op_sel:[0,1,0]
	v_pk_fma_f16 v102, v94, v99, v102 op_sel_hi:[1,0,1]
	v_pk_fma_f16 v94, v94, v99, v104 op_sel:[0,1,0]
	v_pk_fma_f16 v49, v95, v98, v49 op_sel_hi:[1,0,1]
	v_pk_fma_f16 v98, v95, v98, v105 op_sel:[0,1,0]
	v_pk_fma_f16 v103, v95, v99, v103 op_sel_hi:[1,0,1]
	v_pk_fma_f16 v95, v95, v99, v106 op_sel:[0,1,0]
	v_pk_fma_f16 v46, v96, v100, v46 op_sel_hi:[1,0,1]
	v_pk_fma_f16 v47, v96, v100, v47 op_sel:[0,1,0]
	v_pk_fma_f16 v102, v96, v101, v102 op_sel_hi:[1,0,1]
	v_pk_fma_f16 v104, v96, v101, v94 op_sel:[0,1,0]
	v_pk_fma_f16 v49, v97, v100, v49 op_sel_hi:[1,0,1]
	v_pk_fma_f16 v105, v97, v100, v98 op_sel:[0,1,0]
	v_pk_fma_f16 v103, v97, v101, v103 op_sel_hi:[1,0,1]
	v_pk_fma_f16 v106, v97, v101, v95 op_sel:[0,1,0]
	ds_load_2addr_b64 v[94:97], v48 offset0:64 offset1:96
	ds_load_b128 v[98:101], v67 offset:720
	s_waitcnt lgkmcnt(0)
	v_pk_fma_f16 v46, v94, v98, v46 op_sel_hi:[1,0,1]
	v_pk_fma_f16 v47, v94, v98, v47 op_sel:[0,1,0]
	v_pk_fma_f16 v102, v94, v99, v102 op_sel_hi:[1,0,1]
	v_pk_fma_f16 v94, v94, v99, v104 op_sel:[0,1,0]
	v_pk_fma_f16 v49, v95, v98, v49 op_sel_hi:[1,0,1]
	v_pk_fma_f16 v98, v95, v98, v105 op_sel:[0,1,0]
	v_pk_fma_f16 v103, v95, v99, v103 op_sel_hi:[1,0,1]
	v_pk_fma_f16 v95, v95, v99, v106 op_sel:[0,1,0]
	v_pk_fma_f16 v46, v96, v100, v46 op_sel_hi:[1,0,1]
	v_pk_fma_f16 v47, v96, v100, v47 op_sel:[0,1,0]
	v_pk_fma_f16 v102, v96, v101, v102 op_sel_hi:[1,0,1]
	v_pk_fma_f16 v104, v96, v101, v94 op_sel:[0,1,0]
	v_pk_fma_f16 v49, v97, v100, v49 op_sel_hi:[1,0,1]
	v_pk_fma_f16 v105, v97, v100, v98 op_sel:[0,1,0]
	v_pk_fma_f16 v103, v97, v101, v103 op_sel_hi:[1,0,1]
	v_pk_fma_f16 v106, v97, v101, v95 op_sel:[0,1,0]
	ds_load_2addr_b64 v[94:97], v48 offset0:128 offset1:160
	;; [unrolled: 19-line block ×3, first 2 shown]
	ds_load_b128 v[94:97], v67 offset:752
	s_waitcnt lgkmcnt(0)
	v_pk_fma_f16 v99, v46, v94, v99 op_sel_hi:[1,0,1]
	v_pk_fma_f16 v103, v46, v94, v104 op_sel:[0,1,0]
	v_pk_fma_f16 v102, v46, v95, v102 op_sel_hi:[1,0,1]
	v_pk_fma_f16 v46, v46, v95, v105 op_sel:[0,1,0]
	;; [unrolled: 2-line block ×8, first 2 shown]
	ds_load_2addr_b64 v[46:49], v45 offset1:32
	ds_load_b128 v[94:97], v67 offset:768
	s_waitcnt lgkmcnt(0)
	v_pk_fma_f16 v99, v46, v94, v99 op_sel_hi:[1,0,1]
	v_pk_fma_f16 v100, v46, v94, v100 op_sel:[0,1,0]
	v_pk_fma_f16 v101, v46, v95, v101 op_sel_hi:[1,0,1]
	v_pk_fma_f16 v46, v46, v95, v102 op_sel:[0,1,0]
	v_pk_fma_f16 v102, v47, v94, v103 op_sel_hi:[1,0,1]
	v_pk_fma_f16 v94, v47, v94, v104 op_sel:[0,1,0]
	v_pk_fma_f16 v98, v47, v95, v98 op_sel_hi:[1,0,1]
	v_pk_fma_f16 v47, v47, v95, v105 op_sel:[0,1,0]
	v_pk_fma_f16 v99, v48, v96, v99 op_sel_hi:[1,0,1]
	v_pk_fma_f16 v100, v48, v96, v100 op_sel:[0,1,0]
	v_pk_fma_f16 v101, v48, v97, v101 op_sel_hi:[1,0,1]
	v_pk_fma_f16 v103, v48, v97, v46 op_sel:[0,1,0]
	v_pk_fma_f16 v102, v49, v96, v102 op_sel_hi:[1,0,1]
	v_pk_fma_f16 v104, v49, v96, v94 op_sel:[0,1,0]
	v_pk_fma_f16 v98, v49, v97, v98 op_sel_hi:[1,0,1]
	v_pk_fma_f16 v105, v49, v97, v47 op_sel:[0,1,0]
	ds_load_2addr_b64 v[46:49], v45 offset0:64 offset1:96
	ds_load_b128 v[94:97], v67 offset:784
	s_waitcnt lgkmcnt(0)
	v_pk_fma_f16 v99, v46, v94, v99 op_sel_hi:[1,0,1]
	v_pk_fma_f16 v100, v46, v94, v100 op_sel:[0,1,0]
	v_pk_fma_f16 v101, v46, v95, v101 op_sel_hi:[1,0,1]
	v_pk_fma_f16 v46, v46, v95, v103 op_sel:[0,1,0]
	v_pk_fma_f16 v102, v47, v94, v102 op_sel_hi:[1,0,1]
	v_pk_fma_f16 v94, v47, v94, v104 op_sel:[0,1,0]
	v_pk_fma_f16 v98, v47, v95, v98 op_sel_hi:[1,0,1]
	v_pk_fma_f16 v47, v47, v95, v105 op_sel:[0,1,0]
	v_pk_fma_f16 v99, v48, v96, v99 op_sel_hi:[1,0,1]
	v_pk_fma_f16 v100, v48, v96, v100 op_sel:[0,1,0]
	v_pk_fma_f16 v101, v48, v97, v101 op_sel_hi:[1,0,1]
	v_pk_fma_f16 v103, v48, v97, v46 op_sel:[0,1,0]
	v_pk_fma_f16 v102, v49, v96, v102 op_sel_hi:[1,0,1]
	v_pk_fma_f16 v104, v49, v96, v94 op_sel:[0,1,0]
	v_pk_fma_f16 v98, v49, v97, v98 op_sel_hi:[1,0,1]
	v_pk_fma_f16 v105, v49, v97, v47 op_sel:[0,1,0]
	ds_load_2addr_b64 v[46:49], v45 offset0:128 offset1:160
	;; [unrolled: 19-line block ×3, first 2 shown]
	ds_load_b128 v[94:97], v67 offset:816
	s_waitcnt lgkmcnt(0)
	v_pk_fma_f16 v99, v45, v94, v99 op_sel_hi:[1,0,1]
	v_pk_fma_f16 v100, v45, v94, v100 op_sel:[0,1,0]
	v_pk_fma_f16 v101, v45, v95, v101 op_sel_hi:[1,0,1]
	v_pk_fma_f16 v45, v45, v95, v103 op_sel:[0,1,0]
	;; [unrolled: 2-line block ×8, first 2 shown]
	ds_load_2addr_b64 v[45:48], v44 offset1:32
	ds_load_b128 v[94:97], v67 offset:832
	s_waitcnt lgkmcnt(0)
	v_pk_fma_f16 v49, v45, v94, v49 op_sel_hi:[1,0,1]
	v_pk_fma_f16 v99, v45, v94, v99 op_sel:[0,1,0]
	v_pk_fma_f16 v100, v45, v95, v100 op_sel_hi:[1,0,1]
	v_pk_fma_f16 v45, v45, v95, v101 op_sel:[0,1,0]
	v_pk_fma_f16 v101, v46, v94, v102 op_sel_hi:[1,0,1]
	v_pk_fma_f16 v94, v46, v94, v103 op_sel:[0,1,0]
	v_pk_fma_f16 v98, v46, v95, v98 op_sel_hi:[1,0,1]
	v_pk_fma_f16 v46, v46, v95, v104 op_sel:[0,1,0]
	v_pk_fma_f16 v49, v47, v96, v49 op_sel_hi:[1,0,1]
	v_pk_fma_f16 v99, v47, v96, v99 op_sel:[0,1,0]
	v_pk_fma_f16 v100, v47, v97, v100 op_sel_hi:[1,0,1]
	v_pk_fma_f16 v102, v47, v97, v45 op_sel:[0,1,0]
	v_pk_fma_f16 v101, v48, v96, v101 op_sel_hi:[1,0,1]
	v_pk_fma_f16 v103, v48, v96, v94 op_sel:[0,1,0]
	v_pk_fma_f16 v98, v48, v97, v98 op_sel_hi:[1,0,1]
	v_pk_fma_f16 v104, v48, v97, v46 op_sel:[0,1,0]
	ds_load_2addr_b64 v[45:48], v44 offset0:64 offset1:96
	ds_load_b128 v[94:97], v67 offset:848
	s_waitcnt lgkmcnt(0)
	v_pk_fma_f16 v49, v45, v94, v49 op_sel_hi:[1,0,1]
	v_pk_fma_f16 v99, v45, v94, v99 op_sel:[0,1,0]
	v_pk_fma_f16 v100, v45, v95, v100 op_sel_hi:[1,0,1]
	v_pk_fma_f16 v45, v45, v95, v102 op_sel:[0,1,0]
	v_pk_fma_f16 v101, v46, v94, v101 op_sel_hi:[1,0,1]
	v_pk_fma_f16 v94, v46, v94, v103 op_sel:[0,1,0]
	v_pk_fma_f16 v98, v46, v95, v98 op_sel_hi:[1,0,1]
	v_pk_fma_f16 v46, v46, v95, v104 op_sel:[0,1,0]
	v_pk_fma_f16 v49, v47, v96, v49 op_sel_hi:[1,0,1]
	v_pk_fma_f16 v99, v47, v96, v99 op_sel:[0,1,0]
	v_pk_fma_f16 v100, v47, v97, v100 op_sel_hi:[1,0,1]
	v_pk_fma_f16 v102, v47, v97, v45 op_sel:[0,1,0]
	v_pk_fma_f16 v101, v48, v96, v101 op_sel_hi:[1,0,1]
	v_pk_fma_f16 v103, v48, v96, v94 op_sel:[0,1,0]
	v_pk_fma_f16 v98, v48, v97, v98 op_sel_hi:[1,0,1]
	v_pk_fma_f16 v104, v48, v97, v46 op_sel:[0,1,0]
	ds_load_2addr_b64 v[45:48], v44 offset0:128 offset1:160
	;; [unrolled: 19-line block ×3, first 2 shown]
	ds_load_b128 v[94:97], v67 offset:880
	s_waitcnt lgkmcnt(0)
	v_pk_fma_f16 v49, v44, v94, v49 op_sel_hi:[1,0,1]
	v_pk_fma_f16 v99, v44, v94, v99 op_sel:[0,1,0]
	v_pk_fma_f16 v100, v44, v95, v100 op_sel_hi:[1,0,1]
	v_pk_fma_f16 v44, v44, v95, v102 op_sel:[0,1,0]
	;; [unrolled: 2-line block ×8, first 2 shown]
	ds_load_2addr_b64 v[44:47], v42 offset1:32
	ds_load_b128 v[94:97], v67 offset:896
	s_waitcnt lgkmcnt(0)
	v_pk_fma_f16 v48, v44, v94, v48 op_sel_hi:[1,0,1]
	v_pk_fma_f16 v49, v44, v94, v49 op_sel:[0,1,0]
	v_pk_fma_f16 v99, v44, v95, v99 op_sel_hi:[1,0,1]
	v_pk_fma_f16 v44, v44, v95, v100 op_sel:[0,1,0]
	v_pk_fma_f16 v100, v45, v94, v101 op_sel_hi:[1,0,1]
	v_pk_fma_f16 v94, v45, v94, v102 op_sel:[0,1,0]
	v_pk_fma_f16 v98, v45, v95, v98 op_sel_hi:[1,0,1]
	v_pk_fma_f16 v45, v45, v95, v103 op_sel:[0,1,0]
	v_pk_fma_f16 v48, v46, v96, v48 op_sel_hi:[1,0,1]
	v_pk_fma_f16 v49, v46, v96, v49 op_sel:[0,1,0]
	v_pk_fma_f16 v99, v46, v97, v99 op_sel_hi:[1,0,1]
	v_pk_fma_f16 v101, v46, v97, v44 op_sel:[0,1,0]
	v_pk_fma_f16 v100, v47, v96, v100 op_sel_hi:[1,0,1]
	v_pk_fma_f16 v102, v47, v96, v94 op_sel:[0,1,0]
	v_pk_fma_f16 v98, v47, v97, v98 op_sel_hi:[1,0,1]
	v_pk_fma_f16 v103, v47, v97, v45 op_sel:[0,1,0]
	ds_load_2addr_b64 v[44:47], v42 offset0:64 offset1:96
	ds_load_b128 v[94:97], v67 offset:912
	s_waitcnt lgkmcnt(0)
	v_pk_fma_f16 v48, v44, v94, v48 op_sel_hi:[1,0,1]
	v_pk_fma_f16 v49, v44, v94, v49 op_sel:[0,1,0]
	v_pk_fma_f16 v99, v44, v95, v99 op_sel_hi:[1,0,1]
	v_pk_fma_f16 v44, v44, v95, v101 op_sel:[0,1,0]
	v_pk_fma_f16 v100, v45, v94, v100 op_sel_hi:[1,0,1]
	v_pk_fma_f16 v94, v45, v94, v102 op_sel:[0,1,0]
	v_pk_fma_f16 v98, v45, v95, v98 op_sel_hi:[1,0,1]
	v_pk_fma_f16 v45, v45, v95, v103 op_sel:[0,1,0]
	v_pk_fma_f16 v48, v46, v96, v48 op_sel_hi:[1,0,1]
	v_pk_fma_f16 v49, v46, v96, v49 op_sel:[0,1,0]
	v_pk_fma_f16 v99, v46, v97, v99 op_sel_hi:[1,0,1]
	v_pk_fma_f16 v101, v46, v97, v44 op_sel:[0,1,0]
	v_pk_fma_f16 v100, v47, v96, v100 op_sel_hi:[1,0,1]
	v_pk_fma_f16 v102, v47, v96, v94 op_sel:[0,1,0]
	v_pk_fma_f16 v98, v47, v97, v98 op_sel_hi:[1,0,1]
	v_pk_fma_f16 v103, v47, v97, v45 op_sel:[0,1,0]
	ds_load_2addr_b64 v[44:47], v42 offset0:128 offset1:160
	ds_load_b128 v[94:97], v67 offset:928
	s_waitcnt lgkmcnt(0)
	v_pk_fma_f16 v48, v44, v94, v48 op_sel_hi:[1,0,1]
	v_pk_fma_f16 v49, v44, v94, v49 op_sel:[0,1,0]
	v_pk_fma_f16 v99, v44, v95, v99 op_sel_hi:[1,0,1]
	v_pk_fma_f16 v44, v44, v95, v101 op_sel:[0,1,0]
	v_pk_fma_f16 v100, v45, v94, v100 op_sel_hi:[1,0,1]
	v_pk_fma_f16 v94, v45, v94, v102 op_sel:[0,1,0]
	v_pk_fma_f16 v98, v45, v95, v98 op_sel_hi:[1,0,1]
	v_pk_fma_f16 v45, v45, v95, v103 op_sel:[0,1,0]
	v_pk_fma_f16 v48, v46, v96, v48 op_sel_hi:[1,0,1]
	v_pk_fma_f16 v49, v46, v96, v49 op_sel:[0,1,0]
	v_pk_fma_f16 v99, v46, v97, v99 op_sel_hi:[1,0,1]
	v_pk_fma_f16 v101, v46, v97, v44 op_sel:[0,1,0]
	v_pk_fma_f16 v100, v47, v96, v100 op_sel_hi:[1,0,1]
	v_pk_fma_f16 v102, v47, v96, v94 op_sel:[0,1,0]
	v_pk_fma_f16 v98, v47, v97, v98 op_sel_hi:[1,0,1]
	v_pk_fma_f16 v103, v47, v97, v45 op_sel:[0,1,0]
	ds_load_2addr_b64 v[44:47], v42 offset0:192 offset1:224
	ds_load_b128 v[94:97], v67 offset:944
	s_waitcnt lgkmcnt(0)
	v_pk_fma_f16 v42, v44, v94, v48 op_sel_hi:[1,0,1]
	v_pk_fma_f16 v48, v44, v94, v49 op_sel:[0,1,0]
	v_pk_fma_f16 v49, v44, v95, v99 op_sel_hi:[1,0,1]
	v_pk_fma_f16 v44, v44, v95, v101 op_sel:[0,1,0]
	;; [unrolled: 2-line block ×8, first 2 shown]
	ds_load_2addr_b64 v[44:47], v41 offset1:32
	ds_load_b128 v[94:97], v67 offset:960
	s_waitcnt lgkmcnt(0)
	v_pk_fma_f16 v42, v44, v94, v42 op_sel_hi:[1,0,1]
	v_pk_fma_f16 v48, v44, v94, v48 op_sel:[0,1,0]
	v_pk_fma_f16 v49, v44, v95, v49 op_sel_hi:[1,0,1]
	v_pk_fma_f16 v44, v44, v95, v100 op_sel:[0,1,0]
	v_pk_fma_f16 v99, v45, v94, v99 op_sel_hi:[1,0,1]
	v_pk_fma_f16 v94, v45, v94, v101 op_sel:[0,1,0]
	v_pk_fma_f16 v98, v45, v95, v98 op_sel_hi:[1,0,1]
	v_pk_fma_f16 v45, v45, v95, v102 op_sel:[0,1,0]
	v_pk_fma_f16 v42, v46, v96, v42 op_sel_hi:[1,0,1]
	v_pk_fma_f16 v48, v46, v96, v48 op_sel:[0,1,0]
	v_pk_fma_f16 v49, v46, v97, v49 op_sel_hi:[1,0,1]
	v_pk_fma_f16 v100, v46, v97, v44 op_sel:[0,1,0]
	v_pk_fma_f16 v99, v47, v96, v99 op_sel_hi:[1,0,1]
	v_pk_fma_f16 v101, v47, v96, v94 op_sel:[0,1,0]
	v_pk_fma_f16 v98, v47, v97, v98 op_sel_hi:[1,0,1]
	v_pk_fma_f16 v102, v47, v97, v45 op_sel:[0,1,0]
	ds_load_2addr_b64 v[44:47], v41 offset0:64 offset1:96
	ds_load_b128 v[94:97], v67 offset:976
	s_waitcnt lgkmcnt(0)
	v_pk_fma_f16 v42, v44, v94, v42 op_sel_hi:[1,0,1]
	v_pk_fma_f16 v48, v44, v94, v48 op_sel:[0,1,0]
	v_pk_fma_f16 v49, v44, v95, v49 op_sel_hi:[1,0,1]
	v_pk_fma_f16 v44, v44, v95, v100 op_sel:[0,1,0]
	v_pk_fma_f16 v99, v45, v94, v99 op_sel_hi:[1,0,1]
	v_pk_fma_f16 v94, v45, v94, v101 op_sel:[0,1,0]
	v_pk_fma_f16 v98, v45, v95, v98 op_sel_hi:[1,0,1]
	v_pk_fma_f16 v45, v45, v95, v102 op_sel:[0,1,0]
	v_pk_fma_f16 v42, v46, v96, v42 op_sel_hi:[1,0,1]
	v_pk_fma_f16 v48, v46, v96, v48 op_sel:[0,1,0]
	v_pk_fma_f16 v49, v46, v97, v49 op_sel_hi:[1,0,1]
	v_pk_fma_f16 v100, v46, v97, v44 op_sel:[0,1,0]
	v_pk_fma_f16 v99, v47, v96, v99 op_sel_hi:[1,0,1]
	v_pk_fma_f16 v101, v47, v96, v94 op_sel:[0,1,0]
	v_pk_fma_f16 v98, v47, v97, v98 op_sel_hi:[1,0,1]
	v_pk_fma_f16 v102, v47, v97, v45 op_sel:[0,1,0]
	ds_load_2addr_b64 v[44:47], v41 offset0:128 offset1:160
	;; [unrolled: 19-line block ×3, first 2 shown]
	ds_load_b128 v[98:101], v67 offset:1008
	s_waitcnt lgkmcnt(0)
	s_barrier
	buffer_gl0_inv
	s_load_b32 s4, s[16:17], 0x4
	v_pk_fma_f16 v41, v94, v98, v42 op_sel_hi:[1,0,1]
	v_pk_fma_f16 v42, v94, v98, v48 op_sel:[0,1,0]
	v_pk_fma_f16 v47, v94, v99, v49 op_sel_hi:[1,0,1]
	v_pk_fma_f16 v49, v94, v99, v44 op_sel:[0,1,0]
	;; [unrolled: 2-line block ×4, first 2 shown]
	s_waitcnt lgkmcnt(0)
	s_lshl_b32 s4, s4, 7
	v_pk_fma_f16 v48, v96, v100, v41 op_sel_hi:[1,0,1]
	v_pk_fma_f16 v46, v96, v100, v42 op_sel:[0,1,0]
	v_pk_fma_f16 v44, v96, v101, v47 op_sel_hi:[1,0,1]
	v_pk_fma_f16 v42, v96, v101, v49 op_sel:[0,1,0]
	;; [unrolled: 2-line block ×4, first 2 shown]
	s_add_i32 s12, s4, s12
	s_delay_alu instid0(SALU_CYCLE_1)
	s_cmp_lt_i32 s12, s20
	s_cbranch_scc0 .LBB56_44
; %bb.42:                               ;   in Loop: Header=BB56_8 Depth=1
	v_dual_mov_b32 v80, v1 :: v_dual_mov_b32 v81, v2
	v_dual_mov_b32 v79, v3 :: v_dual_mov_b32 v78, v4
	;; [unrolled: 1-line block ×4, first 2 shown]
	s_branch .LBB56_8
.LBB56_43:
	s_mov_b32 s45, s44
	s_mov_b32 s46, s44
	s_mov_b32 s47, s44
	v_dual_mov_b32 v1, s44 :: v_dual_mov_b32 v2, s45
	v_dual_mov_b32 v3, s46 :: v_dual_mov_b32 v4, s47
	;; [unrolled: 1-line block ×7, first 2 shown]
.LBB56_44:
	s_cmp_gt_i32 s42, s12
	s_cbranch_scc1 .LBB56_46
; %bb.45:
	v_mbcnt_lo_u32_b32 v5, -1, 0
	v_mov_b32_e32 v57, 32
	s_delay_alu instid0(VALU_DEP_2)
	v_xor_b32_e32 v58, 16, v5
	v_xor_b32_e32 v20, 8, v5
	;; [unrolled: 1-line block ×5, first 2 shown]
	s_cbranch_execz .LBB56_47
	s_branch .LBB56_127
.LBB56_46:
                                        ; implicit-def: $vgpr5
                                        ; implicit-def: $vgpr57
                                        ; implicit-def: $vgpr58
                                        ; implicit-def: $vgpr20
                                        ; implicit-def: $vgpr19
                                        ; implicit-def: $vgpr18
                                        ; implicit-def: $vgpr17
.LBB56_47:
	s_load_b64 s[0:1], s[0:1], 0x4
	v_dual_mov_b32 v17, 0 :: v_dual_add_nc_u32 v56, v56, v31
	v_bfe_u32 v0, v0, 20, 10
	s_mul_hi_i32 s5, s12, s23
	s_mul_i32 s4, s12, s23
	s_delay_alu instid0(VALU_DEP_2)
	v_mul_lo_u32 v7, s23, v56
	s_lshl_b64 s[4:5], s[4:5], 2
	s_sub_i32 s9, s42, s12
	v_lshlrev_b32_e32 v55, 2, v55
	s_mov_b64 s[6:7], src_shared_base
	v_dual_mov_b32 v63, 0 :: v_dual_add_nc_u32 v14, 32, v56
	v_mov_b32_e32 v59, 0
	s_delay_alu instid0(VALU_DEP_4) | instskip(SKIP_3) | instid1(VALU_DEP_4)
	v_ashrrev_i32_e32 v8, 31, v7
	v_mov_b32_e32 v64, 0
	v_dual_mov_b32 v66, 0 :: v_dual_mov_b32 v65, 0
	v_mov_b32_e32 v60, 0
	v_lshlrev_b64 v[5:6], 2, v[7:8]
	s_waitcnt lgkmcnt(0)
	s_lshr_b32 s0, s0, 16
	v_mul_u32_u24_e32 v10, s1, v38
	s_mul_i32 s0, s0, s1
	s_add_u32 s1, s19, s4
	v_mul_lo_u32 v9, s0, v34
	s_addc_u32 s5, s26, s5
	v_add_co_u32 v5, vcc_lo, s1, v5
	v_add_co_ci_u32_e32 v6, vcc_lo, s5, v6, vcc_lo
	v_cmp_gt_i32_e64 s4, s9, v56
	s_delay_alu instid0(VALU_DEP_3) | instskip(SKIP_1) | instid1(VALU_DEP_4)
	v_add_co_u32 v57, vcc_lo, v5, v55
	v_add3_u32 v0, v9, v10, v0
	v_add_co_ci_u32_e32 v58, vcc_lo, 0, v6, vcc_lo
	s_lshl_b32 s6, s23, 5
	s_cmp_lg_u64 s[40:41], 0
	s_delay_alu instid0(VALU_DEP_2) | instskip(NEXT) | instid1(VALU_DEP_2)
	v_lshlrev_b32_e32 v0, 4, v0
	v_cndmask_b32_e64 v9, s7, v58, s4
	v_dual_mov_b32 v62, 0 :: v_dual_add_nc_u32 v15, s6, v7
	v_mov_b32_e32 v61, 0
	s_delay_alu instid0(VALU_DEP_4)
	v_add_nc_u32_e32 v5, 0x8800, v0
	v_add_nc_u32_e32 v6, 0x8804, v0
	ds_store_b32 v0, v17 offset:34816
	ds_store_2addr_b32 v6, v17, v17 offset1:1
	ds_store_b32 v0, v17 offset:34828
	v_cndmask_b32_e64 v8, v5, v57, s4
	v_ashrrev_i32_e32 v16, 31, v15
	flat_load_b128 v[10:13], v[8:9]
	v_lshlrev_b64 v[7:8], 2, v[15:16]
	v_add_nc_u32_e32 v15, s6, v15
	s_delay_alu instid0(VALU_DEP_2) | instskip(NEXT) | instid1(VALU_DEP_3)
	v_add_co_u32 v7, vcc_lo, s1, v7
	v_add_co_ci_u32_e32 v9, vcc_lo, s5, v8, vcc_lo
	s_delay_alu instid0(VALU_DEP_3) | instskip(NEXT) | instid1(VALU_DEP_3)
	v_ashrrev_i32_e32 v16, 31, v15
	v_add_co_u32 v8, vcc_lo, v7, v55
	s_delay_alu instid0(VALU_DEP_3) | instskip(SKIP_1) | instid1(VALU_DEP_2)
	v_add_co_ci_u32_e32 v9, vcc_lo, 0, v9, vcc_lo
	v_cmp_gt_i32_e32 vcc_lo, s9, v14
	v_cndmask_b32_e32 v19, s7, v9, vcc_lo
	s_delay_alu instid0(VALU_DEP_4)
	v_cndmask_b32_e32 v18, v5, v8, vcc_lo
	v_mad_u32_u24 v7, 0x90, v56, v55
	ds_store_b32 v0, v17 offset:34816
	ds_store_2addr_b32 v6, v17, v17 offset1:1
	ds_store_b32 v0, v17 offset:34828
	s_waitcnt vmcnt(0) lgkmcnt(3)
	ds_store_b128 v7, v[10:13]
	flat_load_b128 v[11:14], v[18:19]
	v_lshlrev_b64 v[18:19], 2, v[15:16]
	v_add_nc_u32_e32 v15, s6, v15
	ds_store_b32 v0, v17 offset:34816
	ds_store_2addr_b32 v6, v17, v17 offset1:1
	ds_store_b32 v0, v17 offset:34828
	s_waitcnt vmcnt(0) lgkmcnt(3)
	ds_store_b128 v7, v[11:14] offset:4608
	v_add_co_u32 v10, s0, s1, v18
	s_delay_alu instid0(VALU_DEP_1) | instskip(SKIP_1) | instid1(VALU_DEP_3)
	v_add_co_ci_u32_e64 v16, s0, s5, v19, s0
	v_add_nc_u32_e32 v19, 64, v56
	v_add_co_u32 v10, s0, v10, v55
	s_delay_alu instid0(VALU_DEP_1) | instskip(NEXT) | instid1(VALU_DEP_3)
	v_add_co_ci_u32_e64 v18, s0, 0, v16, s0
	v_cmp_gt_i32_e64 s0, s9, v19
	v_ashrrev_i32_e32 v16, 31, v15
	v_add_nc_u32_e32 v56, 0x60, v56
	s_delay_alu instid0(VALU_DEP_3) | instskip(SKIP_1) | instid1(VALU_DEP_4)
	v_cndmask_b32_e64 v20, s7, v18, s0
	v_cndmask_b32_e64 v19, v5, v10, s0
	v_lshlrev_b64 v[15:16], 2, v[15:16]
	flat_load_b128 v[11:14], v[19:20]
	ds_store_b32 v0, v17 offset:34816
	ds_store_2addr_b32 v6, v17, v17 offset1:1
	ds_store_b32 v0, v17 offset:34828
	s_waitcnt vmcnt(0) lgkmcnt(3)
	ds_store_b128 v7, v[11:14] offset:9216
	v_add_co_u32 v15, s1, s1, v15
	s_delay_alu instid0(VALU_DEP_1) | instskip(SKIP_1) | instid1(VALU_DEP_3)
	v_add_co_ci_u32_e64 v16, s1, s5, v16, s1
	v_add_co_u32 v57, s5, 0x80, v57
	v_add_co_u32 v19, s1, v15, v55
	s_delay_alu instid0(VALU_DEP_1) | instskip(SKIP_3) | instid1(VALU_DEP_3)
	v_add_co_ci_u32_e64 v20, s1, 0, v16, s1
	v_cmp_gt_i32_e64 s1, s9, v56
	v_dual_mov_b32 v56, 0 :: v_dual_mov_b32 v55, 0
	v_add_co_ci_u32_e64 v58, s5, 0, v58, s5
	v_cndmask_b32_e64 v16, s7, v20, s1
	v_cndmask_b32_e64 v15, v5, v19, s1
	v_cndmask_b32_e64 v57, v5, v57, s4
	s_delay_alu instid0(VALU_DEP_4)
	v_cndmask_b32_e64 v58, s7, v58, s4
	v_add_co_u32 v8, s4, 0x80, v8
	flat_load_b128 v[11:14], v[15:16]
	v_dual_mov_b32 v16, 0 :: v_dual_mov_b32 v15, 0
	v_add_co_ci_u32_e64 v9, s4, 0, v9, s4
	v_cndmask_b32_e32 v8, v5, v8, vcc_lo
	s_delay_alu instid0(VALU_DEP_2)
	v_cndmask_b32_e32 v9, s7, v9, vcc_lo
	s_waitcnt vmcnt(0) lgkmcnt(0)
	ds_store_b128 v7, v[11:14] offset:13824
	s_waitcnt lgkmcnt(0)
	s_barrier
	buffer_gl0_inv
	ds_load_b128 v[67:70], v54
	ds_load_b128 v[71:74], v36 offset:26624
	ds_load_b128 v[75:78], v36 offset:26880
	ds_load_b128 v[79:82], v36 offset:27136
	ds_load_b128 v[83:86], v36 offset:27392
	ds_load_b128 v[87:90], v54 offset:4608
	ds_load_b128 v[91:94], v54 offset:9216
	ds_load_b128 v[95:98], v54 offset:13824
	s_waitcnt lgkmcnt(6)
	;;#ASMSTART
	v_dot2_f32_f16 v66, v67, v71, v66
	;;#ASMEND
	;;#ASMSTART
	v_dot2_f32_f16 v66, v68, v72, v66
	;;#ASMEND
	;;#ASMSTART
	v_dot2_f32_f16 v66, v69, v73, v66
	;;#ASMEND
	;;#ASMSTART
	v_dot2_f32_f16 v66, v70, v74, v66
	;;#ASMEND
	s_waitcnt lgkmcnt(5)
	;;#ASMSTART
	v_dot2_f32_f16 v65, v67, v75, v65
	;;#ASMEND
	;;#ASMSTART
	v_dot2_f32_f16 v65, v68, v76, v65
	;;#ASMEND
	;;#ASMSTART
	v_dot2_f32_f16 v65, v69, v77, v65
	;;#ASMEND
	;;#ASMSTART
	v_dot2_f32_f16 v65, v70, v78, v65
	;;#ASMEND
	;; [unrolled: 13-line block ×5, first 2 shown]
	;;#ASMSTART
	v_dot2_f32_f16 v61, v87, v75, v61
	;;#ASMEND
	;;#ASMSTART
	v_dot2_f32_f16 v61, v88, v76, v61
	;;#ASMEND
	;; [unrolled: 3-line block ×12, first 2 shown]
	s_waitcnt lgkmcnt(1)
	;;#ASMSTART
	v_dot2_f32_f16 v16, v91, v71, v16
	;;#ASMEND
	;;#ASMSTART
	v_dot2_f32_f16 v16, v92, v72, v16
	;;#ASMEND
	;; [unrolled: 3-line block ×3, first 2 shown]
	v_mov_b32_e32 v14, 0
	;;#ASMSTART
	v_dot2_f32_f16 v16, v94, v74, v16
	;;#ASMEND
	;;#ASMSTART
	v_dot2_f32_f16 v55, v91, v75, v55
	;;#ASMEND
	;; [unrolled: 3-line block ×8, first 2 shown]
	v_mov_b32_e32 v12, 0
	;;#ASMSTART
	v_dot2_f32_f16 v56, v94, v82, v56
	;;#ASMEND
	;;#ASMSTART
	v_dot2_f32_f16 v15, v91, v83, v15
	;;#ASMEND
	;; [unrolled: 3-line block ×3, first 2 shown]
	v_mov_b32_e32 v13, 0
	;;#ASMSTART
	v_dot2_f32_f16 v15, v93, v85, v15
	;;#ASMEND
	;;#ASMSTART
	v_dot2_f32_f16 v15, v94, v86, v15
	;;#ASMEND
	s_waitcnt lgkmcnt(0)
	;;#ASMSTART
	v_dot2_f32_f16 v13, v95, v71, v13
	;;#ASMEND
	;;#ASMSTART
	v_dot2_f32_f16 v13, v96, v72, v13
	;;#ASMEND
	;; [unrolled: 3-line block ×6, first 2 shown]
	v_mov_b32_e32 v11, 0
	;;#ASMSTART
	v_dot2_f32_f16 v14, v97, v77, v14
	;;#ASMEND
	;;#ASMSTART
	v_dot2_f32_f16 v14, v98, v78, v14
	;;#ASMEND
	;; [unrolled: 3-line block ×10, first 2 shown]
	ds_load_b128 v[67:70], v54 offset:16
	ds_load_b128 v[71:74], v36 offset:26640
	ds_load_b128 v[75:78], v36 offset:26896
	ds_load_b128 v[79:82], v36 offset:27152
	ds_load_b128 v[83:86], v36 offset:27408
	ds_load_b128 v[87:90], v54 offset:4624
	ds_load_b128 v[91:94], v54 offset:9232
	ds_load_b128 v[95:98], v54 offset:13840
	s_waitcnt lgkmcnt(6)
	;;#ASMSTART
	v_dot2_f32_f16 v66, v67, v71, v66
	;;#ASMEND
	;;#ASMSTART
	v_dot2_f32_f16 v66, v68, v72, v66
	;;#ASMEND
	;;#ASMSTART
	v_dot2_f32_f16 v66, v69, v73, v66
	;;#ASMEND
	;;#ASMSTART
	v_dot2_f32_f16 v66, v70, v74, v66
	;;#ASMEND
	s_waitcnt lgkmcnt(5)
	;;#ASMSTART
	v_dot2_f32_f16 v65, v67, v75, v65
	;;#ASMEND
	;;#ASMSTART
	v_dot2_f32_f16 v65, v68, v76, v65
	;;#ASMEND
	;;#ASMSTART
	v_dot2_f32_f16 v65, v69, v77, v65
	;;#ASMEND
	;;#ASMSTART
	v_dot2_f32_f16 v65, v70, v78, v65
	;;#ASMEND
	;; [unrolled: 13-line block ×5, first 2 shown]
	;;#ASMSTART
	v_dot2_f32_f16 v61, v87, v75, v61
	;;#ASMEND
	;;#ASMSTART
	v_dot2_f32_f16 v61, v88, v76, v61
	;;#ASMEND
	;; [unrolled: 3-line block ×12, first 2 shown]
	s_waitcnt lgkmcnt(1)
	;;#ASMSTART
	v_dot2_f32_f16 v16, v91, v71, v16
	;;#ASMEND
	;;#ASMSTART
	v_dot2_f32_f16 v16, v92, v72, v16
	;;#ASMEND
	;; [unrolled: 3-line block ×16, first 2 shown]
	s_waitcnt lgkmcnt(0)
	;;#ASMSTART
	v_dot2_f32_f16 v13, v95, v71, v13
	;;#ASMEND
	;;#ASMSTART
	v_dot2_f32_f16 v13, v96, v72, v13
	;;#ASMEND
	;;#ASMSTART
	v_dot2_f32_f16 v13, v97, v73, v13
	;;#ASMEND
	;;#ASMSTART
	v_dot2_f32_f16 v13, v98, v74, v13
	;;#ASMEND
	;;#ASMSTART
	v_dot2_f32_f16 v14, v95, v75, v14
	;;#ASMEND
	;;#ASMSTART
	v_dot2_f32_f16 v14, v96, v76, v14
	;;#ASMEND
	;;#ASMSTART
	v_dot2_f32_f16 v14, v97, v77, v14
	;;#ASMEND
	;;#ASMSTART
	v_dot2_f32_f16 v14, v98, v78, v14
	;;#ASMEND
	;;#ASMSTART
	v_dot2_f32_f16 v11, v95, v79, v11
	;;#ASMEND
	;;#ASMSTART
	v_dot2_f32_f16 v11, v96, v80, v11
	;;#ASMEND
	;;#ASMSTART
	v_dot2_f32_f16 v11, v97, v81, v11
	;;#ASMEND
	;;#ASMSTART
	v_dot2_f32_f16 v11, v98, v82, v11
	;;#ASMEND
	;;#ASMSTART
	v_dot2_f32_f16 v12, v95, v83, v12
	;;#ASMEND
	;;#ASMSTART
	v_dot2_f32_f16 v12, v96, v84, v12
	;;#ASMEND
	;;#ASMSTART
	v_dot2_f32_f16 v12, v97, v85, v12
	;;#ASMEND
	;;#ASMSTART
	v_dot2_f32_f16 v12, v98, v86, v12
	;;#ASMEND
	ds_load_b128 v[67:70], v54 offset:32
	ds_load_b128 v[71:74], v36 offset:26656
	;; [unrolled: 1-line block ×8, first 2 shown]
	s_waitcnt lgkmcnt(6)
	;;#ASMSTART
	v_dot2_f32_f16 v66, v67, v71, v66
	;;#ASMEND
	;;#ASMSTART
	v_dot2_f32_f16 v66, v68, v72, v66
	;;#ASMEND
	;;#ASMSTART
	v_dot2_f32_f16 v66, v69, v73, v66
	;;#ASMEND
	;;#ASMSTART
	v_dot2_f32_f16 v66, v70, v74, v66
	;;#ASMEND
	s_waitcnt lgkmcnt(5)
	;;#ASMSTART
	v_dot2_f32_f16 v65, v67, v75, v65
	;;#ASMEND
	;;#ASMSTART
	v_dot2_f32_f16 v65, v68, v76, v65
	;;#ASMEND
	;;#ASMSTART
	v_dot2_f32_f16 v65, v69, v77, v65
	;;#ASMEND
	;;#ASMSTART
	v_dot2_f32_f16 v65, v70, v78, v65
	;;#ASMEND
	;; [unrolled: 13-line block ×5, first 2 shown]
	;;#ASMSTART
	v_dot2_f32_f16 v61, v87, v75, v61
	;;#ASMEND
	;;#ASMSTART
	v_dot2_f32_f16 v61, v88, v76, v61
	;;#ASMEND
	;; [unrolled: 3-line block ×12, first 2 shown]
	s_waitcnt lgkmcnt(1)
	;;#ASMSTART
	v_dot2_f32_f16 v16, v91, v71, v16
	;;#ASMEND
	;;#ASMSTART
	v_dot2_f32_f16 v16, v92, v72, v16
	;;#ASMEND
	;; [unrolled: 3-line block ×16, first 2 shown]
	s_waitcnt lgkmcnt(0)
	;;#ASMSTART
	v_dot2_f32_f16 v13, v95, v71, v13
	;;#ASMEND
	;;#ASMSTART
	v_dot2_f32_f16 v13, v96, v72, v13
	;;#ASMEND
	;; [unrolled: 3-line block ×16, first 2 shown]
	ds_load_b128 v[67:70], v54 offset:48
	ds_load_b128 v[71:74], v36 offset:26672
	;; [unrolled: 1-line block ×8, first 2 shown]
	s_waitcnt lgkmcnt(6)
	;;#ASMSTART
	v_dot2_f32_f16 v66, v67, v71, v66
	;;#ASMEND
	;;#ASMSTART
	v_dot2_f32_f16 v66, v68, v72, v66
	;;#ASMEND
	;;#ASMSTART
	v_dot2_f32_f16 v66, v69, v73, v66
	;;#ASMEND
	;;#ASMSTART
	v_dot2_f32_f16 v66, v70, v74, v66
	;;#ASMEND
	s_waitcnt lgkmcnt(5)
	;;#ASMSTART
	v_dot2_f32_f16 v65, v67, v75, v65
	;;#ASMEND
	;;#ASMSTART
	v_dot2_f32_f16 v65, v68, v76, v65
	;;#ASMEND
	;;#ASMSTART
	v_dot2_f32_f16 v65, v69, v77, v65
	;;#ASMEND
	;;#ASMSTART
	v_dot2_f32_f16 v65, v70, v78, v65
	;;#ASMEND
	;; [unrolled: 13-line block ×5, first 2 shown]
	;;#ASMSTART
	v_dot2_f32_f16 v61, v87, v75, v61
	;;#ASMEND
	;;#ASMSTART
	v_dot2_f32_f16 v61, v88, v76, v61
	;;#ASMEND
	;; [unrolled: 3-line block ×12, first 2 shown]
	s_waitcnt lgkmcnt(1)
	;;#ASMSTART
	v_dot2_f32_f16 v16, v91, v71, v16
	;;#ASMEND
	;;#ASMSTART
	v_dot2_f32_f16 v16, v92, v72, v16
	;;#ASMEND
	;; [unrolled: 3-line block ×16, first 2 shown]
	s_waitcnt lgkmcnt(0)
	;;#ASMSTART
	v_dot2_f32_f16 v13, v95, v71, v13
	;;#ASMEND
	;;#ASMSTART
	v_dot2_f32_f16 v13, v96, v72, v13
	;;#ASMEND
	;; [unrolled: 3-line block ×16, first 2 shown]
	ds_load_b128 v[67:70], v54 offset:64
	ds_load_b128 v[71:74], v36 offset:26688
	;; [unrolled: 1-line block ×8, first 2 shown]
	s_waitcnt lgkmcnt(6)
	;;#ASMSTART
	v_dot2_f32_f16 v66, v67, v71, v66
	;;#ASMEND
	;;#ASMSTART
	v_dot2_f32_f16 v66, v68, v72, v66
	;;#ASMEND
	;;#ASMSTART
	v_dot2_f32_f16 v66, v69, v73, v66
	;;#ASMEND
	;;#ASMSTART
	v_dot2_f32_f16 v66, v70, v74, v66
	;;#ASMEND
	s_waitcnt lgkmcnt(5)
	;;#ASMSTART
	v_dot2_f32_f16 v65, v67, v75, v65
	;;#ASMEND
	;;#ASMSTART
	v_dot2_f32_f16 v65, v68, v76, v65
	;;#ASMEND
	;;#ASMSTART
	v_dot2_f32_f16 v65, v69, v77, v65
	;;#ASMEND
	;;#ASMSTART
	v_dot2_f32_f16 v65, v70, v78, v65
	;;#ASMEND
	;; [unrolled: 13-line block ×5, first 2 shown]
	;;#ASMSTART
	v_dot2_f32_f16 v61, v87, v75, v61
	;;#ASMEND
	;;#ASMSTART
	v_dot2_f32_f16 v61, v88, v76, v61
	;;#ASMEND
	;; [unrolled: 3-line block ×12, first 2 shown]
	s_waitcnt lgkmcnt(1)
	;;#ASMSTART
	v_dot2_f32_f16 v16, v91, v71, v16
	;;#ASMEND
	;;#ASMSTART
	v_dot2_f32_f16 v16, v92, v72, v16
	;;#ASMEND
	;; [unrolled: 3-line block ×16, first 2 shown]
	s_waitcnt lgkmcnt(0)
	;;#ASMSTART
	v_dot2_f32_f16 v13, v95, v71, v13
	;;#ASMEND
	;;#ASMSTART
	v_dot2_f32_f16 v13, v96, v72, v13
	;;#ASMEND
	;; [unrolled: 3-line block ×16, first 2 shown]
	ds_load_b128 v[67:70], v54 offset:80
	ds_load_b128 v[71:74], v36 offset:26704
	;; [unrolled: 1-line block ×8, first 2 shown]
	s_waitcnt lgkmcnt(6)
	;;#ASMSTART
	v_dot2_f32_f16 v66, v67, v71, v66
	;;#ASMEND
	;;#ASMSTART
	v_dot2_f32_f16 v66, v68, v72, v66
	;;#ASMEND
	;;#ASMSTART
	v_dot2_f32_f16 v66, v69, v73, v66
	;;#ASMEND
	;;#ASMSTART
	v_dot2_f32_f16 v66, v70, v74, v66
	;;#ASMEND
	s_waitcnt lgkmcnt(5)
	;;#ASMSTART
	v_dot2_f32_f16 v65, v67, v75, v65
	;;#ASMEND
	;;#ASMSTART
	v_dot2_f32_f16 v65, v68, v76, v65
	;;#ASMEND
	;;#ASMSTART
	v_dot2_f32_f16 v65, v69, v77, v65
	;;#ASMEND
	;;#ASMSTART
	v_dot2_f32_f16 v65, v70, v78, v65
	;;#ASMEND
	s_waitcnt lgkmcnt(4)
	;;#ASMSTART
	v_dot2_f32_f16 v64, v67, v79, v64
	;;#ASMEND
	;;#ASMSTART
	v_dot2_f32_f16 v64, v68, v80, v64
	;;#ASMEND
	;;#ASMSTART
	v_dot2_f32_f16 v64, v69, v81, v64
	;;#ASMEND
	;;#ASMSTART
	v_dot2_f32_f16 v64, v70, v82, v64
	;;#ASMEND
	s_waitcnt lgkmcnt(3)
	;;#ASMSTART
	v_dot2_f32_f16 v63, v67, v83, v63
	;;#ASMEND
	;;#ASMSTART
	v_dot2_f32_f16 v63, v68, v84, v63
	;;#ASMEND
	;;#ASMSTART
	v_dot2_f32_f16 v63, v69, v85, v63
	;;#ASMEND
	;;#ASMSTART
	v_dot2_f32_f16 v63, v70, v86, v63
	;;#ASMEND
	s_waitcnt lgkmcnt(2)
	;;#ASMSTART
	v_dot2_f32_f16 v60, v87, v71, v60
	;;#ASMEND
	;;#ASMSTART
	v_dot2_f32_f16 v60, v88, v72, v60
	;;#ASMEND
	;;#ASMSTART
	v_dot2_f32_f16 v60, v89, v73, v60
	;;#ASMEND
	;;#ASMSTART
	v_dot2_f32_f16 v60, v90, v74, v60
	;;#ASMEND
	;;#ASMSTART
	v_dot2_f32_f16 v61, v87, v75, v61
	;;#ASMEND
	;;#ASMSTART
	v_dot2_f32_f16 v61, v88, v76, v61
	;;#ASMEND
	;; [unrolled: 3-line block ×12, first 2 shown]
	s_waitcnt lgkmcnt(1)
	;;#ASMSTART
	v_dot2_f32_f16 v16, v91, v71, v16
	;;#ASMEND
	;;#ASMSTART
	v_dot2_f32_f16 v16, v92, v72, v16
	;;#ASMEND
	;; [unrolled: 3-line block ×16, first 2 shown]
	s_waitcnt lgkmcnt(0)
	;;#ASMSTART
	v_dot2_f32_f16 v13, v95, v71, v13
	;;#ASMEND
	;;#ASMSTART
	v_dot2_f32_f16 v13, v96, v72, v13
	;;#ASMEND
	;; [unrolled: 3-line block ×16, first 2 shown]
	ds_load_b128 v[67:70], v54 offset:96
	ds_load_b128 v[71:74], v36 offset:26720
	;; [unrolled: 1-line block ×8, first 2 shown]
	s_waitcnt lgkmcnt(6)
	;;#ASMSTART
	v_dot2_f32_f16 v66, v67, v71, v66
	;;#ASMEND
	;;#ASMSTART
	v_dot2_f32_f16 v66, v68, v72, v66
	;;#ASMEND
	;;#ASMSTART
	v_dot2_f32_f16 v66, v69, v73, v66
	;;#ASMEND
	;;#ASMSTART
	v_dot2_f32_f16 v66, v70, v74, v66
	;;#ASMEND
	s_waitcnt lgkmcnt(5)
	;;#ASMSTART
	v_dot2_f32_f16 v65, v67, v75, v65
	;;#ASMEND
	;;#ASMSTART
	v_dot2_f32_f16 v65, v68, v76, v65
	;;#ASMEND
	;;#ASMSTART
	v_dot2_f32_f16 v65, v69, v77, v65
	;;#ASMEND
	;;#ASMSTART
	v_dot2_f32_f16 v65, v70, v78, v65
	;;#ASMEND
	;; [unrolled: 13-line block ×5, first 2 shown]
	;;#ASMSTART
	v_dot2_f32_f16 v61, v87, v75, v61
	;;#ASMEND
	;;#ASMSTART
	v_dot2_f32_f16 v61, v88, v76, v61
	;;#ASMEND
	;; [unrolled: 3-line block ×12, first 2 shown]
	s_waitcnt lgkmcnt(1)
	;;#ASMSTART
	v_dot2_f32_f16 v16, v91, v71, v16
	;;#ASMEND
	;;#ASMSTART
	v_dot2_f32_f16 v16, v92, v72, v16
	;;#ASMEND
	;; [unrolled: 3-line block ×16, first 2 shown]
	s_waitcnt lgkmcnt(0)
	;;#ASMSTART
	v_dot2_f32_f16 v13, v95, v71, v13
	;;#ASMEND
	;;#ASMSTART
	v_dot2_f32_f16 v13, v96, v72, v13
	;;#ASMEND
	;; [unrolled: 3-line block ×16, first 2 shown]
	ds_load_b128 v[67:70], v54 offset:112
	ds_load_b128 v[71:74], v36 offset:26736
	;; [unrolled: 1-line block ×8, first 2 shown]
	s_waitcnt lgkmcnt(6)
	;;#ASMSTART
	v_dot2_f32_f16 v66, v67, v71, v66
	;;#ASMEND
	;;#ASMSTART
	v_dot2_f32_f16 v66, v68, v72, v66
	;;#ASMEND
	;;#ASMSTART
	v_dot2_f32_f16 v66, v69, v73, v66
	;;#ASMEND
	;;#ASMSTART
	v_dot2_f32_f16 v66, v70, v74, v66
	;;#ASMEND
	s_waitcnt lgkmcnt(5)
	;;#ASMSTART
	v_dot2_f32_f16 v65, v67, v75, v65
	;;#ASMEND
	;;#ASMSTART
	v_dot2_f32_f16 v65, v68, v76, v65
	;;#ASMEND
	;;#ASMSTART
	v_dot2_f32_f16 v65, v69, v77, v65
	;;#ASMEND
	;;#ASMSTART
	v_dot2_f32_f16 v65, v70, v78, v65
	;;#ASMEND
	;; [unrolled: 13-line block ×5, first 2 shown]
	;;#ASMSTART
	v_dot2_f32_f16 v61, v87, v75, v61
	;;#ASMEND
	;;#ASMSTART
	v_dot2_f32_f16 v61, v88, v76, v61
	;;#ASMEND
	;; [unrolled: 3-line block ×12, first 2 shown]
	s_waitcnt lgkmcnt(1)
	;;#ASMSTART
	v_dot2_f32_f16 v16, v91, v71, v16
	;;#ASMEND
	;;#ASMSTART
	v_dot2_f32_f16 v16, v92, v72, v16
	;;#ASMEND
	;; [unrolled: 3-line block ×16, first 2 shown]
	s_waitcnt lgkmcnt(0)
	;;#ASMSTART
	v_dot2_f32_f16 v13, v95, v71, v13
	;;#ASMEND
	;;#ASMSTART
	v_dot2_f32_f16 v13, v96, v72, v13
	;;#ASMEND
	;; [unrolled: 3-line block ×16, first 2 shown]
	s_barrier
	buffer_gl0_inv
	ds_store_b32 v0, v17 offset:34816
	ds_store_2addr_b32 v6, v17, v17 offset1:1
	ds_store_b32 v0, v17 offset:34828
	flat_load_b128 v[67:70], v[57:58]
	ds_store_b32 v0, v17 offset:34816
	ds_store_2addr_b32 v6, v17, v17 offset1:1
	ds_store_b32 v0, v17 offset:34828
	s_waitcnt vmcnt(0) lgkmcnt(3)
	ds_store_b128 v7, v[67:70]
	flat_load_b128 v[67:70], v[8:9]
	v_add_co_u32 v8, vcc_lo, 0x80, v10
	v_add_co_ci_u32_e32 v9, vcc_lo, 0, v18, vcc_lo
	ds_store_b32 v0, v17 offset:34816
	ds_store_2addr_b32 v6, v17, v17 offset1:1
	ds_store_b32 v0, v17 offset:34828
	s_waitcnt vmcnt(0) lgkmcnt(3)
	ds_store_b128 v7, v[67:70] offset:4608
	v_cndmask_b32_e64 v9, s7, v9, s0
	v_cndmask_b32_e64 v8, v5, v8, s0
	v_cmp_gt_i32_e64 s0, s9, v34
	flat_load_b128 v[67:70], v[8:9]
	v_add_co_u32 v8, vcc_lo, 0x80, v19
	v_add_co_ci_u32_e32 v9, vcc_lo, 0, v20, vcc_lo
	ds_store_b32 v0, v17 offset:34816
	ds_store_2addr_b32 v6, v17, v17 offset1:1
	ds_store_b32 v0, v17 offset:34828
	s_waitcnt vmcnt(0) lgkmcnt(3)
	ds_store_b128 v7, v[67:70] offset:9216
	v_cndmask_b32_e64 v9, s7, v9, s1
	v_cndmask_b32_e64 v8, v5, v8, s1
	s_cselect_b32 s1, -1, 0
	flat_load_b128 v[67:70], v[8:9]
	v_mad_u64_u32 v[9:10], null, v53, s22, s[12:13]
	v_cndmask_b32_e64 v53, 0, 1, s1
	s_waitcnt vmcnt(0) lgkmcnt(0)
	ds_store_b128 v7, v[67:70] offset:13824
	s_waitcnt lgkmcnt(0)
	s_barrier
	buffer_gl0_inv
	ds_load_b128 v[5:8], v54
	ds_load_b128 v[67:70], v36 offset:26752
	ds_load_b128 v[71:74], v36 offset:27008
	;; [unrolled: 1-line block ×7, first 2 shown]
	s_waitcnt lgkmcnt(6)
	;;#ASMSTART
	v_dot2_f32_f16 v66, v5, v67, v66
	;;#ASMEND
	;;#ASMSTART
	v_dot2_f32_f16 v66, v6, v68, v66
	;;#ASMEND
	;;#ASMSTART
	v_dot2_f32_f16 v66, v7, v69, v66
	;;#ASMEND
	;;#ASMSTART
	v_dot2_f32_f16 v66, v8, v70, v66
	;;#ASMEND
	s_waitcnt lgkmcnt(5)
	;;#ASMSTART
	v_dot2_f32_f16 v65, v5, v71, v65
	;;#ASMEND
	;;#ASMSTART
	v_dot2_f32_f16 v65, v6, v72, v65
	;;#ASMEND
	;;#ASMSTART
	v_dot2_f32_f16 v65, v7, v73, v65
	;;#ASMEND
	;;#ASMSTART
	v_dot2_f32_f16 v65, v8, v74, v65
	;;#ASMEND
	;; [unrolled: 13-line block ×5, first 2 shown]
	;;#ASMSTART
	v_dot2_f32_f16 v61, v83, v71, v61
	;;#ASMEND
	;;#ASMSTART
	v_dot2_f32_f16 v61, v84, v72, v61
	;;#ASMEND
	;; [unrolled: 3-line block ×12, first 2 shown]
	s_waitcnt lgkmcnt(1)
	;;#ASMSTART
	v_dot2_f32_f16 v16, v87, v67, v16
	;;#ASMEND
	;;#ASMSTART
	v_dot2_f32_f16 v16, v88, v68, v16
	;;#ASMEND
	;; [unrolled: 3-line block ×16, first 2 shown]
	s_waitcnt lgkmcnt(0)
	;;#ASMSTART
	v_dot2_f32_f16 v13, v91, v67, v13
	;;#ASMEND
	;;#ASMSTART
	v_dot2_f32_f16 v13, v92, v68, v13
	;;#ASMEND
	;; [unrolled: 3-line block ×16, first 2 shown]
	ds_load_b128 v[5:8], v54 offset:16
	ds_load_b128 v[67:70], v36 offset:26768
	;; [unrolled: 1-line block ×8, first 2 shown]
	s_waitcnt lgkmcnt(6)
	;;#ASMSTART
	v_dot2_f32_f16 v66, v5, v67, v66
	;;#ASMEND
	;;#ASMSTART
	v_dot2_f32_f16 v66, v6, v68, v66
	;;#ASMEND
	;;#ASMSTART
	v_dot2_f32_f16 v66, v7, v69, v66
	;;#ASMEND
	;;#ASMSTART
	v_dot2_f32_f16 v66, v8, v70, v66
	;;#ASMEND
	s_waitcnt lgkmcnt(5)
	;;#ASMSTART
	v_dot2_f32_f16 v65, v5, v71, v65
	;;#ASMEND
	;;#ASMSTART
	v_dot2_f32_f16 v65, v6, v72, v65
	;;#ASMEND
	;;#ASMSTART
	v_dot2_f32_f16 v65, v7, v73, v65
	;;#ASMEND
	;;#ASMSTART
	v_dot2_f32_f16 v65, v8, v74, v65
	;;#ASMEND
	s_waitcnt lgkmcnt(4)
	;;#ASMSTART
	v_dot2_f32_f16 v64, v5, v75, v64
	;;#ASMEND
	;;#ASMSTART
	v_dot2_f32_f16 v64, v6, v76, v64
	;;#ASMEND
	;;#ASMSTART
	v_dot2_f32_f16 v64, v7, v77, v64
	;;#ASMEND
	;;#ASMSTART
	v_dot2_f32_f16 v64, v8, v78, v64
	;;#ASMEND
	s_waitcnt lgkmcnt(3)
	;;#ASMSTART
	v_dot2_f32_f16 v63, v5, v79, v63
	;;#ASMEND
	;;#ASMSTART
	v_dot2_f32_f16 v63, v6, v80, v63
	;;#ASMEND
	;;#ASMSTART
	v_dot2_f32_f16 v63, v7, v81, v63
	;;#ASMEND
	;;#ASMSTART
	v_dot2_f32_f16 v63, v8, v82, v63
	;;#ASMEND
	s_waitcnt lgkmcnt(2)
	;;#ASMSTART
	v_dot2_f32_f16 v60, v83, v67, v60
	;;#ASMEND
	;;#ASMSTART
	v_dot2_f32_f16 v60, v84, v68, v60
	;;#ASMEND
	;;#ASMSTART
	v_dot2_f32_f16 v60, v85, v69, v60
	;;#ASMEND
	;;#ASMSTART
	v_dot2_f32_f16 v60, v86, v70, v60
	;;#ASMEND
	;;#ASMSTART
	v_dot2_f32_f16 v61, v83, v71, v61
	;;#ASMEND
	;;#ASMSTART
	v_dot2_f32_f16 v61, v84, v72, v61
	;;#ASMEND
	;; [unrolled: 3-line block ×12, first 2 shown]
	s_waitcnt lgkmcnt(1)
	;;#ASMSTART
	v_dot2_f32_f16 v16, v87, v67, v16
	;;#ASMEND
	;;#ASMSTART
	v_dot2_f32_f16 v16, v88, v68, v16
	;;#ASMEND
	;; [unrolled: 3-line block ×16, first 2 shown]
	s_waitcnt lgkmcnt(0)
	;;#ASMSTART
	v_dot2_f32_f16 v13, v91, v67, v13
	;;#ASMEND
	;;#ASMSTART
	v_dot2_f32_f16 v13, v92, v68, v13
	;;#ASMEND
	;;#ASMSTART
	v_dot2_f32_f16 v13, v93, v69, v13
	;;#ASMEND
	;;#ASMSTART
	v_dot2_f32_f16 v13, v94, v70, v13
	;;#ASMEND
	;;#ASMSTART
	v_dot2_f32_f16 v14, v91, v71, v14
	;;#ASMEND
	;;#ASMSTART
	v_dot2_f32_f16 v14, v92, v72, v14
	;;#ASMEND
	;;#ASMSTART
	v_dot2_f32_f16 v14, v93, v73, v14
	;;#ASMEND
	;;#ASMSTART
	v_dot2_f32_f16 v14, v94, v74, v14
	;;#ASMEND
	;;#ASMSTART
	v_dot2_f32_f16 v11, v91, v75, v11
	;;#ASMEND
	;;#ASMSTART
	v_dot2_f32_f16 v11, v92, v76, v11
	;;#ASMEND
	;;#ASMSTART
	v_dot2_f32_f16 v11, v93, v77, v11
	;;#ASMEND
	;;#ASMSTART
	v_dot2_f32_f16 v11, v94, v78, v11
	;;#ASMEND
	;;#ASMSTART
	v_dot2_f32_f16 v12, v91, v79, v12
	;;#ASMEND
	;;#ASMSTART
	v_dot2_f32_f16 v12, v92, v80, v12
	;;#ASMEND
	;;#ASMSTART
	v_dot2_f32_f16 v12, v93, v81, v12
	;;#ASMEND
	;;#ASMSTART
	v_dot2_f32_f16 v12, v94, v82, v12
	;;#ASMEND
	ds_load_b128 v[5:8], v54 offset:32
	ds_load_b128 v[67:70], v36 offset:26784
	;; [unrolled: 1-line block ×8, first 2 shown]
	s_waitcnt lgkmcnt(6)
	;;#ASMSTART
	v_dot2_f32_f16 v66, v5, v67, v66
	;;#ASMEND
	;;#ASMSTART
	v_dot2_f32_f16 v66, v6, v68, v66
	;;#ASMEND
	;;#ASMSTART
	v_dot2_f32_f16 v66, v7, v69, v66
	;;#ASMEND
	;;#ASMSTART
	v_dot2_f32_f16 v66, v8, v70, v66
	;;#ASMEND
	s_waitcnt lgkmcnt(5)
	;;#ASMSTART
	v_dot2_f32_f16 v65, v5, v71, v65
	;;#ASMEND
	;;#ASMSTART
	v_dot2_f32_f16 v65, v6, v72, v65
	;;#ASMEND
	;;#ASMSTART
	v_dot2_f32_f16 v65, v7, v73, v65
	;;#ASMEND
	;;#ASMSTART
	v_dot2_f32_f16 v65, v8, v74, v65
	;;#ASMEND
	;; [unrolled: 13-line block ×5, first 2 shown]
	;;#ASMSTART
	v_dot2_f32_f16 v61, v83, v71, v61
	;;#ASMEND
	;;#ASMSTART
	v_dot2_f32_f16 v61, v84, v72, v61
	;;#ASMEND
	;; [unrolled: 3-line block ×12, first 2 shown]
	s_waitcnt lgkmcnt(1)
	;;#ASMSTART
	v_dot2_f32_f16 v16, v87, v67, v16
	;;#ASMEND
	;;#ASMSTART
	v_dot2_f32_f16 v16, v88, v68, v16
	;;#ASMEND
	;; [unrolled: 3-line block ×16, first 2 shown]
	s_waitcnt lgkmcnt(0)
	;;#ASMSTART
	v_dot2_f32_f16 v13, v91, v67, v13
	;;#ASMEND
	;;#ASMSTART
	v_dot2_f32_f16 v13, v92, v68, v13
	;;#ASMEND
	;; [unrolled: 3-line block ×16, first 2 shown]
	ds_load_b128 v[5:8], v54 offset:48
	ds_load_b128 v[67:70], v36 offset:26800
	;; [unrolled: 1-line block ×8, first 2 shown]
	s_waitcnt lgkmcnt(6)
	;;#ASMSTART
	v_dot2_f32_f16 v66, v5, v67, v66
	;;#ASMEND
	;;#ASMSTART
	v_dot2_f32_f16 v66, v6, v68, v66
	;;#ASMEND
	;;#ASMSTART
	v_dot2_f32_f16 v66, v7, v69, v66
	;;#ASMEND
	;;#ASMSTART
	v_dot2_f32_f16 v66, v8, v70, v66
	;;#ASMEND
	s_waitcnt lgkmcnt(5)
	;;#ASMSTART
	v_dot2_f32_f16 v65, v5, v71, v65
	;;#ASMEND
	;;#ASMSTART
	v_dot2_f32_f16 v65, v6, v72, v65
	;;#ASMEND
	;;#ASMSTART
	v_dot2_f32_f16 v65, v7, v73, v65
	;;#ASMEND
	;;#ASMSTART
	v_dot2_f32_f16 v65, v8, v74, v65
	;;#ASMEND
	;; [unrolled: 13-line block ×5, first 2 shown]
	;;#ASMSTART
	v_dot2_f32_f16 v61, v83, v71, v61
	;;#ASMEND
	;;#ASMSTART
	v_dot2_f32_f16 v61, v84, v72, v61
	;;#ASMEND
	;; [unrolled: 3-line block ×12, first 2 shown]
	s_waitcnt lgkmcnt(1)
	;;#ASMSTART
	v_dot2_f32_f16 v16, v87, v67, v16
	;;#ASMEND
	;;#ASMSTART
	v_dot2_f32_f16 v16, v88, v68, v16
	;;#ASMEND
	;;#ASMSTART
	v_dot2_f32_f16 v16, v89, v69, v16
	;;#ASMEND
	;;#ASMSTART
	v_dot2_f32_f16 v16, v90, v70, v16
	;;#ASMEND
	;;#ASMSTART
	v_dot2_f32_f16 v55, v87, v71, v55
	;;#ASMEND
	;;#ASMSTART
	v_dot2_f32_f16 v55, v88, v72, v55
	;;#ASMEND
	;;#ASMSTART
	v_dot2_f32_f16 v55, v89, v73, v55
	;;#ASMEND
	;;#ASMSTART
	v_dot2_f32_f16 v55, v90, v74, v55
	;;#ASMEND
	;;#ASMSTART
	v_dot2_f32_f16 v56, v87, v75, v56
	;;#ASMEND
	;;#ASMSTART
	v_dot2_f32_f16 v56, v88, v76, v56
	;;#ASMEND
	;;#ASMSTART
	v_dot2_f32_f16 v56, v89, v77, v56
	;;#ASMEND
	;;#ASMSTART
	v_dot2_f32_f16 v56, v90, v78, v56
	;;#ASMEND
	;;#ASMSTART
	v_dot2_f32_f16 v15, v87, v79, v15
	;;#ASMEND
	;;#ASMSTART
	v_dot2_f32_f16 v15, v88, v80, v15
	;;#ASMEND
	;;#ASMSTART
	v_dot2_f32_f16 v15, v89, v81, v15
	;;#ASMEND
	;;#ASMSTART
	v_dot2_f32_f16 v15, v90, v82, v15
	;;#ASMEND
	s_waitcnt lgkmcnt(0)
	;;#ASMSTART
	v_dot2_f32_f16 v13, v91, v67, v13
	;;#ASMEND
	;;#ASMSTART
	v_dot2_f32_f16 v13, v92, v68, v13
	;;#ASMEND
	;;#ASMSTART
	v_dot2_f32_f16 v13, v93, v69, v13
	;;#ASMEND
	;;#ASMSTART
	v_dot2_f32_f16 v13, v94, v70, v13
	;;#ASMEND
	;;#ASMSTART
	v_dot2_f32_f16 v14, v91, v71, v14
	;;#ASMEND
	;;#ASMSTART
	v_dot2_f32_f16 v14, v92, v72, v14
	;;#ASMEND
	;;#ASMSTART
	v_dot2_f32_f16 v14, v93, v73, v14
	;;#ASMEND
	;;#ASMSTART
	v_dot2_f32_f16 v14, v94, v74, v14
	;;#ASMEND
	;;#ASMSTART
	v_dot2_f32_f16 v11, v91, v75, v11
	;;#ASMEND
	;;#ASMSTART
	v_dot2_f32_f16 v11, v92, v76, v11
	;;#ASMEND
	;;#ASMSTART
	v_dot2_f32_f16 v11, v93, v77, v11
	;;#ASMEND
	;;#ASMSTART
	v_dot2_f32_f16 v11, v94, v78, v11
	;;#ASMEND
	;;#ASMSTART
	v_dot2_f32_f16 v12, v91, v79, v12
	;;#ASMEND
	;;#ASMSTART
	v_dot2_f32_f16 v12, v92, v80, v12
	;;#ASMEND
	;;#ASMSTART
	v_dot2_f32_f16 v12, v93, v81, v12
	;;#ASMEND
	;;#ASMSTART
	v_dot2_f32_f16 v12, v94, v82, v12
	;;#ASMEND
	ds_load_b128 v[5:8], v54 offset:64
	ds_load_b128 v[67:70], v36 offset:26816
	;; [unrolled: 1-line block ×8, first 2 shown]
	s_waitcnt lgkmcnt(6)
	;;#ASMSTART
	v_dot2_f32_f16 v66, v5, v67, v66
	;;#ASMEND
	;;#ASMSTART
	v_dot2_f32_f16 v66, v6, v68, v66
	;;#ASMEND
	;;#ASMSTART
	v_dot2_f32_f16 v66, v7, v69, v66
	;;#ASMEND
	;;#ASMSTART
	v_dot2_f32_f16 v66, v8, v70, v66
	;;#ASMEND
	s_waitcnt lgkmcnt(5)
	;;#ASMSTART
	v_dot2_f32_f16 v65, v5, v71, v65
	;;#ASMEND
	;;#ASMSTART
	v_dot2_f32_f16 v65, v6, v72, v65
	;;#ASMEND
	;;#ASMSTART
	v_dot2_f32_f16 v65, v7, v73, v65
	;;#ASMEND
	;;#ASMSTART
	v_dot2_f32_f16 v65, v8, v74, v65
	;;#ASMEND
	;; [unrolled: 13-line block ×5, first 2 shown]
	;;#ASMSTART
	v_dot2_f32_f16 v61, v83, v71, v61
	;;#ASMEND
	;;#ASMSTART
	v_dot2_f32_f16 v61, v84, v72, v61
	;;#ASMEND
	;; [unrolled: 3-line block ×12, first 2 shown]
	s_waitcnt lgkmcnt(1)
	;;#ASMSTART
	v_dot2_f32_f16 v16, v87, v67, v16
	;;#ASMEND
	;;#ASMSTART
	v_dot2_f32_f16 v16, v88, v68, v16
	;;#ASMEND
	;; [unrolled: 3-line block ×16, first 2 shown]
	s_waitcnt lgkmcnt(0)
	;;#ASMSTART
	v_dot2_f32_f16 v13, v91, v67, v13
	;;#ASMEND
	;;#ASMSTART
	v_dot2_f32_f16 v13, v92, v68, v13
	;;#ASMEND
	;; [unrolled: 3-line block ×16, first 2 shown]
	ds_load_b128 v[5:8], v54 offset:80
	ds_load_b128 v[67:70], v36 offset:26832
	;; [unrolled: 1-line block ×8, first 2 shown]
	s_waitcnt lgkmcnt(6)
	;;#ASMSTART
	v_dot2_f32_f16 v66, v5, v67, v66
	;;#ASMEND
	;;#ASMSTART
	v_dot2_f32_f16 v66, v6, v68, v66
	;;#ASMEND
	;;#ASMSTART
	v_dot2_f32_f16 v66, v7, v69, v66
	;;#ASMEND
	;;#ASMSTART
	v_dot2_f32_f16 v66, v8, v70, v66
	;;#ASMEND
	s_waitcnt lgkmcnt(5)
	;;#ASMSTART
	v_dot2_f32_f16 v65, v5, v71, v65
	;;#ASMEND
	;;#ASMSTART
	v_dot2_f32_f16 v65, v6, v72, v65
	;;#ASMEND
	;;#ASMSTART
	v_dot2_f32_f16 v65, v7, v73, v65
	;;#ASMEND
	;;#ASMSTART
	v_dot2_f32_f16 v65, v8, v74, v65
	;;#ASMEND
	;; [unrolled: 13-line block ×5, first 2 shown]
	;;#ASMSTART
	v_dot2_f32_f16 v61, v83, v71, v61
	;;#ASMEND
	;;#ASMSTART
	v_dot2_f32_f16 v61, v84, v72, v61
	;;#ASMEND
	;; [unrolled: 3-line block ×12, first 2 shown]
	s_waitcnt lgkmcnt(1)
	;;#ASMSTART
	v_dot2_f32_f16 v16, v87, v67, v16
	;;#ASMEND
	;;#ASMSTART
	v_dot2_f32_f16 v16, v88, v68, v16
	;;#ASMEND
	;; [unrolled: 3-line block ×16, first 2 shown]
	s_waitcnt lgkmcnt(0)
	;;#ASMSTART
	v_dot2_f32_f16 v13, v91, v67, v13
	;;#ASMEND
	;;#ASMSTART
	v_dot2_f32_f16 v13, v92, v68, v13
	;;#ASMEND
	;; [unrolled: 3-line block ×16, first 2 shown]
	ds_load_b128 v[5:8], v54 offset:96
	ds_load_b128 v[67:70], v36 offset:26848
	;; [unrolled: 1-line block ×8, first 2 shown]
	s_waitcnt lgkmcnt(6)
	;;#ASMSTART
	v_dot2_f32_f16 v66, v5, v67, v66
	;;#ASMEND
	;;#ASMSTART
	v_dot2_f32_f16 v66, v6, v68, v66
	;;#ASMEND
	;;#ASMSTART
	v_dot2_f32_f16 v66, v7, v69, v66
	;;#ASMEND
	;;#ASMSTART
	v_dot2_f32_f16 v66, v8, v70, v66
	;;#ASMEND
	s_waitcnt lgkmcnt(5)
	;;#ASMSTART
	v_dot2_f32_f16 v65, v5, v71, v65
	;;#ASMEND
	;;#ASMSTART
	v_dot2_f32_f16 v65, v6, v72, v65
	;;#ASMEND
	;;#ASMSTART
	v_dot2_f32_f16 v65, v7, v73, v65
	;;#ASMEND
	;;#ASMSTART
	v_dot2_f32_f16 v65, v8, v74, v65
	;;#ASMEND
	;; [unrolled: 13-line block ×5, first 2 shown]
	;;#ASMSTART
	v_dot2_f32_f16 v61, v83, v71, v61
	;;#ASMEND
	;;#ASMSTART
	v_dot2_f32_f16 v61, v84, v72, v61
	;;#ASMEND
	;; [unrolled: 3-line block ×12, first 2 shown]
	s_waitcnt lgkmcnt(1)
	;;#ASMSTART
	v_dot2_f32_f16 v16, v87, v67, v16
	;;#ASMEND
	;;#ASMSTART
	v_dot2_f32_f16 v16, v88, v68, v16
	;;#ASMEND
	;; [unrolled: 3-line block ×16, first 2 shown]
	s_waitcnt lgkmcnt(0)
	;;#ASMSTART
	v_dot2_f32_f16 v13, v91, v67, v13
	;;#ASMEND
	;;#ASMSTART
	v_dot2_f32_f16 v13, v92, v68, v13
	;;#ASMEND
	;; [unrolled: 3-line block ×16, first 2 shown]
	ds_load_b128 v[67:70], v54 offset:112
	ds_load_b128 v[71:74], v36 offset:26864
	;; [unrolled: 1-line block ×8, first 2 shown]
	s_waitcnt lgkmcnt(6)
	;;#ASMSTART
	v_dot2_f32_f16 v66, v67, v71, v66
	;;#ASMEND
	;;#ASMSTART
	v_dot2_f32_f16 v66, v68, v72, v66
	;;#ASMEND
	;;#ASMSTART
	v_dot2_f32_f16 v66, v69, v73, v66
	;;#ASMEND
	;;#ASMSTART
	v_dot2_f32_f16 v66, v70, v74, v66
	;;#ASMEND
	s_waitcnt lgkmcnt(5)
	;;#ASMSTART
	v_dot2_f32_f16 v65, v67, v75, v65
	;;#ASMEND
	;;#ASMSTART
	v_dot2_f32_f16 v65, v68, v76, v65
	;;#ASMEND
	;;#ASMSTART
	v_dot2_f32_f16 v65, v69, v77, v65
	;;#ASMEND
	;;#ASMSTART
	v_dot2_f32_f16 v65, v70, v78, v65
	;;#ASMEND
	;; [unrolled: 13-line block ×5, first 2 shown]
	;;#ASMSTART
	v_dot2_f32_f16 v61, v87, v75, v61
	;;#ASMEND
	;;#ASMSTART
	v_dot2_f32_f16 v61, v88, v76, v61
	;;#ASMEND
	;; [unrolled: 3-line block ×12, first 2 shown]
	s_waitcnt lgkmcnt(1)
	;;#ASMSTART
	v_dot2_f32_f16 v16, v91, v71, v16
	;;#ASMEND
	;;#ASMSTART
	v_dot2_f32_f16 v16, v92, v72, v16
	;;#ASMEND
	;; [unrolled: 3-line block ×16, first 2 shown]
	s_waitcnt lgkmcnt(0)
	;;#ASMSTART
	v_dot2_f32_f16 v13, v95, v71, v13
	;;#ASMEND
	;;#ASMSTART
	v_dot2_f32_f16 v13, v96, v72, v13
	;;#ASMEND
	;; [unrolled: 3-line block ×7, first 2 shown]
	v_mov_b32_e32 v8, v4
	;;#ASMSTART
	v_dot2_f32_f16 v14, v98, v78, v14
	;;#ASMEND
	;;#ASMSTART
	v_dot2_f32_f16 v11, v95, v79, v11
	;;#ASMEND
	v_dual_mov_b32 v7, v3 :: v_dual_mov_b32 v6, v2
	v_mov_b32_e32 v5, v1
	;;#ASMSTART
	v_dot2_f32_f16 v11, v96, v80, v11
	;;#ASMEND
	;;#ASMSTART
	v_dot2_f32_f16 v11, v97, v81, v11
	;;#ASMEND
	;; [unrolled: 3-line block ×7, first 2 shown]
	s_and_saveexec_b32 s4, s0
	s_cbranch_execz .LBB56_51
; %bb.48:
	s_and_not1_b32 vcc_lo, exec_lo, s1
	s_cbranch_vccnz .LBB56_50
; %bb.49:
	v_add_nc_u32_e32 v5, v9, v34
	s_delay_alu instid0(VALU_DEP_1) | instskip(NEXT) | instid1(VALU_DEP_1)
	v_ashrrev_i32_e32 v6, 31, v5
	v_lshlrev_b64 v[5:6], 1, v[5:6]
	s_delay_alu instid0(VALU_DEP_1) | instskip(NEXT) | instid1(VALU_DEP_2)
	v_add_co_u32 v5, vcc_lo, s40, v5
	v_add_co_ci_u32_e32 v6, vcc_lo, s41, v6, vcc_lo
	flat_load_u16 v5, v[5:6]
	s_waitcnt vmcnt(0) lgkmcnt(0)
	v_cvt_f32_f16_e32 v5, v5
	s_delay_alu instid0(VALU_DEP_1)
	v_mul_f32_e32 v17, v43, v5
.LBB56_50:
	s_delay_alu instid0(VALU_DEP_1) | instskip(NEXT) | instid1(VALU_DEP_1)
	v_add_f32_e32 v66, v66, v17
	v_dual_max_f32 v6, v1, v1 :: v_dual_add_f32 v5, 0x40051340, v66
	s_delay_alu instid0(VALU_DEP_1) | instskip(SKIP_2) | instid1(VALU_DEP_3)
	v_max_f32_e32 v10, v6, v5
	v_dual_mov_b32 v8, v4 :: v_dual_mov_b32 v5, v1
	v_dual_mov_b32 v7, v3 :: v_dual_mov_b32 v6, v2
	v_mov_b32_e32 v5, v10
.LBB56_51:
	s_or_b32 exec_lo, exec_lo, s4
	v_add_nc_u32_e32 v69, 32, v34
	s_delay_alu instid0(VALU_DEP_1) | instskip(NEXT) | instid1(VALU_DEP_1)
	v_cmp_gt_i32_e64 s1, s9, v69
	s_and_saveexec_b32 s4, s1
	s_cbranch_execz .LBB56_56
; %bb.52:
	v_cmp_ne_u32_e32 vcc_lo, 1, v53
	s_cbranch_vccnz .LBB56_54
; %bb.53:
	v_ashrrev_i32_e32 v10, 31, v9
	v_add_co_u32 v17, vcc_lo, v9, v34
	s_delay_alu instid0(VALU_DEP_2) | instskip(NEXT) | instid1(VALU_DEP_1)
	v_add_co_ci_u32_e32 v18, vcc_lo, 0, v10, vcc_lo
	v_lshlrev_b64 v[17:18], 1, v[17:18]
	s_delay_alu instid0(VALU_DEP_1) | instskip(NEXT) | instid1(VALU_DEP_2)
	v_add_co_u32 v17, vcc_lo, s40, v17
	v_add_co_ci_u32_e32 v18, vcc_lo, s41, v18, vcc_lo
	flat_load_u16 v10, v[17:18] offset:64
	s_waitcnt vmcnt(0) lgkmcnt(0)
	v_cvt_f32_f16_e32 v10, v10
	s_delay_alu instid0(VALU_DEP_1)
	v_mul_f32_e32 v10, v43, v10
	s_branch .LBB56_55
.LBB56_54:
	v_mov_b32_e32 v10, 0
.LBB56_55:
	s_delay_alu instid0(VALU_DEP_1) | instskip(NEXT) | instid1(VALU_DEP_1)
	v_dual_add_f32 v60, v60, v10 :: v_dual_max_f32 v5, v5, v5
	v_add_f32_e32 v10, 0x40051340, v60
	s_delay_alu instid0(VALU_DEP_1)
	v_max_f32_e32 v5, v5, v10
.LBB56_56:
	s_or_b32 exec_lo, exec_lo, s4
	v_add_nc_u32_e32 v68, 64, v34
	s_delay_alu instid0(VALU_DEP_1) | instskip(NEXT) | instid1(VALU_DEP_1)
	v_cmp_gt_i32_e64 s4, s9, v68
	s_and_saveexec_b32 s5, s4
	s_cbranch_execz .LBB56_61
; %bb.57:
	v_cmp_ne_u32_e32 vcc_lo, 1, v53
	s_cbranch_vccnz .LBB56_59
; %bb.58:
	v_ashrrev_i32_e32 v10, 31, v9
	v_add_co_u32 v17, vcc_lo, v9, v34
	s_delay_alu instid0(VALU_DEP_2) | instskip(NEXT) | instid1(VALU_DEP_1)
	v_add_co_ci_u32_e32 v18, vcc_lo, 0, v10, vcc_lo
	v_lshlrev_b64 v[17:18], 1, v[17:18]
	s_delay_alu instid0(VALU_DEP_1) | instskip(NEXT) | instid1(VALU_DEP_2)
	v_add_co_u32 v17, vcc_lo, s40, v17
	v_add_co_ci_u32_e32 v18, vcc_lo, s41, v18, vcc_lo
	flat_load_u16 v10, v[17:18] offset:128
	s_waitcnt vmcnt(0) lgkmcnt(0)
	v_cvt_f32_f16_e32 v10, v10
	s_delay_alu instid0(VALU_DEP_1)
	v_mul_f32_e32 v10, v43, v10
	s_branch .LBB56_60
.LBB56_59:
	v_mov_b32_e32 v10, 0
.LBB56_60:
	s_delay_alu instid0(VALU_DEP_1) | instskip(NEXT) | instid1(VALU_DEP_1)
	v_dual_add_f32 v16, v16, v10 :: v_dual_max_f32 v5, v5, v5
	v_add_f32_e32 v10, 0x40051340, v16
	s_delay_alu instid0(VALU_DEP_1)
	v_max_f32_e32 v5, v5, v10
.LBB56_61:
	s_or_b32 exec_lo, exec_lo, s5
	v_add_nc_u32_e32 v67, 0x60, v34
	s_delay_alu instid0(VALU_DEP_1) | instskip(NEXT) | instid1(VALU_DEP_1)
	v_cmp_gt_i32_e64 s5, s9, v67
	s_and_saveexec_b32 s6, s5
	s_cbranch_execz .LBB56_66
; %bb.62:
	v_cmp_ne_u32_e32 vcc_lo, 1, v53
	s_cbranch_vccnz .LBB56_64
; %bb.63:
	v_ashrrev_i32_e32 v10, 31, v9
	v_add_co_u32 v9, vcc_lo, v9, v34
	s_delay_alu instid0(VALU_DEP_2) | instskip(NEXT) | instid1(VALU_DEP_1)
	v_add_co_ci_u32_e32 v10, vcc_lo, 0, v10, vcc_lo
	v_lshlrev_b64 v[9:10], 1, v[9:10]
	s_delay_alu instid0(VALU_DEP_1) | instskip(NEXT) | instid1(VALU_DEP_2)
	v_add_co_u32 v9, vcc_lo, s40, v9
	v_add_co_ci_u32_e32 v10, vcc_lo, s41, v10, vcc_lo
	flat_load_u16 v9, v[9:10] offset:192
	s_waitcnt vmcnt(0) lgkmcnt(0)
	v_cvt_f32_f16_e32 v9, v9
	s_delay_alu instid0(VALU_DEP_1)
	v_mul_f32_e32 v9, v43, v9
	s_branch .LBB56_65
.LBB56_64:
	v_mov_b32_e32 v9, 0
.LBB56_65:
	s_delay_alu instid0(VALU_DEP_1) | instskip(SKIP_1) | instid1(VALU_DEP_2)
	v_add_f32_e32 v13, v13, v9
	v_max_f32_e32 v5, v5, v5
	v_add_f32_e32 v9, 0x40051340, v13
	s_delay_alu instid0(VALU_DEP_1)
	v_max_f32_e32 v5, v5, v9
.LBB56_66:
	s_or_b32 exec_lo, exec_lo, s6
	v_xor_b32_e32 v58, 16, v35
	v_xor_b32_e32 v20, 8, v35
	;; [unrolled: 1-line block ×5, first 2 shown]
	v_cmp_gt_i32_e32 vcc_lo, 32, v58
	v_mul_hi_u32 v57, s36, v52
	v_cndmask_b32_e32 v9, v35, v58, vcc_lo
	v_cmp_gt_i32_e32 vcc_lo, 32, v20
	s_delay_alu instid0(VALU_DEP_2)
	v_lshlrev_b32_e32 v54, 2, v9
	ds_bpermute_b32 v9, v54, v5
	v_cndmask_b32_e32 v10, v35, v20, vcc_lo
	v_cmp_gt_i32_e32 vcc_lo, 32, v19
	s_waitcnt lgkmcnt(0)
	v_max_f32_e32 v9, v9, v9
	s_delay_alu instid0(VALU_DEP_3) | instskip(SKIP_2) | instid1(VALU_DEP_3)
	v_dual_max_f32 v5, v5, v5 :: v_dual_lshlrev_b32 v70, 2, v10
	v_cndmask_b32_e32 v10, v35, v19, vcc_lo
	v_cmp_gt_i32_e32 vcc_lo, 32, v18
	v_max_f32_e32 v5, v5, v9
	s_delay_alu instid0(VALU_DEP_3)
	v_lshlrev_b32_e32 v71, 2, v10
	v_cndmask_b32_e32 v10, v35, v18, vcc_lo
	v_cmp_gt_i32_e32 vcc_lo, 32, v17
	ds_bpermute_b32 v9, v70, v5
	v_lshlrev_b32_e32 v72, 2, v10
	v_cndmask_b32_e32 v10, v35, v17, vcc_lo
	s_delay_alu instid0(VALU_DEP_1) | instskip(SKIP_2) | instid1(VALU_DEP_1)
	v_lshlrev_b32_e32 v73, 2, v10
	s_waitcnt lgkmcnt(0)
	v_max_f32_e32 v9, v9, v9
	v_max_f32_e32 v5, v5, v9
	ds_bpermute_b32 v9, v71, v5
	s_waitcnt lgkmcnt(0)
	v_max_f32_e32 v9, v9, v9
	s_delay_alu instid0(VALU_DEP_1) | instskip(SKIP_3) | instid1(VALU_DEP_1)
	v_max_f32_e32 v5, v5, v9
	ds_bpermute_b32 v9, v72, v5
	s_waitcnt lgkmcnt(0)
	v_max_f32_e32 v9, v9, v9
	v_max_f32_e32 v5, v5, v9
	v_add_nc_u32_e32 v9, v52, v57
	v_mov_b32_e32 v57, 32
	ds_bpermute_b32 v10, v73, v5
	v_lshrrev_b32_e32 v9, s37, v9
	s_delay_alu instid0(VALU_DEP_1) | instskip(NEXT) | instid1(VALU_DEP_1)
	v_mul_lo_u32 v9, v9, s38
	v_sub_nc_u32_e32 v52, v52, v9
	s_waitcnt lgkmcnt(0)
	v_max_f32_e32 v74, v10, v10
	s_delay_alu instid0(VALU_DEP_2) | instskip(NEXT) | instid1(VALU_DEP_2)
	v_mad_u64_u32 v[9:10], null, v52, s22, s[12:13]
	v_max_f32_e32 v5, v5, v74
	s_and_saveexec_b32 s6, s0
	s_cbranch_execnz .LBB56_70
; %bb.67:
	s_or_b32 exec_lo, exec_lo, s6
	s_and_saveexec_b32 s6, s1
	s_cbranch_execnz .LBB56_74
.LBB56_68:
	s_or_b32 exec_lo, exec_lo, s6
	s_and_saveexec_b32 s6, s4
	s_cbranch_execnz .LBB56_78
.LBB56_69:
	s_or_b32 exec_lo, exec_lo, s6
	s_and_saveexec_b32 s6, s5
	s_cbranch_execnz .LBB56_82
	s_branch .LBB56_86
.LBB56_70:
	v_cmp_ne_u32_e32 vcc_lo, 1, v53
	s_cbranch_vccnz .LBB56_72
; %bb.71:
	s_delay_alu instid0(VALU_DEP_3) | instskip(NEXT) | instid1(VALU_DEP_1)
	v_add_nc_u32_e32 v74, v9, v34
	v_ashrrev_i32_e32 v75, 31, v74
	s_delay_alu instid0(VALU_DEP_1) | instskip(NEXT) | instid1(VALU_DEP_1)
	v_lshlrev_b64 v[74:75], 1, v[74:75]
	v_add_co_u32 v74, vcc_lo, s40, v74
	s_delay_alu instid0(VALU_DEP_2) | instskip(SKIP_3) | instid1(VALU_DEP_1)
	v_add_co_ci_u32_e32 v75, vcc_lo, s41, v75, vcc_lo
	flat_load_u16 v10, v[74:75]
	s_waitcnt vmcnt(0) lgkmcnt(0)
	v_cvt_f32_f16_e32 v10, v10
	v_mul_f32_e32 v10, v43, v10
	s_branch .LBB56_73
.LBB56_72:
	v_mov_b32_e32 v10, 0
.LBB56_73:
	s_delay_alu instid0(VALU_DEP_1) | instskip(SKIP_1) | instid1(VALU_DEP_2)
	v_add_f32_e32 v65, v65, v10
	v_max_f32_e32 v6, v6, v6
	v_add_f32_e32 v10, 0x40051340, v65
	s_delay_alu instid0(VALU_DEP_1)
	v_max_f32_e32 v6, v6, v10
	s_or_b32 exec_lo, exec_lo, s6
	s_and_saveexec_b32 s6, s1
	s_cbranch_execz .LBB56_68
.LBB56_74:
	v_cmp_ne_u32_e32 vcc_lo, 1, v53
	s_cbranch_vccnz .LBB56_76
; %bb.75:
	v_ashrrev_i32_e32 v10, 31, v9
	v_add_co_u32 v74, vcc_lo, v9, v34
	s_delay_alu instid0(VALU_DEP_2) | instskip(NEXT) | instid1(VALU_DEP_1)
	v_add_co_ci_u32_e32 v75, vcc_lo, 0, v10, vcc_lo
	v_lshlrev_b64 v[74:75], 1, v[74:75]
	s_delay_alu instid0(VALU_DEP_1) | instskip(NEXT) | instid1(VALU_DEP_2)
	v_add_co_u32 v74, vcc_lo, s40, v74
	v_add_co_ci_u32_e32 v75, vcc_lo, s41, v75, vcc_lo
	flat_load_u16 v10, v[74:75] offset:64
	s_waitcnt vmcnt(0) lgkmcnt(0)
	v_cvt_f32_f16_e32 v10, v10
	s_delay_alu instid0(VALU_DEP_1)
	v_mul_f32_e32 v10, v43, v10
	s_branch .LBB56_77
.LBB56_76:
	v_mov_b32_e32 v10, 0
.LBB56_77:
	s_delay_alu instid0(VALU_DEP_1) | instskip(SKIP_1) | instid1(VALU_DEP_2)
	v_add_f32_e32 v61, v61, v10
	v_max_f32_e32 v6, v6, v6
	v_add_f32_e32 v10, 0x40051340, v61
	s_delay_alu instid0(VALU_DEP_1)
	v_max_f32_e32 v6, v6, v10
	s_or_b32 exec_lo, exec_lo, s6
	s_and_saveexec_b32 s6, s4
	s_cbranch_execz .LBB56_69
.LBB56_78:
	v_cmp_ne_u32_e32 vcc_lo, 1, v53
	s_cbranch_vccnz .LBB56_80
; %bb.79:
	v_ashrrev_i32_e32 v10, 31, v9
	v_add_co_u32 v74, vcc_lo, v9, v34
	s_delay_alu instid0(VALU_DEP_2) | instskip(NEXT) | instid1(VALU_DEP_1)
	v_add_co_ci_u32_e32 v75, vcc_lo, 0, v10, vcc_lo
	v_lshlrev_b64 v[74:75], 1, v[74:75]
	s_delay_alu instid0(VALU_DEP_1) | instskip(NEXT) | instid1(VALU_DEP_2)
	v_add_co_u32 v74, vcc_lo, s40, v74
	v_add_co_ci_u32_e32 v75, vcc_lo, s41, v75, vcc_lo
	flat_load_u16 v10, v[74:75] offset:128
	s_waitcnt vmcnt(0) lgkmcnt(0)
	v_cvt_f32_f16_e32 v10, v10
	s_delay_alu instid0(VALU_DEP_1)
	v_mul_f32_e32 v10, v43, v10
	s_branch .LBB56_81
.LBB56_80:
	v_mov_b32_e32 v10, 0
.LBB56_81:
	s_delay_alu instid0(VALU_DEP_1) | instskip(SKIP_1) | instid1(VALU_DEP_2)
	v_add_f32_e32 v55, v55, v10
	v_max_f32_e32 v6, v6, v6
	v_add_f32_e32 v10, 0x40051340, v55
	s_delay_alu instid0(VALU_DEP_1)
	v_max_f32_e32 v6, v6, v10
	s_or_b32 exec_lo, exec_lo, s6
	s_and_saveexec_b32 s6, s5
	s_cbranch_execz .LBB56_86
.LBB56_82:
	v_cmp_ne_u32_e32 vcc_lo, 1, v53
	s_cbranch_vccnz .LBB56_84
; %bb.83:
	v_ashrrev_i32_e32 v10, 31, v9
	v_add_co_u32 v9, vcc_lo, v9, v34
	s_delay_alu instid0(VALU_DEP_2) | instskip(NEXT) | instid1(VALU_DEP_1)
	v_add_co_ci_u32_e32 v10, vcc_lo, 0, v10, vcc_lo
	v_lshlrev_b64 v[9:10], 1, v[9:10]
	s_delay_alu instid0(VALU_DEP_1) | instskip(NEXT) | instid1(VALU_DEP_2)
	v_add_co_u32 v9, vcc_lo, s40, v9
	v_add_co_ci_u32_e32 v10, vcc_lo, s41, v10, vcc_lo
	flat_load_u16 v9, v[9:10] offset:192
	s_waitcnt vmcnt(0) lgkmcnt(0)
	v_cvt_f32_f16_e32 v9, v9
	s_delay_alu instid0(VALU_DEP_1)
	v_mul_f32_e32 v9, v43, v9
	s_branch .LBB56_85
.LBB56_84:
	v_mov_b32_e32 v9, 0
.LBB56_85:
	s_delay_alu instid0(VALU_DEP_1) | instskip(SKIP_1) | instid1(VALU_DEP_2)
	v_add_f32_e32 v14, v14, v9
	v_max_f32_e32 v6, v6, v6
	v_add_f32_e32 v9, 0x40051340, v14
	s_delay_alu instid0(VALU_DEP_1)
	v_max_f32_e32 v6, v6, v9
.LBB56_86:
	s_or_b32 exec_lo, exec_lo, s6
	ds_bpermute_b32 v9, v54, v6
	v_mul_hi_u32 v10, s36, v51
	s_waitcnt lgkmcnt(0)
	v_dual_max_f32 v6, v6, v6 :: v_dual_max_f32 v9, v9, v9
	s_delay_alu instid0(VALU_DEP_1) | instskip(SKIP_3) | instid1(VALU_DEP_1)
	v_max_f32_e32 v6, v6, v9
	ds_bpermute_b32 v9, v70, v6
	s_waitcnt lgkmcnt(0)
	v_max_f32_e32 v9, v9, v9
	v_max_f32_e32 v6, v6, v9
	ds_bpermute_b32 v9, v71, v6
	s_waitcnt lgkmcnt(0)
	v_max_f32_e32 v9, v9, v9
	s_delay_alu instid0(VALU_DEP_1) | instskip(SKIP_3) | instid1(VALU_DEP_1)
	v_max_f32_e32 v6, v6, v9
	ds_bpermute_b32 v9, v72, v6
	s_waitcnt lgkmcnt(0)
	v_max_f32_e32 v9, v9, v9
	v_dual_max_f32 v6, v6, v9 :: v_dual_add_nc_u32 v9, v51, v10
	ds_bpermute_b32 v10, v73, v6
	v_lshrrev_b32_e32 v9, s37, v9
	s_delay_alu instid0(VALU_DEP_1) | instskip(NEXT) | instid1(VALU_DEP_1)
	v_mul_lo_u32 v9, v9, s38
	v_sub_nc_u32_e32 v51, v51, v9
	s_waitcnt lgkmcnt(0)
	v_max_f32_e32 v52, v10, v10
	s_delay_alu instid0(VALU_DEP_2) | instskip(NEXT) | instid1(VALU_DEP_2)
	v_mad_u64_u32 v[9:10], null, v51, s22, s[12:13]
	v_max_f32_e32 v6, v6, v52
	s_and_saveexec_b32 s6, s0
	s_cbranch_execnz .LBB56_90
; %bb.87:
	s_or_b32 exec_lo, exec_lo, s6
	s_and_saveexec_b32 s6, s1
	s_cbranch_execnz .LBB56_94
.LBB56_88:
	s_or_b32 exec_lo, exec_lo, s6
	s_and_saveexec_b32 s6, s4
	s_cbranch_execnz .LBB56_98
.LBB56_89:
	s_or_b32 exec_lo, exec_lo, s6
	s_and_saveexec_b32 s6, s5
	s_cbranch_execnz .LBB56_102
	s_branch .LBB56_106
.LBB56_90:
	v_cmp_ne_u32_e32 vcc_lo, 1, v53
	s_cbranch_vccnz .LBB56_92
; %bb.91:
	s_delay_alu instid0(VALU_DEP_3) | instskip(NEXT) | instid1(VALU_DEP_1)
	v_add_nc_u32_e32 v51, v9, v34
	v_ashrrev_i32_e32 v52, 31, v51
	s_delay_alu instid0(VALU_DEP_1) | instskip(NEXT) | instid1(VALU_DEP_1)
	v_lshlrev_b64 v[51:52], 1, v[51:52]
	v_add_co_u32 v51, vcc_lo, s40, v51
	s_delay_alu instid0(VALU_DEP_2) | instskip(SKIP_3) | instid1(VALU_DEP_1)
	v_add_co_ci_u32_e32 v52, vcc_lo, s41, v52, vcc_lo
	flat_load_u16 v10, v[51:52]
	s_waitcnt vmcnt(0) lgkmcnt(0)
	v_cvt_f32_f16_e32 v10, v10
	v_mul_f32_e32 v10, v43, v10
	s_branch .LBB56_93
.LBB56_92:
	v_mov_b32_e32 v10, 0
.LBB56_93:
	s_delay_alu instid0(VALU_DEP_1) | instskip(NEXT) | instid1(VALU_DEP_1)
	v_dual_add_f32 v64, v64, v10 :: v_dual_max_f32 v7, v7, v7
	v_add_f32_e32 v10, 0x40051340, v64
	s_delay_alu instid0(VALU_DEP_1)
	v_max_f32_e32 v7, v7, v10
	s_or_b32 exec_lo, exec_lo, s6
	s_and_saveexec_b32 s6, s1
	s_cbranch_execz .LBB56_88
.LBB56_94:
	v_cmp_ne_u32_e32 vcc_lo, 1, v53
	s_cbranch_vccnz .LBB56_96
; %bb.95:
	v_ashrrev_i32_e32 v10, 31, v9
	v_add_co_u32 v51, vcc_lo, v9, v34
	s_delay_alu instid0(VALU_DEP_2) | instskip(NEXT) | instid1(VALU_DEP_1)
	v_add_co_ci_u32_e32 v52, vcc_lo, 0, v10, vcc_lo
	v_lshlrev_b64 v[51:52], 1, v[51:52]
	s_delay_alu instid0(VALU_DEP_1) | instskip(NEXT) | instid1(VALU_DEP_2)
	v_add_co_u32 v51, vcc_lo, s40, v51
	v_add_co_ci_u32_e32 v52, vcc_lo, s41, v52, vcc_lo
	flat_load_u16 v10, v[51:52] offset:64
	s_waitcnt vmcnt(0) lgkmcnt(0)
	v_cvt_f32_f16_e32 v10, v10
	s_delay_alu instid0(VALU_DEP_1)
	v_mul_f32_e32 v10, v43, v10
	s_branch .LBB56_97
.LBB56_96:
	v_mov_b32_e32 v10, 0
.LBB56_97:
	s_delay_alu instid0(VALU_DEP_1) | instskip(NEXT) | instid1(VALU_DEP_1)
	v_dual_add_f32 v62, v62, v10 :: v_dual_max_f32 v7, v7, v7
	v_add_f32_e32 v10, 0x40051340, v62
	s_delay_alu instid0(VALU_DEP_1)
	v_max_f32_e32 v7, v7, v10
	s_or_b32 exec_lo, exec_lo, s6
	s_and_saveexec_b32 s6, s4
	s_cbranch_execz .LBB56_89
.LBB56_98:
	v_cmp_ne_u32_e32 vcc_lo, 1, v53
	s_cbranch_vccnz .LBB56_100
; %bb.99:
	v_ashrrev_i32_e32 v10, 31, v9
	v_add_co_u32 v51, vcc_lo, v9, v34
	s_delay_alu instid0(VALU_DEP_2) | instskip(NEXT) | instid1(VALU_DEP_1)
	v_add_co_ci_u32_e32 v52, vcc_lo, 0, v10, vcc_lo
	v_lshlrev_b64 v[51:52], 1, v[51:52]
	s_delay_alu instid0(VALU_DEP_1) | instskip(NEXT) | instid1(VALU_DEP_2)
	v_add_co_u32 v51, vcc_lo, s40, v51
	v_add_co_ci_u32_e32 v52, vcc_lo, s41, v52, vcc_lo
	flat_load_u16 v10, v[51:52] offset:128
	s_waitcnt vmcnt(0) lgkmcnt(0)
	v_cvt_f32_f16_e32 v10, v10
	s_delay_alu instid0(VALU_DEP_1)
	v_mul_f32_e32 v10, v43, v10
	s_branch .LBB56_101
.LBB56_100:
	v_mov_b32_e32 v10, 0
.LBB56_101:
	s_delay_alu instid0(VALU_DEP_1) | instskip(NEXT) | instid1(VALU_DEP_1)
	v_dual_add_f32 v56, v56, v10 :: v_dual_max_f32 v7, v7, v7
	v_add_f32_e32 v10, 0x40051340, v56
	s_delay_alu instid0(VALU_DEP_1)
	v_max_f32_e32 v7, v7, v10
	s_or_b32 exec_lo, exec_lo, s6
	s_and_saveexec_b32 s6, s5
	s_cbranch_execz .LBB56_106
.LBB56_102:
	v_cmp_ne_u32_e32 vcc_lo, 1, v53
	s_cbranch_vccnz .LBB56_104
; %bb.103:
	v_ashrrev_i32_e32 v10, 31, v9
	v_add_co_u32 v9, vcc_lo, v9, v34
	s_delay_alu instid0(VALU_DEP_2) | instskip(NEXT) | instid1(VALU_DEP_1)
	v_add_co_ci_u32_e32 v10, vcc_lo, 0, v10, vcc_lo
	v_lshlrev_b64 v[9:10], 1, v[9:10]
	s_delay_alu instid0(VALU_DEP_1) | instskip(NEXT) | instid1(VALU_DEP_2)
	v_add_co_u32 v9, vcc_lo, s40, v9
	v_add_co_ci_u32_e32 v10, vcc_lo, s41, v10, vcc_lo
	flat_load_u16 v9, v[9:10] offset:192
	s_waitcnt vmcnt(0) lgkmcnt(0)
	v_cvt_f32_f16_e32 v9, v9
	s_delay_alu instid0(VALU_DEP_1)
	v_mul_f32_e32 v9, v43, v9
	s_branch .LBB56_105
.LBB56_104:
	v_mov_b32_e32 v9, 0
.LBB56_105:
	s_delay_alu instid0(VALU_DEP_1) | instskip(SKIP_1) | instid1(VALU_DEP_2)
	v_add_f32_e32 v11, v11, v9
	v_max_f32_e32 v7, v7, v7
	v_add_f32_e32 v9, 0x40051340, v11
	s_delay_alu instid0(VALU_DEP_1)
	v_max_f32_e32 v7, v7, v9
.LBB56_106:
	s_or_b32 exec_lo, exec_lo, s6
	ds_bpermute_b32 v9, v54, v7
	v_max_f32_e32 v7, v7, v7
	v_mul_hi_u32 v10, s36, v50
	s_waitcnt lgkmcnt(0)
	v_max_f32_e32 v9, v9, v9
	s_delay_alu instid0(VALU_DEP_1) | instskip(SKIP_3) | instid1(VALU_DEP_1)
	v_max_f32_e32 v7, v7, v9
	ds_bpermute_b32 v9, v70, v7
	s_waitcnt lgkmcnt(0)
	v_max_f32_e32 v9, v9, v9
	v_max_f32_e32 v7, v7, v9
	ds_bpermute_b32 v9, v71, v7
	s_waitcnt lgkmcnt(0)
	v_max_f32_e32 v9, v9, v9
	s_delay_alu instid0(VALU_DEP_1) | instskip(SKIP_3) | instid1(VALU_DEP_1)
	v_max_f32_e32 v7, v7, v9
	ds_bpermute_b32 v9, v72, v7
	s_waitcnt lgkmcnt(0)
	v_max_f32_e32 v9, v9, v9
	v_max_f32_e32 v7, v7, v9
	v_add_nc_u32_e32 v9, v50, v10
	ds_bpermute_b32 v10, v73, v7
	v_lshrrev_b32_e32 v9, s37, v9
	s_delay_alu instid0(VALU_DEP_1) | instskip(NEXT) | instid1(VALU_DEP_1)
	v_mul_lo_u32 v9, v9, s38
	v_sub_nc_u32_e32 v50, v50, v9
	s_waitcnt lgkmcnt(0)
	v_max_f32_e32 v51, v10, v10
	s_delay_alu instid0(VALU_DEP_2) | instskip(NEXT) | instid1(VALU_DEP_2)
	v_mad_u64_u32 v[9:10], null, v50, s22, s[12:13]
	v_max_f32_e32 v7, v7, v51
	s_and_saveexec_b32 s6, s0
	s_cbranch_execnz .LBB56_110
; %bb.107:
	s_or_b32 exec_lo, exec_lo, s6
	s_and_saveexec_b32 s0, s1
	s_cbranch_execnz .LBB56_114
.LBB56_108:
	s_or_b32 exec_lo, exec_lo, s0
	s_and_saveexec_b32 s0, s4
	s_cbranch_execnz .LBB56_118
.LBB56_109:
	s_or_b32 exec_lo, exec_lo, s0
	s_and_saveexec_b32 s0, s5
	s_cbranch_execnz .LBB56_122
	s_branch .LBB56_126
.LBB56_110:
	v_cmp_ne_u32_e32 vcc_lo, 1, v53
	s_cbranch_vccnz .LBB56_112
; %bb.111:
	s_delay_alu instid0(VALU_DEP_3) | instskip(NEXT) | instid1(VALU_DEP_1)
	v_add_nc_u32_e32 v50, v9, v34
	v_ashrrev_i32_e32 v51, 31, v50
	s_delay_alu instid0(VALU_DEP_1) | instskip(NEXT) | instid1(VALU_DEP_1)
	v_lshlrev_b64 v[50:51], 1, v[50:51]
	v_add_co_u32 v50, vcc_lo, s40, v50
	s_delay_alu instid0(VALU_DEP_2) | instskip(SKIP_3) | instid1(VALU_DEP_1)
	v_add_co_ci_u32_e32 v51, vcc_lo, s41, v51, vcc_lo
	flat_load_u16 v10, v[50:51]
	s_waitcnt vmcnt(0) lgkmcnt(0)
	v_cvt_f32_f16_e32 v10, v10
	v_mul_f32_e32 v10, v43, v10
	s_branch .LBB56_113
.LBB56_112:
	v_mov_b32_e32 v10, 0
.LBB56_113:
	s_delay_alu instid0(VALU_DEP_1) | instskip(NEXT) | instid1(VALU_DEP_1)
	v_dual_add_f32 v63, v63, v10 :: v_dual_max_f32 v8, v8, v8
	v_add_f32_e32 v10, 0x40051340, v63
	s_delay_alu instid0(VALU_DEP_1)
	v_max_f32_e32 v8, v8, v10
	s_or_b32 exec_lo, exec_lo, s6
	s_and_saveexec_b32 s0, s1
	s_cbranch_execz .LBB56_108
.LBB56_114:
	v_cmp_ne_u32_e32 vcc_lo, 1, v53
	s_cbranch_vccnz .LBB56_116
; %bb.115:
	v_ashrrev_i32_e32 v10, 31, v9
	v_add_co_u32 v50, vcc_lo, v9, v34
	s_delay_alu instid0(VALU_DEP_2) | instskip(NEXT) | instid1(VALU_DEP_1)
	v_add_co_ci_u32_e32 v51, vcc_lo, 0, v10, vcc_lo
	v_lshlrev_b64 v[50:51], 1, v[50:51]
	s_delay_alu instid0(VALU_DEP_1) | instskip(NEXT) | instid1(VALU_DEP_2)
	v_add_co_u32 v50, vcc_lo, s40, v50
	v_add_co_ci_u32_e32 v51, vcc_lo, s41, v51, vcc_lo
	flat_load_u16 v10, v[50:51] offset:64
	s_waitcnt vmcnt(0) lgkmcnt(0)
	v_cvt_f32_f16_e32 v10, v10
	s_delay_alu instid0(VALU_DEP_1)
	v_mul_f32_e32 v10, v43, v10
	s_branch .LBB56_117
.LBB56_116:
	v_mov_b32_e32 v10, 0
.LBB56_117:
	s_delay_alu instid0(VALU_DEP_1) | instskip(NEXT) | instid1(VALU_DEP_1)
	v_dual_add_f32 v59, v59, v10 :: v_dual_max_f32 v8, v8, v8
	v_add_f32_e32 v10, 0x40051340, v59
	s_delay_alu instid0(VALU_DEP_1)
	v_max_f32_e32 v8, v8, v10
	s_or_b32 exec_lo, exec_lo, s0
	s_and_saveexec_b32 s0, s4
	s_cbranch_execz .LBB56_109
.LBB56_118:
	v_cmp_ne_u32_e32 vcc_lo, 1, v53
	s_cbranch_vccnz .LBB56_120
; %bb.119:
	v_ashrrev_i32_e32 v10, 31, v9
	v_add_co_u32 v50, vcc_lo, v9, v34
	s_delay_alu instid0(VALU_DEP_2) | instskip(NEXT) | instid1(VALU_DEP_1)
	v_add_co_ci_u32_e32 v51, vcc_lo, 0, v10, vcc_lo
	v_lshlrev_b64 v[50:51], 1, v[50:51]
	s_delay_alu instid0(VALU_DEP_1) | instskip(NEXT) | instid1(VALU_DEP_2)
	v_add_co_u32 v50, vcc_lo, s40, v50
	v_add_co_ci_u32_e32 v51, vcc_lo, s41, v51, vcc_lo
	flat_load_u16 v10, v[50:51] offset:128
	s_waitcnt vmcnt(0) lgkmcnt(0)
	v_cvt_f32_f16_e32 v10, v10
	s_delay_alu instid0(VALU_DEP_1)
	v_mul_f32_e32 v10, v43, v10
	s_branch .LBB56_121
.LBB56_120:
	v_mov_b32_e32 v10, 0
.LBB56_121:
	s_delay_alu instid0(VALU_DEP_1) | instskip(NEXT) | instid1(VALU_DEP_1)
	v_dual_add_f32 v15, v15, v10 :: v_dual_max_f32 v8, v8, v8
	v_add_f32_e32 v10, 0x40051340, v15
	s_delay_alu instid0(VALU_DEP_1)
	v_max_f32_e32 v8, v8, v10
	s_or_b32 exec_lo, exec_lo, s0
	s_and_saveexec_b32 s0, s5
	s_cbranch_execz .LBB56_126
.LBB56_122:
	v_cmp_ne_u32_e32 vcc_lo, 1, v53
	s_cbranch_vccnz .LBB56_124
; %bb.123:
	v_ashrrev_i32_e32 v10, 31, v9
	v_add_co_u32 v9, vcc_lo, v9, v34
	s_delay_alu instid0(VALU_DEP_2) | instskip(NEXT) | instid1(VALU_DEP_1)
	v_add_co_ci_u32_e32 v10, vcc_lo, 0, v10, vcc_lo
	v_lshlrev_b64 v[9:10], 1, v[9:10]
	s_delay_alu instid0(VALU_DEP_1) | instskip(NEXT) | instid1(VALU_DEP_2)
	v_add_co_u32 v9, vcc_lo, s40, v9
	v_add_co_ci_u32_e32 v10, vcc_lo, s41, v10, vcc_lo
	flat_load_u16 v9, v[9:10] offset:192
	s_waitcnt vmcnt(0) lgkmcnt(0)
	v_cvt_f32_f16_e32 v9, v9
	s_delay_alu instid0(VALU_DEP_1)
	v_mul_f32_e32 v9, v43, v9
	s_branch .LBB56_125
.LBB56_124:
	v_mov_b32_e32 v9, 0
.LBB56_125:
	s_delay_alu instid0(VALU_DEP_1) | instskip(SKIP_1) | instid1(VALU_DEP_2)
	v_add_f32_e32 v12, v12, v9
	v_max_f32_e32 v8, v8, v8
	v_add_f32_e32 v9, 0x40051340, v12
	s_delay_alu instid0(VALU_DEP_1)
	v_max_f32_e32 v8, v8, v9
.LBB56_126:
	s_or_b32 exec_lo, exec_lo, s0
	ds_bpermute_b32 v9, v54, v8
	v_max_f32_e32 v8, v8, v8
	s_waitcnt lgkmcnt(0)
	s_barrier
	buffer_gl0_inv
	v_lshl_add_u32 v75, v38, 1, v40
	v_lshlrev_b32_e32 v38, 2, v39
	v_dual_mov_b32 v40, 0 :: v_dual_add_nc_u32 v39, 0x9800, v0
	v_dual_sub_f32 v2, v2, v6 :: v_dual_sub_f32 v11, v11, v7
	v_sub_f32_e32 v3, v3, v7
	v_sub_f32_e32 v1, v1, v5
	ds_store_b32 v0, v40 offset:38912
	v_max_f32_e32 v9, v9, v9
	s_delay_alu instid0(VALU_DEP_1) | instskip(SKIP_3) | instid1(VALU_DEP_1)
	v_max_f32_e32 v8, v8, v9
	ds_bpermute_b32 v9, v70, v8
	s_waitcnt lgkmcnt(0)
	v_dual_max_f32 v9, v9, v9 :: v_dual_add_nc_u32 v70, 0x4800, v36
	v_max_f32_e32 v8, v8, v9
	ds_bpermute_b32 v9, v71, v8
	s_waitcnt lgkmcnt(0)
	v_max_f32_e32 v9, v9, v9
	s_delay_alu instid0(VALU_DEP_1) | instskip(SKIP_3) | instid1(VALU_DEP_1)
	v_max_f32_e32 v8, v8, v9
	ds_bpermute_b32 v9, v72, v8
	s_waitcnt lgkmcnt(0)
	v_max_f32_e32 v9, v9, v9
	v_max_f32_e32 v8, v8, v9
	ds_bpermute_b32 v9, v73, v8
	s_waitcnt lgkmcnt(0)
	v_max_f32_e32 v9, v9, v9
	s_delay_alu instid0(VALU_DEP_1) | instskip(SKIP_1) | instid1(VALU_DEP_1)
	v_max_f32_e32 v8, v8, v9
	v_sub_f32_e32 v9, v66, v5
	v_mul_f32_e32 v10, 0x3fb8aa3b, v9
	v_cmp_ngt_f32_e64 s0, 0xc2ce8ed0, v9
	v_cmp_nlt_f32_e32 vcc_lo, 0x42b17218, v9
	s_delay_alu instid0(VALU_DEP_3) | instskip(NEXT) | instid1(VALU_DEP_1)
	v_fma_f32 v43, 0x3fb8aa3b, v9, -v10
	v_fmac_f32_e32 v43, 0x32a5705f, v9
	v_sub_f32_e32 v9, v65, v6
	s_delay_alu instid0(VALU_DEP_1) | instskip(SKIP_2) | instid1(VALU_DEP_3)
	v_mul_f32_e32 v50, 0x3fb8aa3b, v9
	v_cmp_ngt_f32_e64 s4, 0xc2ce8ed0, v9
	v_cmp_nlt_f32_e64 s1, 0x42b17218, v9
	v_fma_f32 v51, 0x3fb8aa3b, v9, -v50
	s_delay_alu instid0(VALU_DEP_1) | instskip(SKIP_1) | instid1(VALU_DEP_1)
	v_fmac_f32_e32 v51, 0x32a5705f, v9
	v_sub_f32_e32 v9, v64, v7
	v_mul_f32_e32 v52, 0x3fb8aa3b, v9
	v_cmp_ngt_f32_e64 s6, 0xc2ce8ed0, v9
	v_cmp_nlt_f32_e64 s5, 0x42b17218, v9
	s_delay_alu instid0(VALU_DEP_3) | instskip(NEXT) | instid1(VALU_DEP_1)
	v_fma_f32 v53, 0x3fb8aa3b, v9, -v52
	v_fmac_f32_e32 v53, 0x32a5705f, v9
	v_rndne_f32_e32 v9, v10
	s_delay_alu instid0(VALU_DEP_1) | instskip(SKIP_1) | instid1(VALU_DEP_2)
	v_sub_f32_e32 v10, v10, v9
	v_cvt_i32_f32_e32 v9, v9
	v_add_f32_e32 v10, v10, v43
	v_rndne_f32_e32 v43, v50
	s_delay_alu instid0(VALU_DEP_2) | instskip(NEXT) | instid1(VALU_DEP_1)
	v_exp_f32_e32 v10, v10
	v_sub_f32_e32 v50, v50, v43
	v_cvt_i32_f32_e32 v43, v43
	s_delay_alu instid0(VALU_DEP_2)
	v_add_f32_e32 v50, v50, v51
	v_rndne_f32_e32 v51, v52
	s_waitcnt_depctr 0xfff
	v_ldexp_f32 v9, v10, v9
	v_exp_f32_e32 v10, v50
	v_sub_f32_e32 v52, v52, v51
	v_cvt_i32_f32_e32 v51, v51
	s_delay_alu instid0(VALU_DEP_3) | instskip(SKIP_1) | instid1(VALU_DEP_4)
	v_cndmask_b32_e64 v9, 0, v9, s0
	v_cmp_gt_u32_e64 s0, s9, v34
	v_add_f32_e32 v52, v52, v53
	s_delay_alu instid0(VALU_DEP_3) | instskip(NEXT) | instid1(TRANS32_DEP_1)
	v_cndmask_b32_e32 v9, 0x7f800000, v9, vcc_lo
	v_ldexp_f32 v10, v10, v43
	v_sub_f32_e32 v43, v63, v8
	s_delay_alu instid0(VALU_DEP_4) | instskip(NEXT) | instid1(VALU_DEP_2)
	v_exp_f32_e32 v52, v52
	v_cndmask_b32_e64 v10, 0, v10, s4
	s_delay_alu instid0(VALU_DEP_2) | instskip(SKIP_2) | instid1(VALU_DEP_4)
	v_mul_f32_e32 v50, 0x3fb8aa3b, v43
	v_cmp_ngt_f32_e64 s7, 0xc2ce8ed0, v43
	v_cmp_nlt_f32_e64 s8, 0x42b17218, v43
	v_cndmask_b32_e64 v10, 0x7f800000, v10, s1
	s_delay_alu instid0(VALU_DEP_4) | instskip(SKIP_1) | instid1(TRANS32_DEP_1)
	v_fma_f32 v53, 0x3fb8aa3b, v43, -v50
	v_rndne_f32_e32 v54, v50
	v_ldexp_f32 v51, v52, v51
	v_cndmask_b32_e64 v52, 0, v9, s0
	s_delay_alu instid0(VALU_DEP_3) | instskip(NEXT) | instid1(VALU_DEP_2)
	v_dual_fmac_f32 v53, 0x32a5705f, v43 :: v_dual_sub_f32 v50, v50, v54
	v_cvt_f16_f32_e32 v9, v52
	s_delay_alu instid0(VALU_DEP_2) | instskip(NEXT) | instid1(VALU_DEP_1)
	v_add_f32_e32 v50, v50, v53
	v_exp_f32_e32 v43, v50
	v_cvt_i32_f32_e32 v50, v54
	s_waitcnt_depctr 0xfff
	v_ldexp_f32 v43, v43, v50
	v_cndmask_b32_e64 v50, 0, v51, s6
	v_cndmask_b32_e64 v51, 0, v10, s0
	s_delay_alu instid0(VALU_DEP_3) | instskip(NEXT) | instid1(VALU_DEP_3)
	v_cndmask_b32_e64 v43, 0, v43, s7
	v_cndmask_b32_e64 v50, 0x7f800000, v50, s5
	s_delay_alu instid0(VALU_DEP_3) | instskip(NEXT) | instid1(VALU_DEP_3)
	v_cvt_f16_f32_e32 v10, v51
	v_cndmask_b32_e64 v43, 0x7f800000, v43, s8
	s_delay_alu instid0(VALU_DEP_3) | instskip(NEXT) | instid1(VALU_DEP_3)
	v_cndmask_b32_e64 v50, 0, v50, s0
	v_pack_b32_f16 v9, v9, v10
	s_delay_alu instid0(VALU_DEP_3) | instskip(NEXT) | instid1(VALU_DEP_3)
	v_cndmask_b32_e64 v43, 0, v43, s0
	v_cvt_f16_f32_e32 v10, v50
	s_delay_alu instid0(VALU_DEP_2) | instskip(NEXT) | instid1(VALU_DEP_1)
	v_cvt_f16_f32_e32 v53, v43
	v_pack_b32_f16 v10, v10, v53
	v_add_nc_u32_e32 v53, v70, v37
	ds_store_b64 v53, v[9:10]
	v_sub_f32_e32 v9, v60, v5
	s_delay_alu instid0(VALU_DEP_1) | instskip(SKIP_2) | instid1(VALU_DEP_3)
	v_mul_f32_e32 v10, 0x3fb8aa3b, v9
	v_cmp_ngt_f32_e32 vcc_lo, 0xc2ce8ed0, v9
	v_cmp_nlt_f32_e64 s0, 0x42b17218, v9
	v_fma_f32 v53, 0x3fb8aa3b, v9, -v10
	s_delay_alu instid0(VALU_DEP_1) | instskip(SKIP_1) | instid1(VALU_DEP_1)
	v_fmac_f32_e32 v53, 0x32a5705f, v9
	v_sub_f32_e32 v9, v61, v6
	v_mul_f32_e32 v54, 0x3fb8aa3b, v9
	v_cmp_ngt_f32_e64 s1, 0xc2ce8ed0, v9
	v_cmp_nlt_f32_e64 s4, 0x42b17218, v9
	s_delay_alu instid0(VALU_DEP_3) | instskip(NEXT) | instid1(VALU_DEP_1)
	v_fma_f32 v60, 0x3fb8aa3b, v9, -v54
	v_dual_fmac_f32 v60, 0x32a5705f, v9 :: v_dual_sub_f32 v9, v62, v7
	s_delay_alu instid0(VALU_DEP_1) | instskip(SKIP_2) | instid1(VALU_DEP_3)
	v_mul_f32_e32 v61, 0x3fb8aa3b, v9
	v_cmp_ngt_f32_e64 s5, 0xc2ce8ed0, v9
	v_cmp_nlt_f32_e64 s6, 0x42b17218, v9
	v_fma_f32 v62, 0x3fb8aa3b, v9, -v61
	s_delay_alu instid0(VALU_DEP_1) | instskip(SKIP_1) | instid1(VALU_DEP_1)
	v_fmac_f32_e32 v62, 0x32a5705f, v9
	v_rndne_f32_e32 v9, v10
	v_sub_f32_e32 v10, v10, v9
	v_cvt_i32_f32_e32 v9, v9
	s_delay_alu instid0(VALU_DEP_2) | instskip(SKIP_1) | instid1(VALU_DEP_2)
	v_add_f32_e32 v10, v10, v53
	v_rndne_f32_e32 v53, v54
	v_exp_f32_e32 v10, v10
	s_delay_alu instid0(VALU_DEP_1) | instskip(SKIP_1) | instid1(VALU_DEP_2)
	v_sub_f32_e32 v54, v54, v53
	v_cvt_i32_f32_e32 v53, v53
	v_add_f32_e32 v54, v54, v60
	v_rndne_f32_e32 v60, v61
	s_waitcnt_depctr 0xfff
	v_ldexp_f32 v9, v10, v9
	v_exp_f32_e32 v10, v54
	v_sub_f32_e32 v61, v61, v60
	v_cvt_i32_f32_e32 v60, v60
	v_sub_f32_e32 v15, v15, v8
	v_cndmask_b32_e32 v9, 0, v9, vcc_lo
	v_cmp_gt_u32_e32 vcc_lo, s9, v69
	v_dual_add_f32 v61, v61, v62 :: v_dual_sub_f32 v12, v12, v8
	v_sub_f32_e32 v4, v4, v8
	s_delay_alu instid0(VALU_DEP_4) | instskip(NEXT) | instid1(TRANS32_DEP_1)
	v_cndmask_b32_e64 v9, 0x7f800000, v9, s0
	v_ldexp_f32 v10, v10, v53
	v_sub_f32_e32 v53, v59, v8
	s_delay_alu instid0(VALU_DEP_2) | instskip(NEXT) | instid1(VALU_DEP_2)
	v_cndmask_b32_e64 v10, 0, v10, s1
	v_mul_f32_e32 v54, 0x3fb8aa3b, v53
	v_cmp_ngt_f32_e64 s7, 0xc2ce8ed0, v53
	v_cmp_nlt_f32_e64 s8, 0x42b17218, v53
	s_delay_alu instid0(VALU_DEP_4) | instskip(NEXT) | instid1(VALU_DEP_4)
	v_cndmask_b32_e64 v10, 0x7f800000, v10, s4
	v_fma_f32 v59, 0x3fb8aa3b, v53, -v54
	v_rndne_f32_e32 v62, v54
	s_delay_alu instid0(VALU_DEP_1) | instskip(NEXT) | instid1(VALU_DEP_1)
	v_dual_fmac_f32 v59, 0x32a5705f, v53 :: v_dual_sub_f32 v54, v54, v62
	v_add_f32_e32 v54, v54, v59
	v_exp_f32_e32 v59, v61
	s_delay_alu instid0(VALU_DEP_1)
	v_exp_f32_e32 v53, v54
	v_cvt_i32_f32_e32 v54, v62
	s_waitcnt_depctr 0xfff
	v_ldexp_f32 v59, v59, v60
	v_cndmask_b32_e32 v60, 0, v9, vcc_lo
	v_ldexp_f32 v53, v53, v54
	s_delay_alu instid0(VALU_DEP_3) | instskip(SKIP_1) | instid1(VALU_DEP_4)
	v_cndmask_b32_e64 v54, 0, v59, s5
	v_cndmask_b32_e32 v59, 0, v10, vcc_lo
	v_cvt_f16_f32_e32 v9, v60
	s_delay_alu instid0(VALU_DEP_4) | instskip(NEXT) | instid1(VALU_DEP_4)
	v_cndmask_b32_e64 v53, 0, v53, s7
	v_cndmask_b32_e64 v54, 0x7f800000, v54, s6
	s_delay_alu instid0(VALU_DEP_4) | instskip(SKIP_1) | instid1(VALU_DEP_4)
	v_cvt_f16_f32_e32 v10, v59
	v_cmp_ngt_f32_e64 s7, 0xc2ce8ed0, v15
	v_cndmask_b32_e64 v53, 0x7f800000, v53, s8
	s_delay_alu instid0(VALU_DEP_4) | instskip(NEXT) | instid1(VALU_DEP_4)
	v_cndmask_b32_e32 v54, 0, v54, vcc_lo
	v_pack_b32_f16 v9, v9, v10
	v_cmp_nlt_f32_e64 s8, 0x42b17218, v15
	s_delay_alu instid0(VALU_DEP_4) | instskip(NEXT) | instid1(VALU_DEP_4)
	v_cndmask_b32_e32 v53, 0, v53, vcc_lo
	v_cvt_f16_f32_e32 v10, v54
	s_delay_alu instid0(VALU_DEP_2) | instskip(NEXT) | instid1(VALU_DEP_1)
	v_cvt_f16_f32_e32 v61, v53
	v_pack_b32_f16 v10, v10, v61
	v_lshl_add_u32 v61, v69, 3, v70
	v_add_nc_u32_e32 v69, 16, v75
	ds_store_b64 v61, v[9:10]
	v_sub_f32_e32 v9, v16, v5
	s_delay_alu instid0(VALU_DEP_1) | instskip(SKIP_2) | instid1(VALU_DEP_3)
	v_mul_f32_e32 v10, 0x3fb8aa3b, v9
	v_cmp_ngt_f32_e32 vcc_lo, 0xc2ce8ed0, v9
	v_cmp_nlt_f32_e64 s0, 0x42b17218, v9
	v_fma_f32 v16, 0x3fb8aa3b, v9, -v10
	s_delay_alu instid0(VALU_DEP_1) | instskip(NEXT) | instid1(VALU_DEP_1)
	v_dual_fmac_f32 v16, 0x32a5705f, v9 :: v_dual_sub_f32 v9, v55, v6
	v_mul_f32_e32 v55, 0x3fb8aa3b, v9
	v_cmp_ngt_f32_e64 s1, 0xc2ce8ed0, v9
	v_cmp_nlt_f32_e64 s4, 0x42b17218, v9
	s_delay_alu instid0(VALU_DEP_3) | instskip(NEXT) | instid1(VALU_DEP_1)
	v_fma_f32 v61, 0x3fb8aa3b, v9, -v55
	v_fmac_f32_e32 v61, 0x32a5705f, v9
	v_sub_f32_e32 v9, v56, v7
	s_delay_alu instid0(VALU_DEP_1) | instskip(SKIP_2) | instid1(VALU_DEP_3)
	v_mul_f32_e32 v56, 0x3fb8aa3b, v9
	v_cmp_ngt_f32_e64 s5, 0xc2ce8ed0, v9
	v_cmp_nlt_f32_e64 s6, 0x42b17218, v9
	v_fma_f32 v62, 0x3fb8aa3b, v9, -v56
	s_delay_alu instid0(VALU_DEP_1) | instskip(SKIP_1) | instid1(VALU_DEP_1)
	v_fmac_f32_e32 v62, 0x32a5705f, v9
	v_rndne_f32_e32 v9, v10
	v_sub_f32_e32 v10, v10, v9
	v_cvt_i32_f32_e32 v9, v9
	s_delay_alu instid0(VALU_DEP_2) | instskip(SKIP_1) | instid1(VALU_DEP_2)
	v_add_f32_e32 v10, v10, v16
	v_rndne_f32_e32 v16, v55
	v_exp_f32_e32 v10, v10
	s_delay_alu instid0(VALU_DEP_1) | instskip(SKIP_1) | instid1(VALU_DEP_2)
	v_sub_f32_e32 v55, v55, v16
	v_cvt_i32_f32_e32 v16, v16
	v_add_f32_e32 v55, v55, v61
	v_rndne_f32_e32 v61, v56
	s_waitcnt_depctr 0xfff
	v_ldexp_f32 v9, v10, v9
	v_exp_f32_e32 v10, v55
	v_sub_f32_e32 v56, v56, v61
	s_delay_alu instid0(VALU_DEP_1) | instskip(NEXT) | instid1(VALU_DEP_1)
	v_dual_cndmask_b32 v9, 0, v9 :: v_dual_add_f32 v56, v56, v62
	v_cndmask_b32_e64 v9, 0x7f800000, v9, s0
	s_waitcnt_depctr 0xfff
	v_ldexp_f32 v10, v10, v16
	v_mul_f32_e32 v16, 0x3fb8aa3b, v15
	s_delay_alu instid0(VALU_DEP_2) | instskip(NEXT) | instid1(VALU_DEP_2)
	v_cndmask_b32_e64 v10, 0, v10, s1
	v_fma_f32 v55, 0x3fb8aa3b, v15, -v16
	v_rndne_f32_e32 v62, v16
	s_delay_alu instid0(VALU_DEP_3) | instskip(NEXT) | instid1(VALU_DEP_2)
	v_cndmask_b32_e64 v10, 0x7f800000, v10, s4
	v_dual_fmac_f32 v55, 0x32a5705f, v15 :: v_dual_sub_f32 v16, v16, v62
	s_delay_alu instid0(VALU_DEP_1) | instskip(SKIP_2) | instid1(VALU_DEP_2)
	v_add_f32_e32 v16, v16, v55
	v_exp_f32_e32 v55, v56
	v_cvt_i32_f32_e32 v56, v61
	v_exp_f32_e32 v16, v16
	s_waitcnt_depctr 0xfff
	v_ldexp_f32 v55, v55, v56
	v_cvt_i32_f32_e32 v56, v62
	s_delay_alu instid0(VALU_DEP_2) | instskip(NEXT) | instid1(VALU_DEP_2)
	v_cndmask_b32_e64 v15, 0, v55, s5
	v_ldexp_f32 v16, v16, v56
	v_cmp_gt_u32_e64 s5, s9, v68
	s_delay_alu instid0(VALU_DEP_3) | instskip(NEXT) | instid1(VALU_DEP_3)
	v_cndmask_b32_e64 v15, 0x7f800000, v15, s6
	v_cndmask_b32_e64 v16, 0, v16, s7
	s_delay_alu instid0(VALU_DEP_3)
	v_cndmask_b32_e64 v62, 0, v9, s5
	v_cndmask_b32_e64 v61, 0, v10, s5
	v_cmp_nlt_f32_e64 s6, 0x42b17218, v11
	v_cndmask_b32_e64 v56, 0, v15, s5
	v_cndmask_b32_e64 v16, 0x7f800000, v16, s8
	v_cmp_ngt_f32_e64 s7, 0xc2ce8ed0, v12
	v_cvt_f16_f32_e32 v15, v61
	v_cmp_nlt_f32_e64 s8, 0x42b17218, v12
	v_cvt_f16_f32_e32 v9, v56
	v_cndmask_b32_e64 v55, 0, v16, s5
	v_cmp_ngt_f32_e64 s5, 0xc2ce8ed0, v11
	s_delay_alu instid0(VALU_DEP_2) | instskip(NEXT) | instid1(VALU_DEP_1)
	v_cvt_f16_f32_e32 v10, v55
	v_pack_b32_f16 v10, v9, v10
	v_cvt_f16_f32_e32 v9, v62
	s_delay_alu instid0(VALU_DEP_1) | instskip(SKIP_4) | instid1(VALU_DEP_1)
	v_pack_b32_f16 v9, v9, v15
	v_lshl_add_u32 v15, v68, 3, v70
	v_lshl_or_b32 v68, v75, 8, v38
	ds_store_b64 v15, v[9:10]
	v_sub_f32_e32 v9, v13, v5
	v_mul_f32_e32 v10, 0x3fb8aa3b, v9
	v_cmp_ngt_f32_e32 vcc_lo, 0xc2ce8ed0, v9
	v_cmp_nlt_f32_e64 s0, 0x42b17218, v9
	s_delay_alu instid0(VALU_DEP_3) | instskip(SKIP_1) | instid1(VALU_DEP_1)
	v_fma_f32 v13, 0x3fb8aa3b, v9, -v10
	v_rndne_f32_e32 v15, v10
	v_dual_fmac_f32 v13, 0x32a5705f, v9 :: v_dual_sub_f32 v10, v10, v15
	v_cvt_i32_f32_e32 v15, v15
	s_delay_alu instid0(VALU_DEP_2) | instskip(SKIP_1) | instid1(VALU_DEP_2)
	v_add_f32_e32 v10, v10, v13
	v_sub_f32_e32 v13, v14, v6
	v_exp_f32_e32 v10, v10
	s_delay_alu instid0(VALU_DEP_1) | instskip(SKIP_2) | instid1(VALU_DEP_3)
	v_mul_f32_e32 v14, 0x3fb8aa3b, v13
	v_cmp_ngt_f32_e64 s1, 0xc2ce8ed0, v13
	v_cmp_nlt_f32_e64 s4, 0x42b17218, v13
	v_fma_f32 v16, 0x3fb8aa3b, v13, -v14
	v_rndne_f32_e32 v63, v14
	s_waitcnt_depctr 0xfff
	v_ldexp_f32 v10, v10, v15
	v_fmac_f32_e32 v16, 0x32a5705f, v13
	v_sub_f32_e32 v14, v14, v63
	s_delay_alu instid0(VALU_DEP_3) | instskip(SKIP_1) | instid1(VALU_DEP_3)
	v_dual_mul_f32 v13, 0x3fb8aa3b, v11 :: v_dual_cndmask_b32 v10, 0, v10
	v_cmp_gt_i32_e32 vcc_lo, s9, v75
	v_add_f32_e32 v14, v14, v16
	s_delay_alu instid0(VALU_DEP_3) | instskip(NEXT) | instid1(VALU_DEP_4)
	v_rndne_f32_e32 v15, v13
	v_cndmask_b32_e64 v10, 0x7f800000, v10, s0
	s_mul_i32 s0, s12, s13
	s_delay_alu instid0(VALU_DEP_3)
	v_exp_f32_e32 v9, v14
	v_cvt_i32_f32_e32 v14, v63
	s_waitcnt_depctr 0xfff
	v_ldexp_f32 v9, v9, v14
	v_fma_f32 v14, 0x3fb8aa3b, v11, -v13
	v_sub_f32_e32 v13, v13, v15
	v_cvt_i32_f32_e32 v15, v15
	s_delay_alu instid0(VALU_DEP_4) | instskip(NEXT) | instid1(VALU_DEP_4)
	v_cndmask_b32_e64 v9, 0, v9, s1
	v_fmac_f32_e32 v14, 0x32a5705f, v11
	s_mul_hi_i32 s1, s12, s13
	s_delay_alu instid0(SALU_CYCLE_1) | instskip(NEXT) | instid1(VALU_DEP_2)
	s_lshl_b64 s[0:1], s[0:1], 2
	v_cndmask_b32_e64 v9, 0x7f800000, v9, s4
	s_delay_alu instid0(VALU_DEP_2) | instskip(SKIP_1) | instid1(VALU_DEP_1)
	v_dual_add_f32 v13, v13, v14 :: v_dual_mul_f32 v14, 0x3fb8aa3b, v12
	s_lshl_b32 s4, s13, 4
	v_exp_f32_e32 v13, v13
	s_delay_alu instid0(VALU_DEP_1) | instskip(SKIP_1) | instid1(VALU_DEP_2)
	v_fma_f32 v16, 0x3fb8aa3b, v12, -v14
	v_rndne_f32_e32 v63, v14
	v_fmac_f32_e32 v16, 0x32a5705f, v12
	s_delay_alu instid0(VALU_DEP_2) | instskip(SKIP_3) | instid1(VALU_DEP_2)
	v_sub_f32_e32 v14, v14, v63
	s_waitcnt_depctr 0xfff
	v_ldexp_f32 v13, v13, v15
	v_add_f32_e32 v14, v14, v16
	v_cndmask_b32_e64 v12, 0, v13, s5
	v_cmp_gt_u32_e64 s5, s9, v67
	s_delay_alu instid0(VALU_DEP_3)
	v_exp_f32_e32 v11, v14
	v_cvt_i32_f32_e32 v14, v63
	v_mul_lo_u32 v13, s13, v75
	v_cndmask_b32_e64 v12, 0x7f800000, v12, s6
	v_cndmask_b32_e64 v66, 0, v10, s5
	;; [unrolled: 1-line block ×3, first 2 shown]
	s_delay_alu instid0(VALU_DEP_3) | instskip(NEXT) | instid1(TRANS32_DEP_1)
	v_cndmask_b32_e64 v64, 0, v12, s5
	v_ldexp_f32 v11, v11, v14
	v_ashrrev_i32_e32 v14, 31, v13
	s_delay_alu instid0(VALU_DEP_3) | instskip(NEXT) | instid1(VALU_DEP_3)
	v_cvt_f16_f32_e32 v9, v64
	v_cndmask_b32_e64 v11, 0, v11, s7
	s_delay_alu instid0(VALU_DEP_3) | instskip(SKIP_1) | instid1(VALU_DEP_2)
	v_lshlrev_b64 v[15:16], 2, v[13:14]
	s_mov_b64 s[6:7], src_shared_base
	v_cndmask_b32_e64 v11, 0x7f800000, v11, s8
	s_delay_alu instid0(VALU_DEP_1) | instskip(SKIP_3) | instid1(VALU_DEP_2)
	v_cndmask_b32_e64 v63, 0, v11, s5
	v_cvt_f16_f32_e32 v11, v65
	s_add_u32 s5, s15, s0
	s_addc_u32 s6, s18, s1
	v_cvt_f16_f32_e32 v10, v63
	s_delay_alu instid0(VALU_DEP_1) | instskip(SKIP_1) | instid1(VALU_DEP_1)
	v_pack_b32_f16 v10, v9, v10
	v_cvt_f16_f32_e32 v9, v66
	v_pack_b32_f16 v9, v9, v11
	v_lshl_add_u32 v11, v67, 3, v70
	v_add_nc_u32_e32 v67, 0x9804, v0
	v_add_nc_u32_e32 v70, s4, v13
	ds_store_b64 v11, v[9:10]
	v_add_co_u32 v9, s0, s5, v15
	s_delay_alu instid0(VALU_DEP_1) | instskip(SKIP_3) | instid1(VALU_DEP_1)
	v_add_co_ci_u32_e64 v10, s0, s6, v16, s0
	ds_store_2addr_b32 v67, v40, v40 offset1:1
	ds_store_b32 v0, v40 offset:38924
	v_add_co_u32 v9, s1, v9, v38
	v_add_co_ci_u32_e64 v10, s0, 0, v10, s1
	v_ashrrev_i32_e32 v71, 31, v70
	s_delay_alu instid0(VALU_DEP_3) | instskip(NEXT) | instid1(VALU_DEP_3)
	v_cndmask_b32_e32 v9, v39, v9, vcc_lo
	v_cndmask_b32_e32 v10, s7, v10, vcc_lo
	v_cmp_gt_i32_e32 vcc_lo, s9, v69
	flat_load_b128 v[9:12], v[9:10]
	s_waitcnt vmcnt(0) lgkmcnt(0)
	ds_store_b128 v68, v[9:12]
	v_lshlrev_b64 v[9:10], 2, v[70:71]
	ds_store_b32 v0, v40 offset:38912
	ds_store_2addr_b32 v67, v40, v40 offset1:1
	ds_store_b32 v0, v40 offset:38924
	v_lshl_or_b32 v71, v69, 8, v38
	v_add_co_u32 v11, s0, s5, v9
	s_delay_alu instid0(VALU_DEP_1) | instskip(NEXT) | instid1(VALU_DEP_2)
	v_add_co_ci_u32_e64 v12, s0, s6, v10, s0
	v_add_co_u32 v11, s1, v11, v38
	s_delay_alu instid0(VALU_DEP_1) | instskip(NEXT) | instid1(VALU_DEP_2)
	v_add_co_ci_u32_e64 v12, s0, 0, v12, s1
	v_cndmask_b32_e32 v11, v39, v11, vcc_lo
	s_delay_alu instid0(VALU_DEP_2)
	v_cndmask_b32_e32 v12, s7, v12, vcc_lo
	flat_load_b128 v[11:14], v[11:12]
	s_waitcnt vmcnt(0) lgkmcnt(0)
	ds_store_b128 v71, v[11:14]
	v_add_nc_u32_e32 v13, s4, v70
	v_add_nc_u32_e32 v70, 32, v75
	ds_store_b32 v0, v40 offset:38912
	ds_store_2addr_b32 v67, v40, v40 offset1:1
	ds_store_b32 v0, v40 offset:38924
	v_ashrrev_i32_e32 v14, 31, v13
	v_cmp_gt_i32_e32 vcc_lo, s9, v70
	s_delay_alu instid0(VALU_DEP_2) | instskip(SKIP_2) | instid1(VALU_DEP_3)
	v_lshlrev_b64 v[11:12], 2, v[13:14]
	v_add_nc_u32_e32 v13, s4, v13
	v_cmp_nlt_f32_e64 s4, 0x42b17218, v2
	v_add_co_u32 v14, s0, s5, v11
	s_delay_alu instid0(VALU_DEP_1) | instskip(NEXT) | instid1(VALU_DEP_2)
	v_add_co_ci_u32_e64 v72, s0, s6, v12, s0
	v_add_co_u32 v14, s1, v14, v38
	s_delay_alu instid0(VALU_DEP_1) | instskip(NEXT) | instid1(VALU_DEP_2)
	v_add_co_ci_u32_e64 v72, s0, 0, v72, s1
	v_cndmask_b32_e32 v73, v39, v14, vcc_lo
	v_ashrrev_i32_e32 v14, 31, v13
	s_delay_alu instid0(VALU_DEP_3) | instskip(SKIP_1) | instid1(VALU_DEP_3)
	v_cndmask_b32_e32 v74, s7, v72, vcc_lo
	v_lshl_or_b32 v72, v70, 8, v38
	v_lshlrev_b64 v[13:14], 2, v[13:14]
	flat_load_b128 v[76:79], v[73:74]
	v_add_nc_u32_e32 v74, 48, v75
	v_add_co_u32 v73, s0, s5, v13
	s_delay_alu instid0(VALU_DEP_2) | instskip(SKIP_1) | instid1(VALU_DEP_3)
	v_cmp_gt_i32_e32 vcc_lo, s9, v74
	v_cmp_ngt_f32_e64 s5, 0xc2ce8ed0, v3
	v_add_co_u32 v73, s1, v73, v38
	s_waitcnt vmcnt(0) lgkmcnt(0)
	ds_store_b128 v72, v[76:79]
	v_add_co_ci_u32_e64 v76, s0, s6, v14, s0
	ds_store_b32 v0, v40 offset:38912
	ds_store_2addr_b32 v67, v40, v40 offset1:1
	ds_store_b32 v0, v40 offset:38924
	v_cmp_nlt_f32_e64 s6, 0x42b17218, v3
	v_add_co_ci_u32_e64 v77, s0, 0, v76, s1
	v_cndmask_b32_e32 v76, v39, v73, vcc_lo
	v_cmp_nlt_f32_e64 s0, 0x42b17218, v1
	v_cmp_ngt_f32_e64 s1, 0xc2ce8ed0, v2
	s_delay_alu instid0(VALU_DEP_4)
	v_cndmask_b32_e32 v77, s7, v77, vcc_lo
	v_lshl_or_b32 v73, v74, 8, v38
	v_cmp_ngt_f32_e32 vcc_lo, 0xc2ce8ed0, v1
	flat_load_b128 v[76:79], v[76:77]
	s_waitcnt vmcnt(0) lgkmcnt(0)
	ds_store_b128 v73, v[76:79]
	v_mul_f32_e32 v76, 0x3fb8aa3b, v1
	s_waitcnt lgkmcnt(0)
	s_barrier
	buffer_gl0_inv
	v_fma_f32 v77, 0x3fb8aa3b, v1, -v76
	s_delay_alu instid0(VALU_DEP_1) | instskip(SKIP_1) | instid1(VALU_DEP_1)
	v_fmac_f32_e32 v77, 0x32a5705f, v1
	v_mul_f32_e32 v1, 0x3fb8aa3b, v2
	v_fma_f32 v78, 0x3fb8aa3b, v2, -v1
	s_delay_alu instid0(VALU_DEP_1) | instskip(SKIP_1) | instid1(VALU_DEP_1)
	v_fmac_f32_e32 v78, 0x32a5705f, v2
	v_mul_f32_e32 v2, 0x3fb8aa3b, v3
	v_fma_f32 v79, 0x3fb8aa3b, v3, -v2
	s_delay_alu instid0(VALU_DEP_1) | instskip(SKIP_1) | instid1(VALU_DEP_1)
	v_fmac_f32_e32 v79, 0x32a5705f, v3
	v_rndne_f32_e32 v3, v76
	v_sub_f32_e32 v76, v76, v3
	v_cvt_i32_f32_e32 v3, v3
	s_delay_alu instid0(VALU_DEP_2) | instskip(SKIP_1) | instid1(VALU_DEP_2)
	v_add_f32_e32 v76, v76, v77
	v_rndne_f32_e32 v77, v1
	v_exp_f32_e32 v76, v76
	s_delay_alu instid0(VALU_DEP_1) | instskip(NEXT) | instid1(VALU_DEP_1)
	v_sub_f32_e32 v1, v1, v77
	v_add_f32_e32 v1, v1, v78
	v_rndne_f32_e32 v78, v2
	s_waitcnt_depctr 0xfff
	v_ldexp_f32 v3, v76, v3
	v_exp_f32_e32 v1, v1
	v_sub_f32_e32 v2, v2, v78
	v_cvt_i32_f32_e32 v76, v77
	s_delay_alu instid0(VALU_DEP_2)
	v_add_f32_e32 v2, v2, v79
	s_waitcnt_depctr 0xfff
	v_ldexp_f32 v84, v1, v76
	v_exp_f32_e32 v1, v2
	v_cvt_i32_f32_e32 v2, v78
	ds_load_2addr_b64 v[76:79], v37 offset1:32
	ds_load_b128 v[80:83], v36 offset:18432
	v_ldexp_f32 v85, v1, v2
	v_cndmask_b32_e32 v1, 0, v3, vcc_lo
	v_cmp_ngt_f32_e32 vcc_lo, 0xc2ce8ed0, v4
	s_delay_alu instid0(VALU_DEP_2) | instskip(SKIP_1) | instid1(VALU_DEP_2)
	v_cndmask_b32_e64 v1, 0x7f800000, v1, s0
	v_cmp_nlt_f32_e64 s0, 0x42b17218, v4
	v_cvt_f16_f32_e32 v2, v1
	s_waitcnt lgkmcnt(0)
	v_pk_mul_f16 v3, v76, v80 op_sel_hi:[1,0]
	v_pk_mul_f16 v87, v76, v81 op_sel_hi:[1,0]
	s_delay_alu instid0(VALU_DEP_3) | instskip(NEXT) | instid1(VALU_DEP_3)
	v_pk_mul_f16 v49, v2, v49 op_sel_hi:[0,1]
	v_pk_fma_f16 v48, v2, v48, v3 op_sel_hi:[0,1,1]
	v_cndmask_b32_e64 v2, 0, v84, s1
	v_pk_mul_f16 v84, v76, v80 op_sel:[0,1]
	s_delay_alu instid0(VALU_DEP_4) | instskip(NEXT) | instid1(VALU_DEP_4)
	v_pk_fma_f16 v49, v77, v80, v49 op_sel_hi:[1,0,1]
	v_pk_fma_f16 v48, v78, v82, v48 op_sel_hi:[1,0,1]
	s_delay_alu instid0(VALU_DEP_4) | instskip(NEXT) | instid1(VALU_DEP_3)
	v_cndmask_b32_e64 v2, 0x7f800000, v2, s4
	v_pk_fma_f16 v49, v79, v82, v49 op_sel_hi:[1,0,1]
	s_delay_alu instid0(VALU_DEP_2) | instskip(NEXT) | instid1(VALU_DEP_1)
	v_cvt_f16_f32_e32 v3, v2
	v_pk_fma_f16 v46, v3, v46, v84 op_sel_hi:[0,1,1]
	v_pk_mul_f16 v47, v3, v47 op_sel_hi:[0,1]
	v_mul_f32_e32 v3, 0x3fb8aa3b, v4
	s_delay_alu instid0(VALU_DEP_2) | instskip(NEXT) | instid1(VALU_DEP_2)
	v_pk_fma_f16 v47, v77, v80, v47 op_sel:[0,1,0]
	v_fma_f32 v84, 0x3fb8aa3b, v4, -v3
	v_rndne_f32_e32 v86, v3
	s_delay_alu instid0(VALU_DEP_3) | instskip(NEXT) | instid1(VALU_DEP_2)
	v_pk_fma_f16 v80, v79, v82, v47 op_sel:[0,1,0]
	v_dual_fmac_f32 v84, 0x32a5705f, v4 :: v_dual_sub_f32 v3, v3, v86
	v_pk_fma_f16 v82, v78, v82, v46 op_sel:[0,1,0]
	s_delay_alu instid0(VALU_DEP_2) | instskip(SKIP_1) | instid1(VALU_DEP_2)
	v_add_f32_e32 v84, v3, v84
	v_cndmask_b32_e64 v3, 0, v85, s5
	v_exp_f32_e32 v84, v84
	s_delay_alu instid0(VALU_DEP_1) | instskip(NEXT) | instid1(VALU_DEP_1)
	v_cndmask_b32_e64 v3, 0x7f800000, v3, s6
	v_cvt_f16_f32_e32 v85, v3
	s_delay_alu instid0(VALU_DEP_1) | instskip(SKIP_2) | instid1(VALU_DEP_2)
	v_pk_fma_f16 v44, v85, v44, v87 op_sel_hi:[0,1,1]
	v_pk_mul_f16 v45, v85, v45 op_sel_hi:[0,1]
	v_cvt_i32_f32_e32 v85, v86
	v_pk_fma_f16 v45, v77, v81, v45 op_sel_hi:[1,0,1]
	s_delay_alu instid0(TRANS32_DEP_1) | instid1(VALU_DEP_2)
	v_ldexp_f32 v84, v84, v85
	s_delay_alu instid0(VALU_DEP_1) | instskip(NEXT) | instid1(VALU_DEP_1)
	v_cndmask_b32_e32 v4, 0, v84, vcc_lo
	v_cndmask_b32_e64 v4, 0x7f800000, v4, s0
	s_or_b32 s0, s12, 64
	s_delay_alu instid0(SALU_CYCLE_1) | instskip(SKIP_1) | instid1(VALU_DEP_1)
	s_mul_hi_i32 s1, s0, s13
	s_mul_i32 s0, s0, s13
	v_cvt_f16_f32_e32 v84, v4
	s_lshl_b64 s[4:5], s[0:1], 2
	s_delay_alu instid0(SALU_CYCLE_1) | instskip(SKIP_1) | instid1(VALU_DEP_1)
	s_add_u32 s1, s15, s4
	s_addc_u32 s4, s18, s5
	v_pk_mul_f16 v42, v84, v42 op_sel_hi:[0,1]
	v_pk_mul_f16 v41, v84, v41 op_sel_hi:[0,1]
	v_add_co_u32 v15, vcc_lo, s1, v15
	v_add_co_ci_u32_e32 v16, vcc_lo, s4, v16, vcc_lo
	s_delay_alu instid0(VALU_DEP_4) | instskip(NEXT) | instid1(VALU_DEP_4)
	v_pk_fma_f16 v42, v76, v81, v42 op_sel:[0,1,0]
	v_pk_fma_f16 v41, v77, v81, v41 op_sel:[0,1,0]
	v_pk_fma_f16 v81, v79, v83, v45 op_sel_hi:[1,0,1]
	s_sub_i32 s5, s9, 64
	v_add_co_u32 v15, s0, v15, v38
	v_pk_fma_f16 v42, v78, v83, v42 op_sel:[0,1,0]
	v_pk_fma_f16 v41, v79, v83, v41 op_sel:[0,1,0]
	v_pk_fma_f16 v83, v78, v83, v44 op_sel_hi:[1,0,1]
	ds_load_b128 v[44:47], v36 offset:18448
	ds_load_2addr_b64 v[76:79], v37 offset0:64 offset1:96
	v_cmp_gt_i32_e32 vcc_lo, s5, v75
	v_add_co_ci_u32_e64 v16, s0, 0, v16, s0
	v_cndmask_b32_e32 v15, v39, v15, vcc_lo
	s_delay_alu instid0(VALU_DEP_2) | instskip(SKIP_3) | instid1(VALU_DEP_3)
	v_cndmask_b32_e32 v16, s7, v16, vcc_lo
	v_add_co_u32 v9, vcc_lo, s1, v9
	v_add_co_ci_u32_e32 v10, vcc_lo, s4, v10, vcc_lo
	v_cmp_gt_i32_e32 vcc_lo, s5, v69
	v_add_co_u32 v9, s0, v9, v38
	s_delay_alu instid0(VALU_DEP_1) | instskip(NEXT) | instid1(VALU_DEP_2)
	v_add_co_ci_u32_e64 v10, s0, 0, v10, s0
	v_cndmask_b32_e32 v9, v39, v9, vcc_lo
	s_waitcnt lgkmcnt(0)
	v_pk_fma_f16 v42, v76, v45, v42 op_sel:[0,1,0]
	v_pk_fma_f16 v49, v77, v44, v49 op_sel_hi:[1,0,1]
	v_pk_fma_f16 v80, v77, v44, v80 op_sel:[0,1,0]
	v_pk_fma_f16 v81, v77, v45, v81 op_sel_hi:[1,0,1]
	;; [unrolled: 2-line block ×8, first 2 shown]
	ds_load_b128 v[44:47], v36 offset:18464
	ds_load_2addr_b64 v[76:79], v37 offset0:128 offset1:160
	v_cndmask_b32_e32 v10, s7, v10, vcc_lo
	s_waitcnt lgkmcnt(0)
	v_pk_fma_f16 v42, v76, v45, v42 op_sel:[0,1,0]
	v_pk_fma_f16 v49, v77, v44, v49 op_sel_hi:[1,0,1]
	v_pk_fma_f16 v80, v77, v44, v80 op_sel:[0,1,0]
	v_pk_fma_f16 v81, v77, v45, v81 op_sel_hi:[1,0,1]
	;; [unrolled: 2-line block ×8, first 2 shown]
	ds_load_b128 v[44:47], v36 offset:18480
	ds_load_2addr_b64 v[76:79], v37 offset0:192 offset1:224
	s_waitcnt lgkmcnt(0)
	v_pk_fma_f16 v41, v77, v45, v41 op_sel:[0,1,0]
	v_pk_fma_f16 v42, v76, v45, v42 op_sel:[0,1,0]
	v_pk_fma_f16 v49, v77, v44, v49 op_sel_hi:[1,0,1]
	v_pk_fma_f16 v80, v77, v44, v80 op_sel:[0,1,0]
	v_pk_fma_f16 v81, v77, v45, v81 op_sel_hi:[1,0,1]
	v_pk_fma_f16 v48, v76, v44, v48 op_sel_hi:[1,0,1]
	v_pk_fma_f16 v44, v76, v44, v82 op_sel:[0,1,0]
	v_pk_fma_f16 v45, v76, v45, v83 op_sel_hi:[1,0,1]
	v_pk_fma_f16 v82, v79, v47, v41 op_sel:[0,1,0]
	v_add_nc_u32_e32 v41, 0x800, v37
	v_pk_fma_f16 v42, v78, v47, v42 op_sel:[0,1,0]
	v_pk_fma_f16 v49, v79, v46, v49 op_sel_hi:[1,0,1]
	v_pk_fma_f16 v80, v79, v46, v80 op_sel:[0,1,0]
	v_pk_fma_f16 v81, v79, v47, v81 op_sel_hi:[1,0,1]
	v_pk_fma_f16 v48, v78, v46, v48 op_sel_hi:[1,0,1]
	v_pk_fma_f16 v83, v78, v46, v44 op_sel:[0,1,0]
	v_pk_fma_f16 v84, v78, v47, v45 op_sel_hi:[1,0,1]
	ds_load_2addr_b64 v[44:47], v41 offset1:32
	ds_load_b128 v[76:79], v36 offset:18496
	s_waitcnt lgkmcnt(0)
	v_pk_fma_f16 v42, v44, v77, v42 op_sel:[0,1,0]
	v_pk_fma_f16 v49, v45, v76, v49 op_sel_hi:[1,0,1]
	v_pk_fma_f16 v80, v45, v76, v80 op_sel:[0,1,0]
	v_pk_fma_f16 v81, v45, v77, v81 op_sel_hi:[1,0,1]
	v_pk_fma_f16 v45, v45, v77, v82 op_sel:[0,1,0]
	v_pk_fma_f16 v48, v44, v76, v48 op_sel_hi:[1,0,1]
	v_pk_fma_f16 v76, v44, v76, v83 op_sel:[0,1,0]
	v_pk_fma_f16 v44, v44, v77, v84 op_sel_hi:[1,0,1]
	v_pk_fma_f16 v42, v46, v79, v42 op_sel:[0,1,0]
	v_pk_fma_f16 v49, v47, v78, v49 op_sel_hi:[1,0,1]
	v_pk_fma_f16 v80, v47, v78, v80 op_sel:[0,1,0]
	v_pk_fma_f16 v81, v47, v79, v81 op_sel_hi:[1,0,1]
	v_pk_fma_f16 v82, v47, v79, v45 op_sel:[0,1,0]
	v_pk_fma_f16 v48, v46, v78, v48 op_sel_hi:[1,0,1]
	v_pk_fma_f16 v83, v46, v78, v76 op_sel:[0,1,0]
	v_pk_fma_f16 v84, v46, v79, v44 op_sel_hi:[1,0,1]
	ds_load_2addr_b64 v[44:47], v41 offset0:64 offset1:96
	ds_load_b128 v[76:79], v36 offset:18512
	s_waitcnt lgkmcnt(0)
	v_pk_fma_f16 v42, v44, v77, v42 op_sel:[0,1,0]
	v_pk_fma_f16 v49, v45, v76, v49 op_sel_hi:[1,0,1]
	v_pk_fma_f16 v80, v45, v76, v80 op_sel:[0,1,0]
	v_pk_fma_f16 v81, v45, v77, v81 op_sel_hi:[1,0,1]
	v_pk_fma_f16 v45, v45, v77, v82 op_sel:[0,1,0]
	v_pk_fma_f16 v48, v44, v76, v48 op_sel_hi:[1,0,1]
	v_pk_fma_f16 v76, v44, v76, v83 op_sel:[0,1,0]
	v_pk_fma_f16 v44, v44, v77, v84 op_sel_hi:[1,0,1]
	v_pk_fma_f16 v42, v46, v79, v42 op_sel:[0,1,0]
	v_pk_fma_f16 v49, v47, v78, v49 op_sel_hi:[1,0,1]
	v_pk_fma_f16 v80, v47, v78, v80 op_sel:[0,1,0]
	v_pk_fma_f16 v81, v47, v79, v81 op_sel_hi:[1,0,1]
	v_pk_fma_f16 v82, v47, v79, v45 op_sel:[0,1,0]
	v_pk_fma_f16 v48, v46, v78, v48 op_sel_hi:[1,0,1]
	v_pk_fma_f16 v83, v46, v78, v76 op_sel:[0,1,0]
	v_pk_fma_f16 v84, v46, v79, v44 op_sel_hi:[1,0,1]
	ds_load_2addr_b64 v[44:47], v41 offset0:128 offset1:160
	;; [unrolled: 19-line block ×3, first 2 shown]
	ds_load_b128 v[76:79], v36 offset:18544
	s_waitcnt lgkmcnt(0)
	v_pk_fma_f16 v42, v44, v77, v42 op_sel:[0,1,0]
	v_pk_fma_f16 v49, v45, v76, v49 op_sel_hi:[1,0,1]
	v_pk_fma_f16 v80, v45, v76, v80 op_sel:[0,1,0]
	v_pk_fma_f16 v81, v45, v77, v81 op_sel_hi:[1,0,1]
	;; [unrolled: 2-line block ×4, first 2 shown]
	v_pk_fma_f16 v82, v46, v79, v42 op_sel:[0,1,0]
	v_add_nc_u32_e32 v42, 0x1000, v37
	v_pk_fma_f16 v49, v47, v78, v49 op_sel_hi:[1,0,1]
	v_pk_fma_f16 v80, v47, v78, v80 op_sel:[0,1,0]
	v_pk_fma_f16 v81, v47, v79, v81 op_sel_hi:[1,0,1]
	v_pk_fma_f16 v83, v47, v79, v45 op_sel:[0,1,0]
	;; [unrolled: 2-line block ×3, first 2 shown]
	v_pk_fma_f16 v85, v46, v79, v44 op_sel_hi:[1,0,1]
	ds_load_2addr_b64 v[44:47], v42 offset1:32
	ds_load_b128 v[76:79], v36 offset:18560
	s_waitcnt lgkmcnt(0)
	v_pk_fma_f16 v82, v44, v77, v82 op_sel:[0,1,0]
	v_pk_fma_f16 v49, v45, v76, v49 op_sel_hi:[1,0,1]
	v_pk_fma_f16 v80, v45, v76, v80 op_sel:[0,1,0]
	v_pk_fma_f16 v81, v45, v77, v81 op_sel_hi:[1,0,1]
	v_pk_fma_f16 v45, v45, v77, v83 op_sel:[0,1,0]
	v_pk_fma_f16 v48, v44, v76, v48 op_sel_hi:[1,0,1]
	v_pk_fma_f16 v76, v44, v76, v84 op_sel:[0,1,0]
	v_pk_fma_f16 v44, v44, v77, v85 op_sel_hi:[1,0,1]
	v_pk_fma_f16 v82, v46, v79, v82 op_sel:[0,1,0]
	v_pk_fma_f16 v49, v47, v78, v49 op_sel_hi:[1,0,1]
	v_pk_fma_f16 v80, v47, v78, v80 op_sel:[0,1,0]
	v_pk_fma_f16 v81, v47, v79, v81 op_sel_hi:[1,0,1]
	v_pk_fma_f16 v83, v47, v79, v45 op_sel:[0,1,0]
	v_pk_fma_f16 v48, v46, v78, v48 op_sel_hi:[1,0,1]
	v_pk_fma_f16 v84, v46, v78, v76 op_sel:[0,1,0]
	v_pk_fma_f16 v85, v46, v79, v44 op_sel_hi:[1,0,1]
	ds_load_2addr_b64 v[44:47], v42 offset0:64 offset1:96
	ds_load_b128 v[76:79], v36 offset:18576
	s_waitcnt lgkmcnt(0)
	v_pk_fma_f16 v82, v44, v77, v82 op_sel:[0,1,0]
	v_pk_fma_f16 v49, v45, v76, v49 op_sel_hi:[1,0,1]
	v_pk_fma_f16 v80, v45, v76, v80 op_sel:[0,1,0]
	v_pk_fma_f16 v81, v45, v77, v81 op_sel_hi:[1,0,1]
	v_pk_fma_f16 v45, v45, v77, v83 op_sel:[0,1,0]
	v_pk_fma_f16 v48, v44, v76, v48 op_sel_hi:[1,0,1]
	v_pk_fma_f16 v76, v44, v76, v84 op_sel:[0,1,0]
	v_pk_fma_f16 v44, v44, v77, v85 op_sel_hi:[1,0,1]
	v_pk_fma_f16 v82, v46, v79, v82 op_sel:[0,1,0]
	v_pk_fma_f16 v49, v47, v78, v49 op_sel_hi:[1,0,1]
	v_pk_fma_f16 v80, v47, v78, v80 op_sel:[0,1,0]
	v_pk_fma_f16 v81, v47, v79, v81 op_sel_hi:[1,0,1]
	v_pk_fma_f16 v83, v47, v79, v45 op_sel:[0,1,0]
	v_pk_fma_f16 v48, v46, v78, v48 op_sel_hi:[1,0,1]
	v_pk_fma_f16 v84, v46, v78, v76 op_sel:[0,1,0]
	v_pk_fma_f16 v85, v46, v79, v44 op_sel_hi:[1,0,1]
	ds_load_2addr_b64 v[44:47], v42 offset0:128 offset1:160
	;; [unrolled: 19-line block ×3, first 2 shown]
	ds_load_b128 v[76:79], v36 offset:18608
	s_waitcnt lgkmcnt(0)
	v_pk_fma_f16 v82, v44, v77, v82 op_sel:[0,1,0]
	v_pk_fma_f16 v49, v45, v76, v49 op_sel_hi:[1,0,1]
	v_pk_fma_f16 v80, v45, v76, v80 op_sel:[0,1,0]
	v_pk_fma_f16 v48, v44, v76, v48 op_sel_hi:[1,0,1]
	;; [unrolled: 2-line block ×3, first 2 shown]
	v_pk_fma_f16 v81, v45, v77, v81 op_sel_hi:[1,0,1]
	v_pk_fma_f16 v45, v45, v77, v83 op_sel:[0,1,0]
	v_pk_fma_f16 v82, v46, v79, v82 op_sel:[0,1,0]
	v_pk_fma_f16 v49, v47, v78, v49 op_sel_hi:[1,0,1]
	v_pk_fma_f16 v86, v46, v79, v44 op_sel_hi:[1,0,1]
	v_add_nc_u32_e32 v44, 0x1800, v37
	v_pk_fma_f16 v80, v47, v78, v80 op_sel:[0,1,0]
	v_pk_fma_f16 v81, v47, v79, v81 op_sel_hi:[1,0,1]
	v_pk_fma_f16 v83, v47, v79, v45 op_sel:[0,1,0]
	v_pk_fma_f16 v84, v46, v78, v48 op_sel_hi:[1,0,1]
	v_pk_fma_f16 v85, v46, v78, v76 op_sel:[0,1,0]
	ds_load_2addr_b64 v[45:48], v44 offset1:32
	ds_load_b128 v[76:79], v36 offset:18624
	s_waitcnt lgkmcnt(0)
	v_pk_fma_f16 v82, v45, v77, v82 op_sel:[0,1,0]
	v_pk_fma_f16 v49, v46, v76, v49 op_sel_hi:[1,0,1]
	v_pk_fma_f16 v80, v46, v76, v80 op_sel:[0,1,0]
	v_pk_fma_f16 v81, v46, v77, v81 op_sel_hi:[1,0,1]
	v_pk_fma_f16 v46, v46, v77, v83 op_sel:[0,1,0]
	v_pk_fma_f16 v83, v45, v76, v84 op_sel_hi:[1,0,1]
	v_pk_fma_f16 v76, v45, v76, v85 op_sel:[0,1,0]
	v_pk_fma_f16 v45, v45, v77, v86 op_sel_hi:[1,0,1]
	v_pk_fma_f16 v82, v47, v79, v82 op_sel:[0,1,0]
	v_pk_fma_f16 v49, v48, v78, v49 op_sel_hi:[1,0,1]
	v_pk_fma_f16 v80, v48, v78, v80 op_sel:[0,1,0]
	v_pk_fma_f16 v81, v48, v79, v81 op_sel_hi:[1,0,1]
	v_pk_fma_f16 v84, v48, v79, v46 op_sel:[0,1,0]
	v_pk_fma_f16 v83, v47, v78, v83 op_sel_hi:[1,0,1]
	v_pk_fma_f16 v85, v47, v78, v76 op_sel:[0,1,0]
	v_pk_fma_f16 v86, v47, v79, v45 op_sel_hi:[1,0,1]
	ds_load_2addr_b64 v[45:48], v44 offset0:64 offset1:96
	ds_load_b128 v[76:79], v36 offset:18640
	s_waitcnt lgkmcnt(0)
	v_pk_fma_f16 v82, v45, v77, v82 op_sel:[0,1,0]
	v_pk_fma_f16 v49, v46, v76, v49 op_sel_hi:[1,0,1]
	v_pk_fma_f16 v80, v46, v76, v80 op_sel:[0,1,0]
	v_pk_fma_f16 v81, v46, v77, v81 op_sel_hi:[1,0,1]
	v_pk_fma_f16 v46, v46, v77, v84 op_sel:[0,1,0]
	v_pk_fma_f16 v83, v45, v76, v83 op_sel_hi:[1,0,1]
	v_pk_fma_f16 v76, v45, v76, v85 op_sel:[0,1,0]
	v_pk_fma_f16 v45, v45, v77, v86 op_sel_hi:[1,0,1]
	v_pk_fma_f16 v82, v47, v79, v82 op_sel:[0,1,0]
	v_pk_fma_f16 v49, v48, v78, v49 op_sel_hi:[1,0,1]
	v_pk_fma_f16 v80, v48, v78, v80 op_sel:[0,1,0]
	v_pk_fma_f16 v81, v48, v79, v81 op_sel_hi:[1,0,1]
	v_pk_fma_f16 v84, v48, v79, v46 op_sel:[0,1,0]
	v_pk_fma_f16 v83, v47, v78, v83 op_sel_hi:[1,0,1]
	v_pk_fma_f16 v85, v47, v78, v76 op_sel:[0,1,0]
	v_pk_fma_f16 v86, v47, v79, v45 op_sel_hi:[1,0,1]
	ds_load_2addr_b64 v[45:48], v44 offset0:128 offset1:160
	;; [unrolled: 19-line block ×3, first 2 shown]
	ds_load_b128 v[76:79], v36 offset:18672
	s_waitcnt lgkmcnt(0)
	v_pk_fma_f16 v82, v45, v77, v82 op_sel:[0,1,0]
	v_pk_fma_f16 v49, v46, v76, v49 op_sel_hi:[1,0,1]
	v_pk_fma_f16 v80, v46, v76, v80 op_sel:[0,1,0]
	v_pk_fma_f16 v83, v45, v76, v83 op_sel_hi:[1,0,1]
	;; [unrolled: 2-line block ×3, first 2 shown]
	v_pk_fma_f16 v81, v46, v77, v81 op_sel_hi:[1,0,1]
	v_pk_fma_f16 v46, v46, v77, v84 op_sel:[0,1,0]
	v_pk_fma_f16 v82, v47, v79, v82 op_sel:[0,1,0]
	v_pk_fma_f16 v84, v48, v78, v49 op_sel_hi:[1,0,1]
	v_pk_fma_f16 v87, v47, v79, v45 op_sel_hi:[1,0,1]
	v_add_nc_u32_e32 v45, 0x2000, v37
	v_pk_fma_f16 v80, v48, v78, v80 op_sel:[0,1,0]
	v_pk_fma_f16 v81, v48, v79, v81 op_sel_hi:[1,0,1]
	v_pk_fma_f16 v85, v48, v79, v46 op_sel:[0,1,0]
	v_pk_fma_f16 v83, v47, v78, v83 op_sel_hi:[1,0,1]
	v_pk_fma_f16 v86, v47, v78, v76 op_sel:[0,1,0]
	ds_load_2addr_b64 v[46:49], v45 offset1:32
	ds_load_b128 v[76:79], v36 offset:18688
	s_waitcnt lgkmcnt(0)
	v_pk_fma_f16 v82, v46, v77, v82 op_sel:[0,1,0]
	v_pk_fma_f16 v84, v47, v76, v84 op_sel_hi:[1,0,1]
	v_pk_fma_f16 v80, v47, v76, v80 op_sel:[0,1,0]
	v_pk_fma_f16 v81, v47, v77, v81 op_sel_hi:[1,0,1]
	v_pk_fma_f16 v47, v47, v77, v85 op_sel:[0,1,0]
	v_pk_fma_f16 v83, v46, v76, v83 op_sel_hi:[1,0,1]
	v_pk_fma_f16 v76, v46, v76, v86 op_sel:[0,1,0]
	v_pk_fma_f16 v46, v46, v77, v87 op_sel_hi:[1,0,1]
	v_pk_fma_f16 v82, v48, v79, v82 op_sel:[0,1,0]
	v_pk_fma_f16 v84, v49, v78, v84 op_sel_hi:[1,0,1]
	v_pk_fma_f16 v80, v49, v78, v80 op_sel:[0,1,0]
	v_pk_fma_f16 v81, v49, v79, v81 op_sel_hi:[1,0,1]
	v_pk_fma_f16 v85, v49, v79, v47 op_sel:[0,1,0]
	v_pk_fma_f16 v83, v48, v78, v83 op_sel_hi:[1,0,1]
	v_pk_fma_f16 v86, v48, v78, v76 op_sel:[0,1,0]
	v_pk_fma_f16 v87, v48, v79, v46 op_sel_hi:[1,0,1]
	ds_load_2addr_b64 v[46:49], v45 offset0:64 offset1:96
	ds_load_b128 v[76:79], v36 offset:18704
	s_waitcnt lgkmcnt(0)
	v_pk_fma_f16 v82, v46, v77, v82 op_sel:[0,1,0]
	v_pk_fma_f16 v84, v47, v76, v84 op_sel_hi:[1,0,1]
	v_pk_fma_f16 v80, v47, v76, v80 op_sel:[0,1,0]
	v_pk_fma_f16 v81, v47, v77, v81 op_sel_hi:[1,0,1]
	v_pk_fma_f16 v47, v47, v77, v85 op_sel:[0,1,0]
	v_pk_fma_f16 v83, v46, v76, v83 op_sel_hi:[1,0,1]
	v_pk_fma_f16 v76, v46, v76, v86 op_sel:[0,1,0]
	v_pk_fma_f16 v46, v46, v77, v87 op_sel_hi:[1,0,1]
	v_pk_fma_f16 v82, v48, v79, v82 op_sel:[0,1,0]
	v_pk_fma_f16 v84, v49, v78, v84 op_sel_hi:[1,0,1]
	v_pk_fma_f16 v80, v49, v78, v80 op_sel:[0,1,0]
	v_pk_fma_f16 v81, v49, v79, v81 op_sel_hi:[1,0,1]
	v_pk_fma_f16 v85, v49, v79, v47 op_sel:[0,1,0]
	v_pk_fma_f16 v83, v48, v78, v83 op_sel_hi:[1,0,1]
	v_pk_fma_f16 v86, v48, v78, v76 op_sel:[0,1,0]
	v_pk_fma_f16 v87, v48, v79, v46 op_sel_hi:[1,0,1]
	ds_load_2addr_b64 v[46:49], v45 offset0:128 offset1:160
	;; [unrolled: 19-line block ×3, first 2 shown]
	ds_load_b128 v[76:79], v36 offset:18736
	s_waitcnt lgkmcnt(0)
	v_pk_fma_f16 v82, v46, v77, v82 op_sel:[0,1,0]
	v_pk_fma_f16 v84, v47, v76, v84 op_sel_hi:[1,0,1]
	v_pk_fma_f16 v80, v47, v76, v80 op_sel:[0,1,0]
	v_pk_fma_f16 v81, v47, v77, v81 op_sel_hi:[1,0,1]
	v_pk_fma_f16 v47, v47, v77, v85 op_sel:[0,1,0]
	v_pk_fma_f16 v83, v46, v76, v83 op_sel_hi:[1,0,1]
	v_pk_fma_f16 v76, v46, v76, v86 op_sel:[0,1,0]
	v_pk_fma_f16 v46, v46, v77, v87 op_sel_hi:[1,0,1]
	v_pk_fma_f16 v85, v48, v79, v82 op_sel:[0,1,0]
	v_pk_fma_f16 v84, v49, v78, v84 op_sel_hi:[1,0,1]
	v_pk_fma_f16 v86, v49, v78, v80 op_sel:[0,1,0]
	v_pk_fma_f16 v87, v49, v79, v81 op_sel_hi:[1,0,1]
	v_pk_fma_f16 v47, v49, v79, v47 op_sel:[0,1,0]
	v_pk_fma_f16 v49, v48, v78, v83 op_sel_hi:[1,0,1]
	v_pk_fma_f16 v88, v48, v78, v76 op_sel:[0,1,0]
	v_pk_fma_f16 v48, v48, v79, v46 op_sel_hi:[1,0,1]
	v_add_nc_u32_e32 v46, 0x2800, v37
	ds_load_2addr_b64 v[76:79], v46 offset1:32
	ds_load_b128 v[80:83], v36 offset:18752
	s_waitcnt lgkmcnt(0)
	v_pk_fma_f16 v85, v76, v81, v85 op_sel:[0,1,0]
	v_pk_fma_f16 v84, v77, v80, v84 op_sel_hi:[1,0,1]
	v_pk_fma_f16 v86, v77, v80, v86 op_sel:[0,1,0]
	v_pk_fma_f16 v87, v77, v81, v87 op_sel_hi:[1,0,1]
	v_pk_fma_f16 v47, v77, v81, v47 op_sel:[0,1,0]
	v_pk_fma_f16 v49, v76, v80, v49 op_sel_hi:[1,0,1]
	v_pk_fma_f16 v77, v76, v80, v88 op_sel:[0,1,0]
	v_pk_fma_f16 v48, v76, v81, v48 op_sel_hi:[1,0,1]
	v_pk_fma_f16 v85, v78, v83, v85 op_sel:[0,1,0]
	v_pk_fma_f16 v84, v79, v82, v84 op_sel_hi:[1,0,1]
	v_pk_fma_f16 v86, v79, v82, v86 op_sel:[0,1,0]
	v_pk_fma_f16 v87, v79, v83, v87 op_sel_hi:[1,0,1]
	v_pk_fma_f16 v47, v79, v83, v47 op_sel:[0,1,0]
	v_pk_fma_f16 v49, v78, v82, v49 op_sel_hi:[1,0,1]
	v_pk_fma_f16 v88, v78, v82, v77 op_sel:[0,1,0]
	v_pk_fma_f16 v48, v78, v83, v48 op_sel_hi:[1,0,1]
	ds_load_2addr_b64 v[76:79], v46 offset0:64 offset1:96
	ds_load_b128 v[80:83], v36 offset:18768
	s_waitcnt lgkmcnt(0)
	v_pk_fma_f16 v85, v76, v81, v85 op_sel:[0,1,0]
	v_pk_fma_f16 v84, v77, v80, v84 op_sel_hi:[1,0,1]
	v_pk_fma_f16 v86, v77, v80, v86 op_sel:[0,1,0]
	v_pk_fma_f16 v87, v77, v81, v87 op_sel_hi:[1,0,1]
	v_pk_fma_f16 v47, v77, v81, v47 op_sel:[0,1,0]
	v_pk_fma_f16 v49, v76, v80, v49 op_sel_hi:[1,0,1]
	v_pk_fma_f16 v77, v76, v80, v88 op_sel:[0,1,0]
	v_pk_fma_f16 v48, v76, v81, v48 op_sel_hi:[1,0,1]
	v_pk_fma_f16 v85, v78, v83, v85 op_sel:[0,1,0]
	v_pk_fma_f16 v84, v79, v82, v84 op_sel_hi:[1,0,1]
	v_pk_fma_f16 v86, v79, v82, v86 op_sel:[0,1,0]
	v_pk_fma_f16 v87, v79, v83, v87 op_sel_hi:[1,0,1]
	v_pk_fma_f16 v47, v79, v83, v47 op_sel:[0,1,0]
	v_pk_fma_f16 v49, v78, v82, v49 op_sel_hi:[1,0,1]
	v_pk_fma_f16 v88, v78, v82, v77 op_sel:[0,1,0]
	v_pk_fma_f16 v48, v78, v83, v48 op_sel_hi:[1,0,1]
	ds_load_2addr_b64 v[76:79], v46 offset0:128 offset1:160
	;; [unrolled: 19-line block ×3, first 2 shown]
	ds_load_b128 v[80:83], v36 offset:18800
	s_waitcnt lgkmcnt(0)
	v_pk_fma_f16 v47, v77, v81, v47 op_sel:[0,1,0]
	v_pk_fma_f16 v85, v76, v81, v85 op_sel:[0,1,0]
	v_pk_fma_f16 v84, v77, v80, v84 op_sel_hi:[1,0,1]
	v_pk_fma_f16 v86, v77, v80, v86 op_sel:[0,1,0]
	v_pk_fma_f16 v87, v77, v81, v87 op_sel_hi:[1,0,1]
	v_pk_fma_f16 v49, v76, v80, v49 op_sel_hi:[1,0,1]
	v_pk_fma_f16 v77, v76, v80, v88 op_sel:[0,1,0]
	v_pk_fma_f16 v48, v76, v81, v48 op_sel_hi:[1,0,1]
	v_pk_fma_f16 v88, v79, v83, v47 op_sel:[0,1,0]
	v_add_nc_u32_e32 v47, 0x3000, v37
	v_pk_fma_f16 v85, v78, v83, v85 op_sel:[0,1,0]
	v_pk_fma_f16 v84, v79, v82, v84 op_sel_hi:[1,0,1]
	v_pk_fma_f16 v86, v79, v82, v86 op_sel:[0,1,0]
	v_pk_fma_f16 v87, v79, v83, v87 op_sel_hi:[1,0,1]
	v_pk_fma_f16 v49, v78, v82, v49 op_sel_hi:[1,0,1]
	v_pk_fma_f16 v89, v78, v82, v77 op_sel:[0,1,0]
	v_pk_fma_f16 v48, v78, v83, v48 op_sel_hi:[1,0,1]
	ds_load_2addr_b64 v[76:79], v47 offset1:32
	ds_load_b128 v[80:83], v36 offset:18816
	s_waitcnt lgkmcnt(0)
	v_pk_fma_f16 v85, v76, v81, v85 op_sel:[0,1,0]
	v_pk_fma_f16 v84, v77, v80, v84 op_sel_hi:[1,0,1]
	v_pk_fma_f16 v86, v77, v80, v86 op_sel:[0,1,0]
	v_pk_fma_f16 v87, v77, v81, v87 op_sel_hi:[1,0,1]
	v_pk_fma_f16 v77, v77, v81, v88 op_sel:[0,1,0]
	v_pk_fma_f16 v49, v76, v80, v49 op_sel_hi:[1,0,1]
	v_pk_fma_f16 v80, v76, v80, v89 op_sel:[0,1,0]
	v_pk_fma_f16 v48, v76, v81, v48 op_sel_hi:[1,0,1]
	v_pk_fma_f16 v85, v78, v83, v85 op_sel:[0,1,0]
	v_pk_fma_f16 v84, v79, v82, v84 op_sel_hi:[1,0,1]
	v_pk_fma_f16 v86, v79, v82, v86 op_sel:[0,1,0]
	v_pk_fma_f16 v87, v79, v83, v87 op_sel_hi:[1,0,1]
	v_pk_fma_f16 v88, v79, v83, v77 op_sel:[0,1,0]
	v_pk_fma_f16 v49, v78, v82, v49 op_sel_hi:[1,0,1]
	v_pk_fma_f16 v89, v78, v82, v80 op_sel:[0,1,0]
	v_pk_fma_f16 v48, v78, v83, v48 op_sel_hi:[1,0,1]
	ds_load_2addr_b64 v[76:79], v47 offset0:64 offset1:96
	ds_load_b128 v[80:83], v36 offset:18832
	s_waitcnt lgkmcnt(0)
	v_pk_fma_f16 v85, v76, v81, v85 op_sel:[0,1,0]
	v_pk_fma_f16 v84, v77, v80, v84 op_sel_hi:[1,0,1]
	v_pk_fma_f16 v86, v77, v80, v86 op_sel:[0,1,0]
	v_pk_fma_f16 v87, v77, v81, v87 op_sel_hi:[1,0,1]
	v_pk_fma_f16 v77, v77, v81, v88 op_sel:[0,1,0]
	v_pk_fma_f16 v49, v76, v80, v49 op_sel_hi:[1,0,1]
	v_pk_fma_f16 v80, v76, v80, v89 op_sel:[0,1,0]
	v_pk_fma_f16 v48, v76, v81, v48 op_sel_hi:[1,0,1]
	v_pk_fma_f16 v85, v78, v83, v85 op_sel:[0,1,0]
	v_pk_fma_f16 v84, v79, v82, v84 op_sel_hi:[1,0,1]
	v_pk_fma_f16 v86, v79, v82, v86 op_sel:[0,1,0]
	v_pk_fma_f16 v87, v79, v83, v87 op_sel_hi:[1,0,1]
	v_pk_fma_f16 v88, v79, v83, v77 op_sel:[0,1,0]
	v_pk_fma_f16 v49, v78, v82, v49 op_sel_hi:[1,0,1]
	v_pk_fma_f16 v89, v78, v82, v80 op_sel:[0,1,0]
	v_pk_fma_f16 v48, v78, v83, v48 op_sel_hi:[1,0,1]
	ds_load_2addr_b64 v[76:79], v47 offset0:128 offset1:160
	;; [unrolled: 19-line block ×3, first 2 shown]
	ds_load_b128 v[80:83], v36 offset:18864
	s_waitcnt lgkmcnt(0)
	v_pk_fma_f16 v48, v76, v81, v48 op_sel_hi:[1,0,1]
	v_pk_fma_f16 v85, v76, v81, v85 op_sel:[0,1,0]
	v_pk_fma_f16 v84, v77, v80, v84 op_sel_hi:[1,0,1]
	v_pk_fma_f16 v86, v77, v80, v86 op_sel:[0,1,0]
	;; [unrolled: 2-line block ×4, first 2 shown]
	v_pk_fma_f16 v90, v78, v83, v48 op_sel_hi:[1,0,1]
	v_add_nc_u32_e32 v48, 0x3800, v37
	v_pk_fma_f16 v85, v78, v83, v85 op_sel:[0,1,0]
	v_pk_fma_f16 v84, v79, v82, v84 op_sel_hi:[1,0,1]
	v_pk_fma_f16 v86, v79, v82, v86 op_sel:[0,1,0]
	v_pk_fma_f16 v87, v79, v83, v87 op_sel_hi:[1,0,1]
	;; [unrolled: 2-line block ×3, first 2 shown]
	v_pk_fma_f16 v89, v78, v82, v80 op_sel:[0,1,0]
	ds_load_2addr_b64 v[76:79], v48 offset1:32
	ds_load_b128 v[80:83], v36 offset:18880
	s_waitcnt lgkmcnt(0)
	v_pk_fma_f16 v85, v76, v81, v85 op_sel:[0,1,0]
	v_pk_fma_f16 v84, v77, v80, v84 op_sel_hi:[1,0,1]
	v_pk_fma_f16 v86, v77, v80, v86 op_sel:[0,1,0]
	v_pk_fma_f16 v87, v77, v81, v87 op_sel_hi:[1,0,1]
	v_pk_fma_f16 v77, v77, v81, v88 op_sel:[0,1,0]
	v_pk_fma_f16 v49, v76, v80, v49 op_sel_hi:[1,0,1]
	v_pk_fma_f16 v80, v76, v80, v89 op_sel:[0,1,0]
	v_pk_fma_f16 v76, v76, v81, v90 op_sel_hi:[1,0,1]
	v_pk_fma_f16 v85, v78, v83, v85 op_sel:[0,1,0]
	v_pk_fma_f16 v84, v79, v82, v84 op_sel_hi:[1,0,1]
	v_pk_fma_f16 v86, v79, v82, v86 op_sel:[0,1,0]
	v_pk_fma_f16 v87, v79, v83, v87 op_sel_hi:[1,0,1]
	v_pk_fma_f16 v88, v79, v83, v77 op_sel:[0,1,0]
	v_pk_fma_f16 v49, v78, v82, v49 op_sel_hi:[1,0,1]
	v_pk_fma_f16 v89, v78, v82, v80 op_sel:[0,1,0]
	v_pk_fma_f16 v90, v78, v83, v76 op_sel_hi:[1,0,1]
	ds_load_2addr_b64 v[76:79], v48 offset0:64 offset1:96
	ds_load_b128 v[80:83], v36 offset:18896
	s_waitcnt lgkmcnt(0)
	v_pk_fma_f16 v85, v76, v81, v85 op_sel:[0,1,0]
	v_pk_fma_f16 v84, v77, v80, v84 op_sel_hi:[1,0,1]
	v_pk_fma_f16 v86, v77, v80, v86 op_sel:[0,1,0]
	v_pk_fma_f16 v87, v77, v81, v87 op_sel_hi:[1,0,1]
	v_pk_fma_f16 v77, v77, v81, v88 op_sel:[0,1,0]
	v_pk_fma_f16 v49, v76, v80, v49 op_sel_hi:[1,0,1]
	v_pk_fma_f16 v80, v76, v80, v89 op_sel:[0,1,0]
	v_pk_fma_f16 v76, v76, v81, v90 op_sel_hi:[1,0,1]
	v_pk_fma_f16 v85, v78, v83, v85 op_sel:[0,1,0]
	v_pk_fma_f16 v84, v79, v82, v84 op_sel_hi:[1,0,1]
	v_pk_fma_f16 v86, v79, v82, v86 op_sel:[0,1,0]
	v_pk_fma_f16 v87, v79, v83, v87 op_sel_hi:[1,0,1]
	v_pk_fma_f16 v88, v79, v83, v77 op_sel:[0,1,0]
	v_pk_fma_f16 v49, v78, v82, v49 op_sel_hi:[1,0,1]
	v_pk_fma_f16 v89, v78, v82, v80 op_sel:[0,1,0]
	v_pk_fma_f16 v90, v78, v83, v76 op_sel_hi:[1,0,1]
	ds_load_2addr_b64 v[76:79], v48 offset0:128 offset1:160
	ds_load_b128 v[80:83], v36 offset:18912
	s_waitcnt lgkmcnt(0)
	v_pk_fma_f16 v85, v76, v81, v85 op_sel:[0,1,0]
	v_pk_fma_f16 v84, v77, v80, v84 op_sel_hi:[1,0,1]
	v_pk_fma_f16 v86, v77, v80, v86 op_sel:[0,1,0]
	v_pk_fma_f16 v87, v77, v81, v87 op_sel_hi:[1,0,1]
	v_pk_fma_f16 v77, v77, v81, v88 op_sel:[0,1,0]
	v_pk_fma_f16 v49, v76, v80, v49 op_sel_hi:[1,0,1]
	v_pk_fma_f16 v80, v76, v80, v89 op_sel:[0,1,0]
	v_pk_fma_f16 v76, v76, v81, v90 op_sel_hi:[1,0,1]
	v_pk_fma_f16 v85, v78, v83, v85 op_sel:[0,1,0]
	v_pk_fma_f16 v84, v79, v82, v84 op_sel_hi:[1,0,1]
	v_pk_fma_f16 v86, v79, v82, v86 op_sel:[0,1,0]
	v_pk_fma_f16 v87, v79, v83, v87 op_sel_hi:[1,0,1]
	v_pk_fma_f16 v88, v79, v83, v77 op_sel:[0,1,0]
	v_pk_fma_f16 v49, v78, v82, v49 op_sel_hi:[1,0,1]
	v_pk_fma_f16 v89, v78, v82, v80 op_sel:[0,1,0]
	v_pk_fma_f16 v90, v78, v83, v76 op_sel_hi:[1,0,1]
	ds_load_2addr_b64 v[76:79], v48 offset0:192 offset1:224
	ds_load_b128 v[80:83], v36 offset:18928
	s_waitcnt lgkmcnt(0)
	s_barrier
	buffer_gl0_inv
	ds_store_b32 v0, v40 offset:38912
	ds_store_2addr_b32 v67, v40, v40 offset1:1
	ds_store_b32 v0, v40 offset:38924
	v_pk_fma_f16 v85, v76, v81, v85 op_sel:[0,1,0]
	v_pk_fma_f16 v84, v77, v80, v84 op_sel_hi:[1,0,1]
	v_pk_fma_f16 v86, v77, v80, v86 op_sel:[0,1,0]
	v_pk_fma_f16 v87, v77, v81, v87 op_sel_hi:[1,0,1]
	;; [unrolled: 2-line block ×8, first 2 shown]
	flat_load_b128 v[75:78], v[15:16]
	s_waitcnt vmcnt(0) lgkmcnt(0)
	ds_store_b128 v68, v[75:78]
	ds_store_b32 v0, v40 offset:38912
	ds_store_2addr_b32 v67, v40, v40 offset1:1
	ds_store_b32 v0, v40 offset:38924
	flat_load_b128 v[75:78], v[9:10]
	v_add_co_u32 v9, vcc_lo, s1, v11
	v_add_co_ci_u32_e32 v10, vcc_lo, s4, v12, vcc_lo
	v_cmp_gt_i32_e32 vcc_lo, s5, v70
	s_delay_alu instid0(VALU_DEP_3) | instskip(NEXT) | instid1(VALU_DEP_1)
	v_add_co_u32 v9, s0, v9, v38
	v_add_co_ci_u32_e64 v10, s0, 0, v10, s0
	s_delay_alu instid0(VALU_DEP_2) | instskip(NEXT) | instid1(VALU_DEP_2)
	v_cndmask_b32_e32 v9, v39, v9, vcc_lo
	v_cndmask_b32_e32 v10, s7, v10, vcc_lo
	s_waitcnt vmcnt(0) lgkmcnt(0)
	ds_store_b128 v71, v[75:78]
	ds_store_b32 v0, v40 offset:38912
	ds_store_2addr_b32 v67, v40, v40 offset1:1
	ds_store_b32 v0, v40 offset:38924
	flat_load_b128 v[9:12], v[9:10]
	s_waitcnt vmcnt(0) lgkmcnt(0)
	ds_store_b128 v72, v[9:12]
	ds_store_2addr_b32 v67, v40, v40 offset1:1
	ds_store_b32 v0, v40 offset:38912
	ds_store_b32 v0, v40 offset:38924
	v_add_co_u32 v0, vcc_lo, s1, v13
	v_add_co_ci_u32_e32 v9, vcc_lo, s4, v14, vcc_lo
	v_cmp_gt_i32_e32 vcc_lo, s5, v74
	s_delay_alu instid0(VALU_DEP_3) | instskip(NEXT) | instid1(VALU_DEP_1)
	v_add_co_u32 v0, s0, v0, v38
	v_add_co_ci_u32_e64 v10, s0, 0, v9, s0
	s_delay_alu instid0(VALU_DEP_2) | instskip(NEXT) | instid1(VALU_DEP_2)
	v_cndmask_b32_e32 v9, v39, v0, vcc_lo
	v_cndmask_b32_e32 v10, s7, v10, vcc_lo
	flat_load_b128 v[9:12], v[9:10]
	s_waitcnt vmcnt(0) lgkmcnt(0)
	ds_store_b128 v73, v[9:12]
	s_waitcnt lgkmcnt(0)
	s_barrier
	buffer_gl0_inv
	ds_load_2addr_b64 v[9:12], v37 offset1:32
	ds_load_b128 v[13:16], v36 offset:18944
	s_waitcnt lgkmcnt(0)
	v_pk_fma_f16 v0, v9, v13, v49 op_sel_hi:[1,0,1]
	v_pk_fma_f16 v38, v9, v13, v80 op_sel:[0,1,0]
	v_pk_fma_f16 v39, v9, v14, v82 op_sel_hi:[1,0,1]
	v_pk_fma_f16 v9, v9, v14, v81 op_sel:[0,1,0]
	;; [unrolled: 2-line block ×8, first 2 shown]
	ds_load_b128 v[9:12], v36 offset:18960
	ds_load_2addr_b64 v[13:16], v37 offset0:64 offset1:96
	s_waitcnt lgkmcnt(0)
	v_pk_fma_f16 v0, v13, v9, v0 op_sel_hi:[1,0,1]
	v_pk_fma_f16 v38, v13, v9, v38 op_sel:[0,1,0]
	v_pk_fma_f16 v39, v13, v10, v39 op_sel_hi:[1,0,1]
	v_pk_fma_f16 v13, v13, v10, v67 op_sel:[0,1,0]
	;; [unrolled: 2-line block ×8, first 2 shown]
	ds_load_b128 v[9:12], v36 offset:18976
	ds_load_2addr_b64 v[13:16], v37 offset0:128 offset1:160
	s_waitcnt lgkmcnt(0)
	v_pk_fma_f16 v0, v13, v9, v0 op_sel_hi:[1,0,1]
	v_pk_fma_f16 v38, v13, v9, v38 op_sel:[0,1,0]
	v_pk_fma_f16 v39, v13, v10, v39 op_sel_hi:[1,0,1]
	v_pk_fma_f16 v13, v13, v10, v67 op_sel:[0,1,0]
	;; [unrolled: 2-line block ×8, first 2 shown]
	ds_load_2addr_b64 v[9:12], v37 offset0:192 offset1:224
	ds_load_b128 v[13:16], v36 offset:18992
	s_waitcnt lgkmcnt(0)
	v_pk_fma_f16 v0, v9, v13, v0 op_sel_hi:[1,0,1]
	v_pk_fma_f16 v37, v9, v13, v38 op_sel:[0,1,0]
	v_pk_fma_f16 v38, v9, v14, v39 op_sel_hi:[1,0,1]
	v_pk_fma_f16 v9, v9, v14, v67 op_sel:[0,1,0]
	;; [unrolled: 2-line block ×8, first 2 shown]
	ds_load_2addr_b64 v[9:12], v41 offset1:32
	ds_load_b128 v[13:16], v36 offset:19008
	s_waitcnt lgkmcnt(0)
	v_pk_fma_f16 v0, v9, v13, v0 op_sel_hi:[1,0,1]
	v_pk_fma_f16 v37, v9, v13, v37 op_sel:[0,1,0]
	v_pk_fma_f16 v38, v9, v14, v38 op_sel_hi:[1,0,1]
	v_pk_fma_f16 v9, v9, v14, v49 op_sel:[0,1,0]
	v_pk_fma_f16 v39, v10, v13, v39 op_sel_hi:[1,0,1]
	v_pk_fma_f16 v13, v10, v13, v67 op_sel:[0,1,0]
	v_pk_fma_f16 v40, v10, v14, v40 op_sel_hi:[1,0,1]
	v_pk_fma_f16 v10, v10, v14, v68 op_sel:[0,1,0]
	v_pk_fma_f16 v0, v11, v15, v0 op_sel_hi:[1,0,1]
	v_pk_fma_f16 v37, v11, v15, v37 op_sel:[0,1,0]
	v_pk_fma_f16 v38, v11, v16, v38 op_sel_hi:[1,0,1]
	v_pk_fma_f16 v49, v11, v16, v9 op_sel:[0,1,0]
	v_pk_fma_f16 v39, v12, v15, v39 op_sel_hi:[1,0,1]
	v_pk_fma_f16 v67, v12, v15, v13 op_sel:[0,1,0]
	v_pk_fma_f16 v40, v12, v16, v40 op_sel_hi:[1,0,1]
	v_pk_fma_f16 v68, v12, v16, v10 op_sel:[0,1,0]
	ds_load_2addr_b64 v[9:12], v41 offset0:64 offset1:96
	ds_load_b128 v[13:16], v36 offset:19024
	s_waitcnt lgkmcnt(0)
	v_pk_fma_f16 v0, v9, v13, v0 op_sel_hi:[1,0,1]
	v_pk_fma_f16 v37, v9, v13, v37 op_sel:[0,1,0]
	v_pk_fma_f16 v38, v9, v14, v38 op_sel_hi:[1,0,1]
	v_pk_fma_f16 v9, v9, v14, v49 op_sel:[0,1,0]
	v_pk_fma_f16 v39, v10, v13, v39 op_sel_hi:[1,0,1]
	v_pk_fma_f16 v13, v10, v13, v67 op_sel:[0,1,0]
	v_pk_fma_f16 v40, v10, v14, v40 op_sel_hi:[1,0,1]
	v_pk_fma_f16 v10, v10, v14, v68 op_sel:[0,1,0]
	v_pk_fma_f16 v0, v11, v15, v0 op_sel_hi:[1,0,1]
	v_pk_fma_f16 v37, v11, v15, v37 op_sel:[0,1,0]
	v_pk_fma_f16 v38, v11, v16, v38 op_sel_hi:[1,0,1]
	v_pk_fma_f16 v49, v11, v16, v9 op_sel:[0,1,0]
	v_pk_fma_f16 v39, v12, v15, v39 op_sel_hi:[1,0,1]
	v_pk_fma_f16 v67, v12, v15, v13 op_sel:[0,1,0]
	v_pk_fma_f16 v40, v12, v16, v40 op_sel_hi:[1,0,1]
	v_pk_fma_f16 v68, v12, v16, v10 op_sel:[0,1,0]
	ds_load_2addr_b64 v[9:12], v41 offset0:128 offset1:160
	;; [unrolled: 19-line block ×3, first 2 shown]
	ds_load_b128 v[13:16], v36 offset:19056
	s_waitcnt lgkmcnt(0)
	v_pk_fma_f16 v0, v9, v13, v0 op_sel_hi:[1,0,1]
	v_pk_fma_f16 v37, v9, v13, v37 op_sel:[0,1,0]
	v_pk_fma_f16 v38, v9, v14, v38 op_sel_hi:[1,0,1]
	v_pk_fma_f16 v9, v9, v14, v49 op_sel:[0,1,0]
	;; [unrolled: 2-line block ×8, first 2 shown]
	ds_load_2addr_b64 v[9:12], v42 offset1:32
	ds_load_b128 v[13:16], v36 offset:19072
	s_waitcnt lgkmcnt(0)
	v_pk_fma_f16 v0, v9, v13, v0 op_sel_hi:[1,0,1]
	v_pk_fma_f16 v37, v9, v13, v37 op_sel:[0,1,0]
	v_pk_fma_f16 v38, v9, v14, v38 op_sel_hi:[1,0,1]
	v_pk_fma_f16 v9, v9, v14, v41 op_sel:[0,1,0]
	v_pk_fma_f16 v39, v10, v13, v39 op_sel_hi:[1,0,1]
	v_pk_fma_f16 v13, v10, v13, v49 op_sel:[0,1,0]
	v_pk_fma_f16 v40, v10, v14, v40 op_sel_hi:[1,0,1]
	v_pk_fma_f16 v10, v10, v14, v67 op_sel:[0,1,0]
	v_pk_fma_f16 v0, v11, v15, v0 op_sel_hi:[1,0,1]
	v_pk_fma_f16 v37, v11, v15, v37 op_sel:[0,1,0]
	v_pk_fma_f16 v38, v11, v16, v38 op_sel_hi:[1,0,1]
	v_pk_fma_f16 v41, v11, v16, v9 op_sel:[0,1,0]
	v_pk_fma_f16 v39, v12, v15, v39 op_sel_hi:[1,0,1]
	v_pk_fma_f16 v49, v12, v15, v13 op_sel:[0,1,0]
	v_pk_fma_f16 v40, v12, v16, v40 op_sel_hi:[1,0,1]
	v_pk_fma_f16 v67, v12, v16, v10 op_sel:[0,1,0]
	ds_load_2addr_b64 v[9:12], v42 offset0:64 offset1:96
	ds_load_b128 v[13:16], v36 offset:19088
	s_waitcnt lgkmcnt(0)
	v_pk_fma_f16 v0, v9, v13, v0 op_sel_hi:[1,0,1]
	v_pk_fma_f16 v37, v9, v13, v37 op_sel:[0,1,0]
	v_pk_fma_f16 v38, v9, v14, v38 op_sel_hi:[1,0,1]
	v_pk_fma_f16 v9, v9, v14, v41 op_sel:[0,1,0]
	v_pk_fma_f16 v39, v10, v13, v39 op_sel_hi:[1,0,1]
	v_pk_fma_f16 v13, v10, v13, v49 op_sel:[0,1,0]
	v_pk_fma_f16 v40, v10, v14, v40 op_sel_hi:[1,0,1]
	v_pk_fma_f16 v10, v10, v14, v67 op_sel:[0,1,0]
	v_pk_fma_f16 v0, v11, v15, v0 op_sel_hi:[1,0,1]
	v_pk_fma_f16 v37, v11, v15, v37 op_sel:[0,1,0]
	v_pk_fma_f16 v38, v11, v16, v38 op_sel_hi:[1,0,1]
	v_pk_fma_f16 v41, v11, v16, v9 op_sel:[0,1,0]
	v_pk_fma_f16 v39, v12, v15, v39 op_sel_hi:[1,0,1]
	v_pk_fma_f16 v49, v12, v15, v13 op_sel:[0,1,0]
	v_pk_fma_f16 v40, v12, v16, v40 op_sel_hi:[1,0,1]
	v_pk_fma_f16 v67, v12, v16, v10 op_sel:[0,1,0]
	ds_load_2addr_b64 v[9:12], v42 offset0:128 offset1:160
	;; [unrolled: 19-line block ×3, first 2 shown]
	ds_load_b128 v[13:16], v36 offset:19120
	s_waitcnt lgkmcnt(0)
	v_pk_fma_f16 v0, v9, v13, v0 op_sel_hi:[1,0,1]
	v_pk_fma_f16 v37, v9, v13, v37 op_sel:[0,1,0]
	v_pk_fma_f16 v38, v9, v14, v38 op_sel_hi:[1,0,1]
	v_pk_fma_f16 v9, v9, v14, v41 op_sel:[0,1,0]
	;; [unrolled: 2-line block ×8, first 2 shown]
	ds_load_2addr_b64 v[9:12], v44 offset1:32
	ds_load_b128 v[13:16], v36 offset:19136
	s_waitcnt lgkmcnt(0)
	v_pk_fma_f16 v0, v9, v13, v0 op_sel_hi:[1,0,1]
	v_pk_fma_f16 v37, v9, v13, v37 op_sel:[0,1,0]
	v_pk_fma_f16 v38, v9, v14, v38 op_sel_hi:[1,0,1]
	v_pk_fma_f16 v9, v9, v14, v41 op_sel:[0,1,0]
	v_pk_fma_f16 v39, v10, v13, v39 op_sel_hi:[1,0,1]
	v_pk_fma_f16 v13, v10, v13, v42 op_sel:[0,1,0]
	v_pk_fma_f16 v40, v10, v14, v40 op_sel_hi:[1,0,1]
	v_pk_fma_f16 v10, v10, v14, v49 op_sel:[0,1,0]
	v_pk_fma_f16 v0, v11, v15, v0 op_sel_hi:[1,0,1]
	v_pk_fma_f16 v37, v11, v15, v37 op_sel:[0,1,0]
	v_pk_fma_f16 v38, v11, v16, v38 op_sel_hi:[1,0,1]
	v_pk_fma_f16 v41, v11, v16, v9 op_sel:[0,1,0]
	v_pk_fma_f16 v39, v12, v15, v39 op_sel_hi:[1,0,1]
	v_pk_fma_f16 v42, v12, v15, v13 op_sel:[0,1,0]
	v_pk_fma_f16 v40, v12, v16, v40 op_sel_hi:[1,0,1]
	v_pk_fma_f16 v49, v12, v16, v10 op_sel:[0,1,0]
	ds_load_2addr_b64 v[9:12], v44 offset0:64 offset1:96
	ds_load_b128 v[13:16], v36 offset:19152
	s_waitcnt lgkmcnt(0)
	v_pk_fma_f16 v0, v9, v13, v0 op_sel_hi:[1,0,1]
	v_pk_fma_f16 v37, v9, v13, v37 op_sel:[0,1,0]
	v_pk_fma_f16 v38, v9, v14, v38 op_sel_hi:[1,0,1]
	v_pk_fma_f16 v9, v9, v14, v41 op_sel:[0,1,0]
	v_pk_fma_f16 v39, v10, v13, v39 op_sel_hi:[1,0,1]
	v_pk_fma_f16 v13, v10, v13, v42 op_sel:[0,1,0]
	v_pk_fma_f16 v40, v10, v14, v40 op_sel_hi:[1,0,1]
	v_pk_fma_f16 v10, v10, v14, v49 op_sel:[0,1,0]
	v_pk_fma_f16 v0, v11, v15, v0 op_sel_hi:[1,0,1]
	v_pk_fma_f16 v37, v11, v15, v37 op_sel:[0,1,0]
	v_pk_fma_f16 v38, v11, v16, v38 op_sel_hi:[1,0,1]
	v_pk_fma_f16 v41, v11, v16, v9 op_sel:[0,1,0]
	v_pk_fma_f16 v39, v12, v15, v39 op_sel_hi:[1,0,1]
	v_pk_fma_f16 v42, v12, v15, v13 op_sel:[0,1,0]
	v_pk_fma_f16 v40, v12, v16, v40 op_sel_hi:[1,0,1]
	v_pk_fma_f16 v49, v12, v16, v10 op_sel:[0,1,0]
	ds_load_2addr_b64 v[9:12], v44 offset0:128 offset1:160
	;; [unrolled: 19-line block ×3, first 2 shown]
	ds_load_b128 v[13:16], v36 offset:19184
	s_waitcnt lgkmcnt(0)
	v_pk_fma_f16 v0, v9, v13, v0 op_sel_hi:[1,0,1]
	v_pk_fma_f16 v37, v9, v13, v37 op_sel:[0,1,0]
	v_pk_fma_f16 v38, v9, v14, v38 op_sel_hi:[1,0,1]
	v_pk_fma_f16 v9, v9, v14, v41 op_sel:[0,1,0]
	;; [unrolled: 2-line block ×8, first 2 shown]
	ds_load_2addr_b64 v[9:12], v45 offset1:32
	ds_load_b128 v[13:16], v36 offset:19200
	s_waitcnt lgkmcnt(0)
	v_pk_fma_f16 v0, v9, v13, v0 op_sel_hi:[1,0,1]
	v_pk_fma_f16 v37, v9, v13, v37 op_sel:[0,1,0]
	v_pk_fma_f16 v38, v9, v14, v38 op_sel_hi:[1,0,1]
	v_pk_fma_f16 v9, v9, v14, v41 op_sel:[0,1,0]
	v_pk_fma_f16 v39, v10, v13, v39 op_sel_hi:[1,0,1]
	v_pk_fma_f16 v13, v10, v13, v42 op_sel:[0,1,0]
	v_pk_fma_f16 v40, v10, v14, v40 op_sel_hi:[1,0,1]
	v_pk_fma_f16 v10, v10, v14, v44 op_sel:[0,1,0]
	v_pk_fma_f16 v0, v11, v15, v0 op_sel_hi:[1,0,1]
	v_pk_fma_f16 v37, v11, v15, v37 op_sel:[0,1,0]
	v_pk_fma_f16 v38, v11, v16, v38 op_sel_hi:[1,0,1]
	v_pk_fma_f16 v41, v11, v16, v9 op_sel:[0,1,0]
	v_pk_fma_f16 v39, v12, v15, v39 op_sel_hi:[1,0,1]
	v_pk_fma_f16 v42, v12, v15, v13 op_sel:[0,1,0]
	v_pk_fma_f16 v40, v12, v16, v40 op_sel_hi:[1,0,1]
	v_pk_fma_f16 v44, v12, v16, v10 op_sel:[0,1,0]
	ds_load_2addr_b64 v[9:12], v45 offset0:64 offset1:96
	ds_load_b128 v[13:16], v36 offset:19216
	s_waitcnt lgkmcnt(0)
	v_pk_fma_f16 v0, v9, v13, v0 op_sel_hi:[1,0,1]
	v_pk_fma_f16 v37, v9, v13, v37 op_sel:[0,1,0]
	v_pk_fma_f16 v38, v9, v14, v38 op_sel_hi:[1,0,1]
	v_pk_fma_f16 v9, v9, v14, v41 op_sel:[0,1,0]
	v_pk_fma_f16 v39, v10, v13, v39 op_sel_hi:[1,0,1]
	v_pk_fma_f16 v13, v10, v13, v42 op_sel:[0,1,0]
	v_pk_fma_f16 v40, v10, v14, v40 op_sel_hi:[1,0,1]
	v_pk_fma_f16 v10, v10, v14, v44 op_sel:[0,1,0]
	v_pk_fma_f16 v0, v11, v15, v0 op_sel_hi:[1,0,1]
	v_pk_fma_f16 v37, v11, v15, v37 op_sel:[0,1,0]
	v_pk_fma_f16 v38, v11, v16, v38 op_sel_hi:[1,0,1]
	v_pk_fma_f16 v41, v11, v16, v9 op_sel:[0,1,0]
	v_pk_fma_f16 v39, v12, v15, v39 op_sel_hi:[1,0,1]
	v_pk_fma_f16 v42, v12, v15, v13 op_sel:[0,1,0]
	v_pk_fma_f16 v40, v12, v16, v40 op_sel_hi:[1,0,1]
	v_pk_fma_f16 v44, v12, v16, v10 op_sel:[0,1,0]
	ds_load_2addr_b64 v[9:12], v45 offset0:128 offset1:160
	;; [unrolled: 19-line block ×3, first 2 shown]
	ds_load_b128 v[13:16], v36 offset:19248
	s_waitcnt lgkmcnt(0)
	v_pk_fma_f16 v0, v9, v13, v0 op_sel_hi:[1,0,1]
	v_pk_fma_f16 v37, v9, v13, v37 op_sel:[0,1,0]
	v_pk_fma_f16 v38, v9, v14, v38 op_sel_hi:[1,0,1]
	v_pk_fma_f16 v9, v9, v14, v41 op_sel:[0,1,0]
	;; [unrolled: 2-line block ×8, first 2 shown]
	ds_load_2addr_b64 v[9:12], v46 offset1:32
	ds_load_b128 v[13:16], v36 offset:19264
	s_waitcnt lgkmcnt(0)
	v_pk_fma_f16 v0, v9, v13, v0 op_sel_hi:[1,0,1]
	v_pk_fma_f16 v37, v9, v13, v37 op_sel:[0,1,0]
	v_pk_fma_f16 v38, v9, v14, v38 op_sel_hi:[1,0,1]
	v_pk_fma_f16 v9, v9, v14, v41 op_sel:[0,1,0]
	v_pk_fma_f16 v39, v10, v13, v39 op_sel_hi:[1,0,1]
	v_pk_fma_f16 v13, v10, v13, v42 op_sel:[0,1,0]
	v_pk_fma_f16 v40, v10, v14, v40 op_sel_hi:[1,0,1]
	v_pk_fma_f16 v10, v10, v14, v44 op_sel:[0,1,0]
	v_pk_fma_f16 v0, v11, v15, v0 op_sel_hi:[1,0,1]
	v_pk_fma_f16 v37, v11, v15, v37 op_sel:[0,1,0]
	v_pk_fma_f16 v38, v11, v16, v38 op_sel_hi:[1,0,1]
	v_pk_fma_f16 v41, v11, v16, v9 op_sel:[0,1,0]
	v_pk_fma_f16 v39, v12, v15, v39 op_sel_hi:[1,0,1]
	v_pk_fma_f16 v42, v12, v15, v13 op_sel:[0,1,0]
	v_pk_fma_f16 v40, v12, v16, v40 op_sel_hi:[1,0,1]
	v_pk_fma_f16 v44, v12, v16, v10 op_sel:[0,1,0]
	ds_load_2addr_b64 v[9:12], v46 offset0:64 offset1:96
	ds_load_b128 v[13:16], v36 offset:19280
	s_waitcnt lgkmcnt(0)
	v_pk_fma_f16 v0, v9, v13, v0 op_sel_hi:[1,0,1]
	v_pk_fma_f16 v37, v9, v13, v37 op_sel:[0,1,0]
	v_pk_fma_f16 v38, v9, v14, v38 op_sel_hi:[1,0,1]
	v_pk_fma_f16 v9, v9, v14, v41 op_sel:[0,1,0]
	v_pk_fma_f16 v39, v10, v13, v39 op_sel_hi:[1,0,1]
	v_pk_fma_f16 v13, v10, v13, v42 op_sel:[0,1,0]
	v_pk_fma_f16 v40, v10, v14, v40 op_sel_hi:[1,0,1]
	v_pk_fma_f16 v10, v10, v14, v44 op_sel:[0,1,0]
	v_pk_fma_f16 v0, v11, v15, v0 op_sel_hi:[1,0,1]
	v_pk_fma_f16 v37, v11, v15, v37 op_sel:[0,1,0]
	v_pk_fma_f16 v38, v11, v16, v38 op_sel_hi:[1,0,1]
	v_pk_fma_f16 v41, v11, v16, v9 op_sel:[0,1,0]
	v_pk_fma_f16 v39, v12, v15, v39 op_sel_hi:[1,0,1]
	v_pk_fma_f16 v42, v12, v15, v13 op_sel:[0,1,0]
	v_pk_fma_f16 v40, v12, v16, v40 op_sel_hi:[1,0,1]
	v_pk_fma_f16 v44, v12, v16, v10 op_sel:[0,1,0]
	ds_load_2addr_b64 v[9:12], v46 offset0:128 offset1:160
	;; [unrolled: 19-line block ×3, first 2 shown]
	ds_load_b128 v[13:16], v36 offset:19312
	s_waitcnt lgkmcnt(0)
	v_pk_fma_f16 v0, v9, v13, v0 op_sel_hi:[1,0,1]
	v_pk_fma_f16 v37, v9, v13, v37 op_sel:[0,1,0]
	v_pk_fma_f16 v38, v9, v14, v38 op_sel_hi:[1,0,1]
	v_pk_fma_f16 v9, v9, v14, v41 op_sel:[0,1,0]
	;; [unrolled: 2-line block ×8, first 2 shown]
	ds_load_2addr_b64 v[9:12], v47 offset1:32
	ds_load_b128 v[13:16], v36 offset:19328
	s_waitcnt lgkmcnt(0)
	v_pk_fma_f16 v0, v9, v13, v0 op_sel_hi:[1,0,1]
	v_pk_fma_f16 v37, v9, v13, v37 op_sel:[0,1,0]
	v_pk_fma_f16 v38, v9, v14, v38 op_sel_hi:[1,0,1]
	v_pk_fma_f16 v9, v9, v14, v41 op_sel:[0,1,0]
	v_pk_fma_f16 v39, v10, v13, v39 op_sel_hi:[1,0,1]
	v_pk_fma_f16 v13, v10, v13, v42 op_sel:[0,1,0]
	v_pk_fma_f16 v40, v10, v14, v40 op_sel_hi:[1,0,1]
	v_pk_fma_f16 v10, v10, v14, v44 op_sel:[0,1,0]
	v_pk_fma_f16 v0, v11, v15, v0 op_sel_hi:[1,0,1]
	v_pk_fma_f16 v37, v11, v15, v37 op_sel:[0,1,0]
	v_pk_fma_f16 v38, v11, v16, v38 op_sel_hi:[1,0,1]
	v_pk_fma_f16 v41, v11, v16, v9 op_sel:[0,1,0]
	v_pk_fma_f16 v39, v12, v15, v39 op_sel_hi:[1,0,1]
	v_pk_fma_f16 v42, v12, v15, v13 op_sel:[0,1,0]
	v_pk_fma_f16 v40, v12, v16, v40 op_sel_hi:[1,0,1]
	v_pk_fma_f16 v44, v12, v16, v10 op_sel:[0,1,0]
	ds_load_2addr_b64 v[9:12], v47 offset0:64 offset1:96
	ds_load_b128 v[13:16], v36 offset:19344
	s_waitcnt lgkmcnt(0)
	v_pk_fma_f16 v0, v9, v13, v0 op_sel_hi:[1,0,1]
	v_pk_fma_f16 v37, v9, v13, v37 op_sel:[0,1,0]
	v_pk_fma_f16 v38, v9, v14, v38 op_sel_hi:[1,0,1]
	v_pk_fma_f16 v9, v9, v14, v41 op_sel:[0,1,0]
	v_pk_fma_f16 v39, v10, v13, v39 op_sel_hi:[1,0,1]
	v_pk_fma_f16 v13, v10, v13, v42 op_sel:[0,1,0]
	v_pk_fma_f16 v40, v10, v14, v40 op_sel_hi:[1,0,1]
	v_pk_fma_f16 v10, v10, v14, v44 op_sel:[0,1,0]
	v_pk_fma_f16 v0, v11, v15, v0 op_sel_hi:[1,0,1]
	v_pk_fma_f16 v37, v11, v15, v37 op_sel:[0,1,0]
	v_pk_fma_f16 v38, v11, v16, v38 op_sel_hi:[1,0,1]
	v_pk_fma_f16 v41, v11, v16, v9 op_sel:[0,1,0]
	v_pk_fma_f16 v39, v12, v15, v39 op_sel_hi:[1,0,1]
	v_pk_fma_f16 v42, v12, v15, v13 op_sel:[0,1,0]
	v_pk_fma_f16 v40, v12, v16, v40 op_sel_hi:[1,0,1]
	v_pk_fma_f16 v44, v12, v16, v10 op_sel:[0,1,0]
	ds_load_2addr_b64 v[9:12], v47 offset0:128 offset1:160
	;; [unrolled: 19-line block ×3, first 2 shown]
	ds_load_b128 v[13:16], v36 offset:19376
	s_waitcnt lgkmcnt(0)
	v_pk_fma_f16 v0, v9, v13, v0 op_sel_hi:[1,0,1]
	v_pk_fma_f16 v37, v9, v13, v37 op_sel:[0,1,0]
	v_pk_fma_f16 v38, v9, v14, v38 op_sel_hi:[1,0,1]
	v_pk_fma_f16 v9, v9, v14, v41 op_sel:[0,1,0]
	v_pk_fma_f16 v39, v10, v13, v39 op_sel_hi:[1,0,1]
	v_pk_fma_f16 v13, v10, v13, v42 op_sel:[0,1,0]
	v_pk_fma_f16 v40, v10, v14, v40 op_sel_hi:[1,0,1]
	v_pk_fma_f16 v10, v10, v14, v44 op_sel:[0,1,0]
	v_pk_fma_f16 v0, v11, v15, v0 op_sel_hi:[1,0,1]
	v_pk_fma_f16 v37, v11, v15, v37 op_sel:[0,1,0]
	v_pk_fma_f16 v38, v11, v16, v38 op_sel_hi:[1,0,1]
	v_pk_fma_f16 v41, v11, v16, v9 op_sel:[0,1,0]
	v_pk_fma_f16 v39, v12, v15, v39 op_sel_hi:[1,0,1]
	v_pk_fma_f16 v42, v12, v15, v13 op_sel:[0,1,0]
	v_pk_fma_f16 v40, v12, v16, v40 op_sel_hi:[1,0,1]
	v_pk_fma_f16 v44, v12, v16, v10 op_sel:[0,1,0]
	ds_load_2addr_b64 v[9:12], v48 offset1:32
	ds_load_b128 v[13:16], v36 offset:19392
	s_waitcnt lgkmcnt(0)
	v_pk_fma_f16 v0, v9, v13, v0 op_sel_hi:[1,0,1]
	v_pk_fma_f16 v37, v9, v13, v37 op_sel:[0,1,0]
	v_pk_fma_f16 v38, v9, v14, v38 op_sel_hi:[1,0,1]
	v_pk_fma_f16 v9, v9, v14, v41 op_sel:[0,1,0]
	v_pk_fma_f16 v39, v10, v13, v39 op_sel_hi:[1,0,1]
	v_pk_fma_f16 v13, v10, v13, v42 op_sel:[0,1,0]
	v_pk_fma_f16 v40, v10, v14, v40 op_sel_hi:[1,0,1]
	v_pk_fma_f16 v10, v10, v14, v44 op_sel:[0,1,0]
	v_pk_fma_f16 v0, v11, v15, v0 op_sel_hi:[1,0,1]
	v_pk_fma_f16 v37, v11, v15, v37 op_sel:[0,1,0]
	v_pk_fma_f16 v38, v11, v16, v38 op_sel_hi:[1,0,1]
	v_pk_fma_f16 v41, v11, v16, v9 op_sel:[0,1,0]
	v_pk_fma_f16 v39, v12, v15, v39 op_sel_hi:[1,0,1]
	v_pk_fma_f16 v42, v12, v15, v13 op_sel:[0,1,0]
	v_pk_fma_f16 v40, v12, v16, v40 op_sel_hi:[1,0,1]
	v_pk_fma_f16 v44, v12, v16, v10 op_sel:[0,1,0]
	ds_load_2addr_b64 v[9:12], v48 offset0:64 offset1:96
	ds_load_b128 v[13:16], v36 offset:19408
	s_waitcnt lgkmcnt(0)
	v_pk_fma_f16 v0, v9, v13, v0 op_sel_hi:[1,0,1]
	v_pk_fma_f16 v37, v9, v13, v37 op_sel:[0,1,0]
	v_pk_fma_f16 v38, v9, v14, v38 op_sel_hi:[1,0,1]
	v_pk_fma_f16 v9, v9, v14, v41 op_sel:[0,1,0]
	v_pk_fma_f16 v39, v10, v13, v39 op_sel_hi:[1,0,1]
	v_pk_fma_f16 v13, v10, v13, v42 op_sel:[0,1,0]
	v_pk_fma_f16 v40, v10, v14, v40 op_sel_hi:[1,0,1]
	v_pk_fma_f16 v10, v10, v14, v44 op_sel:[0,1,0]
	v_pk_fma_f16 v0, v11, v15, v0 op_sel_hi:[1,0,1]
	v_pk_fma_f16 v37, v11, v15, v37 op_sel:[0,1,0]
	v_pk_fma_f16 v38, v11, v16, v38 op_sel_hi:[1,0,1]
	v_pk_fma_f16 v41, v11, v16, v9 op_sel:[0,1,0]
	v_pk_fma_f16 v39, v12, v15, v39 op_sel_hi:[1,0,1]
	v_pk_fma_f16 v42, v12, v15, v13 op_sel:[0,1,0]
	v_pk_fma_f16 v40, v12, v16, v40 op_sel_hi:[1,0,1]
	v_pk_fma_f16 v44, v12, v16, v10 op_sel:[0,1,0]
	ds_load_2addr_b64 v[9:12], v48 offset0:128 offset1:160
	;; [unrolled: 19-line block ×3, first 2 shown]
	ds_load_b128 v[13:16], v36 offset:19440
	s_waitcnt lgkmcnt(0)
	s_barrier
	buffer_gl0_inv
	v_pk_fma_f16 v0, v9, v13, v0 op_sel_hi:[1,0,1]
	v_pk_fma_f16 v36, v9, v13, v37 op_sel:[0,1,0]
	v_pk_fma_f16 v37, v9, v14, v38 op_sel_hi:[1,0,1]
	v_pk_fma_f16 v9, v9, v14, v41 op_sel:[0,1,0]
	v_pk_fma_f16 v38, v10, v13, v39 op_sel_hi:[1,0,1]
	v_pk_fma_f16 v48, v11, v15, v0 op_sel_hi:[1,0,1]
	v_add_f32_e32 v0, v52, v60
	v_pk_fma_f16 v13, v10, v13, v42 op_sel:[0,1,0]
	v_pk_fma_f16 v42, v11, v16, v9 op_sel:[0,1,0]
	v_pk_fma_f16 v39, v10, v14, v40 op_sel_hi:[1,0,1]
	v_pk_fma_f16 v10, v10, v14, v44 op_sel:[0,1,0]
	v_add_f32_e32 v0, v62, v0
	v_pk_fma_f16 v46, v11, v15, v36 op_sel:[0,1,0]
	v_pk_fma_f16 v44, v11, v16, v37 op_sel_hi:[1,0,1]
	v_pk_fma_f16 v49, v12, v15, v38 op_sel_hi:[1,0,1]
	v_pk_fma_f16 v47, v12, v15, v13 op_sel:[0,1,0]
	v_add_f32_e32 v0, v66, v0
	v_pk_fma_f16 v45, v12, v16, v39 op_sel_hi:[1,0,1]
	v_pk_fma_f16 v41, v12, v16, v10 op_sel:[0,1,0]
	s_delay_alu instid0(VALU_DEP_3) | instskip(NEXT) | instid1(VALU_DEP_1)
	v_dual_fmac_f32 v0, v24, v1 :: v_dual_add_f32 v1, v51, v59
	v_dual_mov_b32 v24, v0 :: v_dual_add_f32 v1, v61, v1
	s_delay_alu instid0(VALU_DEP_1) | instskip(NEXT) | instid1(VALU_DEP_1)
	v_add_f32_e32 v1, v65, v1
	v_fmac_f32_e32 v1, v23, v2
	s_delay_alu instid0(VALU_DEP_1) | instskip(NEXT) | instid1(VALU_DEP_1)
	v_dual_add_f32 v2, v50, v54 :: v_dual_mov_b32 v23, v1
	v_add_f32_e32 v2, v56, v2
	s_delay_alu instid0(VALU_DEP_1) | instskip(NEXT) | instid1(VALU_DEP_1)
	v_add_f32_e32 v2, v64, v2
	v_dual_fmac_f32 v2, v22, v3 :: v_dual_add_f32 v3, v43, v53
	s_delay_alu instid0(VALU_DEP_1) | instskip(NEXT) | instid1(VALU_DEP_1)
	v_dual_mov_b32 v22, v2 :: v_dual_add_f32 v3, v55, v3
	v_add_f32_e32 v9, v63, v3
	s_delay_alu instid0(VALU_DEP_1) | instskip(SKIP_2) | instid1(VALU_DEP_3)
	v_fmac_f32_e32 v9, v21, v4
	v_dual_mov_b32 v1, v5 :: v_dual_mov_b32 v2, v6
	v_dual_mov_b32 v3, v7 :: v_dual_mov_b32 v4, v8
	v_mov_b32_e32 v21, v9
	v_mov_b32_e32 v5, v35
.LBB56_127:
	v_cmp_lt_i32_e32 vcc_lo, v58, v57
	s_cmp_eq_u64 s[24:25], 0
	s_cselect_b32 s0, -1, 0
	s_cmp_lg_u32 s14, 0
	v_cndmask_b32_e32 v0, v5, v58, vcc_lo
	v_cmp_lt_i32_e32 vcc_lo, v20, v57
	s_cselect_b32 s1, -1, 0
	s_delay_alu instid0(SALU_CYCLE_1) | instskip(SKIP_2) | instid1(VALU_DEP_2)
	s_or_b32 s0, s1, s0
	v_cndmask_b32_e32 v9, v5, v20, vcc_lo
	v_cmp_lt_i32_e32 vcc_lo, v19, v57
	v_lshlrev_b32_e32 v9, 2, v9
	v_dual_cndmask_b32 v13, v5, v19 :: v_dual_lshlrev_b32 v0, 2, v0
	v_cmp_lt_i32_e32 vcc_lo, v18, v57
	ds_bpermute_b32 v7, v0, v23
	v_lshlrev_b32_e32 v13, 2, v13
	s_waitcnt lgkmcnt(0)
	v_add_f32_e32 v7, v23, v7
	ds_bpermute_b32 v6, v0, v24
	ds_bpermute_b32 v8, v0, v22
	;; [unrolled: 1-line block ×4, first 2 shown]
	s_waitcnt lgkmcnt(3)
	v_add_f32_e32 v6, v24, v6
	s_waitcnt lgkmcnt(2)
	v_add_f32_e32 v8, v22, v8
	s_waitcnt lgkmcnt(0)
	v_dual_add_f32 v0, v21, v0 :: v_dual_add_f32 v7, v7, v11
	ds_bpermute_b32 v10, v9, v6
	ds_bpermute_b32 v12, v9, v8
	ds_bpermute_b32 v9, v9, v0
	s_waitcnt lgkmcnt(2)
	v_add_f32_e32 v6, v6, v10
	s_waitcnt lgkmcnt(1)
	v_add_f32_e32 v8, v8, v12
	ds_bpermute_b32 v10, v13, v7
	s_waitcnt lgkmcnt(1)
	v_add_f32_e32 v0, v0, v9
	ds_bpermute_b32 v9, v13, v6
	ds_bpermute_b32 v11, v13, v8
	s_waitcnt lgkmcnt(2)
	v_add_f32_e32 v7, v7, v10
	ds_bpermute_b32 v12, v13, v0
	v_cndmask_b32_e32 v13, v5, v18, vcc_lo
	v_cmp_lt_i32_e32 vcc_lo, v17, v57
	s_waitcnt lgkmcnt(1)
	s_delay_alu instid0(VALU_DEP_2)
	v_dual_add_f32 v8, v8, v11 :: v_dual_lshlrev_b32 v13, 2, v13
	v_cndmask_b32_e32 v5, v5, v17, vcc_lo
	s_and_b32 vcc_lo, exec_lo, s0
	ds_bpermute_b32 v10, v13, v7
	v_add_f32_e32 v6, v6, v9
	ds_bpermute_b32 v11, v13, v8
	s_waitcnt lgkmcnt(2)
	v_dual_add_f32 v0, v0, v12 :: v_dual_lshlrev_b32 v5, 2, v5
	ds_bpermute_b32 v12, v13, v0
	s_waitcnt lgkmcnt(2)
	v_add_f32_e32 v7, v7, v10
	ds_bpermute_b32 v9, v13, v6
	s_waitcnt lgkmcnt(2)
	v_add_f32_e32 v8, v8, v11
	ds_bpermute_b32 v10, v5, v7
	ds_bpermute_b32 v11, v5, v8
	s_waitcnt lgkmcnt(2)
	v_add_f32_e32 v6, v6, v9
	ds_bpermute_b32 v9, v5, v6
	v_add_f32_e32 v0, v0, v12
	ds_bpermute_b32 v12, v5, v0
	s_waitcnt lgkmcnt(1)
	v_dual_add_f32 v5, v6, v9 :: v_dual_add_f32 v6, v7, v10
	v_add_f32_e32 v7, v8, v11
	s_waitcnt lgkmcnt(0)
	v_add_f32_e32 v8, v0, v12
	s_cbranch_vccnz .LBB56_130
; %bb.128:
	s_lshl_b64 s[0:1], s[34:35], 2
	v_dual_mov_b32 v0, 0 :: v_dual_max_f32 v9, v1, v1
	s_add_u32 s0, s24, s0
	s_addc_u32 s1, s25, s1
	v_max_f32_e32 v11, v2, v2
	global_load_b32 v0, v0, s[0:1]
	s_waitcnt vmcnt(0)
	v_max_f32_e32 v10, v0, v0
	s_delay_alu instid0(VALU_DEP_1) | instskip(SKIP_1) | instid1(VALU_DEP_2)
	v_dual_max_f32 v12, v3, v3 :: v_dual_max_f32 v13, v9, v10
	v_max_f32_e32 v16, v4, v4
	v_dual_max_f32 v14, v11, v10 :: v_dual_sub_f32 v9, v0, v13
	v_sub_f32_e32 v1, v1, v13
	s_delay_alu instid0(VALU_DEP_4) | instskip(NEXT) | instid1(VALU_DEP_3)
	v_max_f32_e32 v15, v12, v10
	v_mul_f32_e32 v17, 0x3fb8aa3b, v9
	s_delay_alu instid0(VALU_DEP_3) | instskip(NEXT) | instid1(VALU_DEP_3)
	v_mul_f32_e32 v12, 0x3fb8aa3b, v1
	v_dual_max_f32 v16, v16, v10 :: v_dual_sub_f32 v3, v3, v15
	v_dual_sub_f32 v2, v2, v14 :: v_dual_sub_f32 v11, v0, v15
	v_sub_f32_e32 v10, v0, v14
	s_delay_alu instid0(VALU_DEP_3)
	v_sub_f32_e32 v0, v0, v16
	v_sub_f32_e32 v4, v4, v16
	v_fma_f32 v24, 0x3fb8aa3b, v1, -v12
	v_mul_f32_e32 v21, 0x3fb8aa3b, v11
	v_mul_f32_e32 v19, 0x3fb8aa3b, v10
	v_dual_mul_f32 v18, 0x3fb8aa3b, v2 :: v_dual_mul_f32 v23, 0x3fb8aa3b, v0
	v_rndne_f32_e32 v35, v12
	v_fma_f32 v36, 0x3fb8aa3b, v9, -v17
	s_delay_alu instid0(VALU_DEP_4) | instskip(NEXT) | instid1(VALU_DEP_4)
	v_fma_f32 v40, 0x3fb8aa3b, v10, -v19
	v_fma_f32 v38, 0x3fb8aa3b, v2, -v18
	v_rndne_f32_e32 v43, v19
	v_fma_f32 v56, 0x3fb8aa3b, v0, -v23
	v_rndne_f32_e32 v57, v23
	v_mul_f32_e32 v22, 0x3fb8aa3b, v4
	v_rndne_f32_e32 v37, v17
	v_dual_sub_f32 v19, v19, v43 :: v_dual_fmac_f32 v38, 0x32a5705f, v2
	s_delay_alu instid0(VALU_DEP_4) | instskip(SKIP_1) | instid1(VALU_DEP_4)
	v_dual_sub_f32 v23, v23, v57 :: v_dual_fmac_f32 v56, 0x32a5705f, v0
	v_fmac_f32_e32 v40, 0x32a5705f, v10
	v_dual_mul_f32 v20, 0x3fb8aa3b, v3 :: v_dual_sub_f32 v17, v17, v37
	v_fma_f32 v52, 0x3fb8aa3b, v11, -v21
	v_rndne_f32_e32 v53, v21
	v_dual_sub_f32 v12, v12, v35 :: v_dual_add_f32 v23, v23, v56
	v_dual_fmac_f32 v36, 0x32a5705f, v9 :: v_dual_add_f32 v19, v19, v40
	v_fmac_f32_e32 v24, 0x32a5705f, v1
	v_rndne_f32_e32 v39, v18
	v_dual_fmac_f32 v52, 0x32a5705f, v11 :: v_dual_sub_f32 v21, v21, v53
	s_delay_alu instid0(VALU_DEP_4) | instskip(NEXT) | instid1(VALU_DEP_4)
	v_add_f32_e32 v17, v17, v36
	v_add_f32_e32 v12, v12, v24
	s_delay_alu instid0(VALU_DEP_4)
	v_sub_f32_e32 v18, v18, v39
	v_cvt_i32_f32_e32 v35, v35
	v_add_f32_e32 v21, v21, v52
	v_exp_f32_e32 v17, v17
	v_exp_f32_e32 v12, v12
	v_add_f32_e32 v18, v18, v38
	v_fma_f32 v50, 0x3fb8aa3b, v3, -v20
	v_exp_f32_e32 v21, v21
	v_rndne_f32_e32 v51, v20
	v_cvt_i32_f32_e32 v37, v37
	v_cvt_i32_f32_e32 v53, v53
	v_exp_f32_e32 v18, v18
	v_cmp_ngt_f32_e32 vcc_lo, 0xc2ce8ed0, v1
	v_cvt_i32_f32_e32 v39, v39
	v_ldexp_f32 v12, v12, v35
	v_exp_f32_e32 v19, v19
	v_ldexp_f32 v17, v17, v37
	v_ldexp_f32 v21, v21, v53
	v_sub_f32_e32 v20, v20, v51
	v_cndmask_b32_e32 v12, 0, v12, vcc_lo
	v_cmp_ngt_f32_e32 vcc_lo, 0xc2ce8ed0, v9
	v_fmac_f32_e32 v50, 0x32a5705f, v3
	v_fma_f32 v54, 0x3fb8aa3b, v4, -v22
	v_rndne_f32_e32 v55, v22
	v_cvt_i32_f32_e32 v43, v43
	s_delay_alu instid0(VALU_DEP_4)
	v_dual_cndmask_b32 v17, 0, v17 :: v_dual_add_f32 v20, v20, v50
	v_ldexp_f32 v18, v18, v39
	v_cmp_ngt_f32_e32 vcc_lo, 0xc2ce8ed0, v2
	v_sub_f32_e32 v22, v22, v55
	v_ldexp_f32 v19, v19, v43
	v_exp_f32_e32 v20, v20
	v_cvt_i32_f32_e32 v51, v51
	v_cndmask_b32_e32 v18, 0, v18, vcc_lo
	v_cmp_ngt_f32_e32 vcc_lo, 0xc2ce8ed0, v10
	v_fmac_f32_e32 v54, 0x32a5705f, v4
	v_exp_f32_e32 v23, v23
	v_cvt_i32_f32_e32 v24, v55
	v_cvt_i32_f32_e32 v36, v57
	s_delay_alu instid0(VALU_DEP_3) | instskip(NEXT) | instid1(TRANS32_DEP_2)
	v_dual_cndmask_b32 v19, 0, v19 :: v_dual_add_f32 v22, v22, v54
	v_ldexp_f32 v20, v20, v51
	v_cmp_ngt_f32_e32 vcc_lo, 0xc2ce8ed0, v3
	s_delay_alu instid0(VALU_DEP_3) | instskip(NEXT) | instid1(TRANS32_DEP_2)
	v_exp_f32_e32 v22, v22
	v_ldexp_f32 v23, v23, v36
	s_delay_alu instid0(VALU_DEP_3)
	v_cndmask_b32_e32 v20, 0, v20, vcc_lo
	v_cmp_ngt_f32_e32 vcc_lo, 0xc2ce8ed0, v11
	v_cndmask_b32_e32 v21, 0, v21, vcc_lo
	v_cmp_ngt_f32_e32 vcc_lo, 0xc2ce8ed0, v4
	s_waitcnt_depctr 0xfff
	v_ldexp_f32 v22, v22, v24
	s_delay_alu instid0(VALU_DEP_1)
	v_cndmask_b32_e32 v22, 0, v22, vcc_lo
	v_cmp_ngt_f32_e32 vcc_lo, 0xc2ce8ed0, v0
	v_cndmask_b32_e32 v23, 0, v23, vcc_lo
	v_cmp_nlt_f32_e32 vcc_lo, 0x42b17218, v1
	v_cndmask_b32_e32 v1, 0x7f800000, v12, vcc_lo
	v_cmp_nlt_f32_e32 vcc_lo, 0x42b17218, v9
	;; [unrolled: 2-line block ×3, first 2 shown]
	s_delay_alu instid0(VALU_DEP_2) | instskip(SKIP_3) | instid1(VALU_DEP_2)
	v_dual_fmac_f32 v9, v5, v1 :: v_dual_cndmask_b32 v2, 0x7f800000, v18
	v_cmp_nlt_f32_e32 vcc_lo, 0x42b17218, v10
	v_cndmask_b32_e32 v10, 0x7f800000, v19, vcc_lo
	v_cmp_nlt_f32_e32 vcc_lo, 0x42b17218, v3
	v_dual_fmac_f32 v10, v6, v2 :: v_dual_cndmask_b32 v3, 0x7f800000, v20
	v_cmp_nlt_f32_e32 vcc_lo, 0x42b17218, v11
	v_cndmask_b32_e32 v11, 0x7f800000, v21, vcc_lo
	v_cmp_nlt_f32_e32 vcc_lo, 0x42b17218, v4
	s_delay_alu instid0(VALU_DEP_2)
	v_dual_fmac_f32 v11, v7, v3 :: v_dual_cndmask_b32 v4, 0x7f800000, v22
	v_cmp_nlt_f32_e32 vcc_lo, 0x42b17218, v0
	v_cvt_f16_f32_e32 v0, v1
	v_cvt_f16_f32_e32 v1, v2
	;; [unrolled: 1-line block ×4, first 2 shown]
	v_cndmask_b32_e32 v12, 0x7f800000, v23, vcc_lo
	v_pk_mul_f16 v48, v0, v48 op_sel_hi:[0,1]
	v_pk_mul_f16 v46, v1, v46 op_sel_hi:[0,1]
	;; [unrolled: 1-line block ×4, first 2 shown]
	v_fmac_f32_e32 v12, v8, v4
	v_pk_mul_f16 v45, v2, v45 op_sel_hi:[0,1]
	v_pk_mul_f16 v42, v3, v42 op_sel_hi:[0,1]
	;; [unrolled: 1-line block ×3, first 2 shown]
	v_mov_b32_e32 v5, v9
	v_mov_b32_e32 v1, v13
	;; [unrolled: 1-line block ×3, first 2 shown]
	v_pk_mul_f16 v49, v0, v49 op_sel_hi:[0,1]
	v_dual_mov_b32 v6, v10 :: v_dual_mov_b32 v7, v11
	v_mov_b32_e32 v8, v12
	v_mov_b32_e32 v2, v14
	;; [unrolled: 1-line block ×3, first 2 shown]
	s_mov_b32 s0, exec_lo
	v_cmpx_gt_i32_e64 s38, v33
	s_cbranch_execnz .LBB56_131
.LBB56_129:
	s_nop 0
	s_sendmsg sendmsg(MSG_DEALLOC_VGPRS)
	s_endpgm
.LBB56_130:
	v_dual_mov_b32 v9, v5 :: v_dual_mov_b32 v10, v6
	s_delay_alu instid0(VALU_DEP_2)
	v_dual_mov_b32 v11, v7 :: v_dual_mov_b32 v12, v8
	s_mov_b32 s0, exec_lo
	v_cmpx_gt_i32_e64 s38, v33
	s_cbranch_execz .LBB56_129
.LBB56_131:
	s_load_b32 s1, s[2:3], 0xd4
	v_mov_b32_e32 v0, 1.0
	s_waitcnt lgkmcnt(0)
	s_cmp_lg_u32 s1, 1
	s_cselect_b32 s4, -1, 0
	s_cmp_eq_u32 s1, 1
	s_cselect_b32 s3, -1, 0
	s_and_b32 vcc_lo, exec_lo, s4
	s_cbranch_vccnz .LBB56_133
; %bb.132:
	v_div_scale_f32 v0, null, v9, v9, 1.0
	s_delay_alu instid0(VALU_DEP_1) | instskip(SKIP_2) | instid1(VALU_DEP_1)
	v_rcp_f32_e32 v13, v0
	s_waitcnt_depctr 0xfff
	v_fma_f32 v14, -v0, v13, 1.0
	v_fmac_f32_e32 v13, v14, v13
	v_div_scale_f32 v14, vcc_lo, 1.0, v9, 1.0
	s_delay_alu instid0(VALU_DEP_1) | instskip(NEXT) | instid1(VALU_DEP_1)
	v_mul_f32_e32 v15, v14, v13
	v_fma_f32 v16, -v0, v15, v14
	s_delay_alu instid0(VALU_DEP_1) | instskip(NEXT) | instid1(VALU_DEP_1)
	v_fmac_f32_e32 v15, v16, v13
	v_fma_f32 v0, -v0, v15, v14
	s_delay_alu instid0(VALU_DEP_1) | instskip(NEXT) | instid1(VALU_DEP_1)
	v_div_fmas_f32 v0, v0, v13, v15
	v_div_fixup_f32 v0, v0, v9, 1.0
.LBB56_133:
	s_mul_i32 s2, s33, s38
	v_cvt_f32_f16_e32 v17, v48
	s_add_i32 s2, s2, s11
	v_cvt_f32_f16_e32 v20, v49
	v_add_nc_u32_e32 v9, s2, v31
	v_cmp_eq_u32_e32 vcc_lo, 0, v34
	s_delay_alu instid0(VALU_DEP_2) | instskip(SKIP_2) | instid1(VALU_DEP_2)
	v_mad_u64_u32 v[15:16], null, v9, s39, s[34:35]
	v_lshrrev_b32_e32 v16, 16, v49
	v_lshrrev_b32_e32 v9, 16, v48
	v_cvt_f32_f16_e32 v21, v16
	s_delay_alu instid0(VALU_DEP_4) | instskip(SKIP_1) | instid1(VALU_DEP_4)
	v_mad_u64_u32 v[13:14], null, s1, v15, s[14:15]
	v_dual_mov_b32 v15, 0 :: v_dual_mul_f32 v16, v0, v20
	v_cvt_f32_f16_e32 v9, v9
	s_delay_alu instid0(VALU_DEP_3) | instskip(NEXT) | instid1(VALU_DEP_1)
	v_lshl_add_u32 v14, v13, 7, v28
	v_lshlrev_b64 v[18:19], 2, v[14:15]
	v_mul_f32_e32 v14, v0, v17
	s_delay_alu instid0(VALU_DEP_4) | instskip(SKIP_1) | instid1(VALU_DEP_4)
	v_mul_f32_e32 v15, v0, v9
	v_mul_f32_e32 v17, v0, v21
	v_add_co_u32 v18, s0, s28, v18
	s_delay_alu instid0(VALU_DEP_1)
	v_add_co_ci_u32_e64 v19, s0, s29, v19, s0
	s_and_b32 s0, vcc_lo, s4
	global_store_b128 v[18:19], v[14:17], off
	s_and_saveexec_b32 s4, s0
	s_cbranch_execz .LBB56_135
; %bb.134:
	v_ashrrev_i32_e32 v14, 31, v13
	v_mov_b32_e32 v0, v1
	v_mov_b32_e32 v1, v5
	s_delay_alu instid0(VALU_DEP_3) | instskip(NEXT) | instid1(VALU_DEP_1)
	v_lshlrev_b64 v[13:14], 3, v[13:14]
	v_add_co_u32 v13, vcc_lo, s30, v13
	s_delay_alu instid0(VALU_DEP_2)
	v_add_co_ci_u32_e32 v14, vcc_lo, s31, v14, vcc_lo
	global_store_b64 v[13:14], v[0:1], off
.LBB56_135:
	s_or_b32 exec_lo, exec_lo, s4
	v_cmp_gt_i32_e32 vcc_lo, s38, v32
	s_and_b32 exec_lo, exec_lo, vcc_lo
	s_cbranch_execz .LBB56_129
; %bb.136:
	v_cndmask_b32_e64 v9, 0, 1, s3
	v_mov_b32_e32 v5, 1.0
	s_and_not1_b32 vcc_lo, exec_lo, s3
	s_cbranch_vccnz .LBB56_138
; %bb.137:
	v_div_scale_f32 v0, null, v10, v10, 1.0
	s_delay_alu instid0(VALU_DEP_1) | instskip(SKIP_2) | instid1(VALU_DEP_1)
	v_rcp_f32_e32 v1, v0
	s_waitcnt_depctr 0xfff
	v_fma_f32 v5, -v0, v1, 1.0
	v_fmac_f32_e32 v1, v5, v1
	v_div_scale_f32 v5, vcc_lo, 1.0, v10, 1.0
	s_delay_alu instid0(VALU_DEP_1) | instskip(NEXT) | instid1(VALU_DEP_1)
	v_mul_f32_e32 v13, v5, v1
	v_fma_f32 v14, -v0, v13, v5
	s_delay_alu instid0(VALU_DEP_1) | instskip(NEXT) | instid1(VALU_DEP_1)
	v_fmac_f32_e32 v13, v14, v1
	v_fma_f32 v0, -v0, v13, v5
	s_delay_alu instid0(VALU_DEP_1) | instskip(NEXT) | instid1(VALU_DEP_1)
	v_div_fmas_f32 v0, v0, v1, v13
	v_div_fixup_f32 v5, v0, v10, 1.0
.LBB56_138:
	v_cvt_f32_f16_e32 v15, v46
	v_add_nc_u32_e32 v0, s2, v29
	v_cvt_f32_f16_e32 v16, v47
	v_lshrrev_b32_e32 v10, 16, v47
	s_delay_alu instid0(VALU_DEP_3) | instskip(SKIP_1) | instid1(VALU_DEP_3)
	v_mad_u64_u32 v[13:14], null, v0, s39, s[34:35]
	v_mov_b32_e32 v14, 0
	v_cvt_f32_f16_e32 v10, v10
	s_delay_alu instid0(VALU_DEP_3) | instskip(SKIP_1) | instid1(VALU_DEP_1)
	v_mad_u64_u32 v[0:1], null, s1, v13, s[14:15]
	v_lshrrev_b32_e32 v1, 16, v46
	v_cvt_f32_f16_e32 v1, v1
	s_delay_alu instid0(VALU_DEP_3) | instskip(NEXT) | instid1(VALU_DEP_1)
	v_lshl_add_u32 v13, v0, 7, v28
	v_lshlrev_b64 v[17:18], 2, v[13:14]
	v_mul_f32_e32 v13, v5, v15
	v_mul_f32_e32 v15, v5, v16
	v_mul_f32_e32 v14, v5, v1
	v_mul_f32_e32 v16, v5, v10
	v_add_co_u32 v17, vcc_lo, s28, v17
	v_add_co_ci_u32_e32 v18, vcc_lo, s29, v18, vcc_lo
	global_store_b128 v[17:18], v[13:16], off
	s_and_saveexec_b32 s3, s0
	s_cbranch_execz .LBB56_140
; %bb.139:
	v_ashrrev_i32_e32 v1, 31, v0
	v_mov_b32_e32 v5, v2
	s_delay_alu instid0(VALU_DEP_2) | instskip(NEXT) | instid1(VALU_DEP_1)
	v_lshlrev_b64 v[0:1], 3, v[0:1]
	v_add_co_u32 v0, vcc_lo, s30, v0
	s_delay_alu instid0(VALU_DEP_2)
	v_add_co_ci_u32_e32 v1, vcc_lo, s31, v1, vcc_lo
	global_store_b64 v[0:1], v[5:6], off
.LBB56_140:
	s_or_b32 exec_lo, exec_lo, s3
	v_cmp_gt_i32_e32 vcc_lo, s38, v30
	s_and_b32 exec_lo, exec_lo, vcc_lo
	s_cbranch_execz .LBB56_129
; %bb.141:
	v_cmp_ne_u32_e32 vcc_lo, 1, v9
	v_mov_b32_e32 v2, 1.0
	s_cbranch_vccnz .LBB56_143
; %bb.142:
	v_div_scale_f32 v0, null, v11, v11, 1.0
	s_delay_alu instid0(VALU_DEP_1) | instskip(SKIP_2) | instid1(VALU_DEP_1)
	v_rcp_f32_e32 v1, v0
	s_waitcnt_depctr 0xfff
	v_fma_f32 v2, -v0, v1, 1.0
	v_fmac_f32_e32 v1, v2, v1
	v_div_scale_f32 v2, vcc_lo, 1.0, v11, 1.0
	s_delay_alu instid0(VALU_DEP_1) | instskip(NEXT) | instid1(VALU_DEP_1)
	v_mul_f32_e32 v5, v2, v1
	v_fma_f32 v6, -v0, v5, v2
	s_delay_alu instid0(VALU_DEP_1) | instskip(NEXT) | instid1(VALU_DEP_1)
	v_fmac_f32_e32 v5, v6, v1
	v_fma_f32 v0, -v0, v5, v2
	s_delay_alu instid0(VALU_DEP_1) | instskip(NEXT) | instid1(VALU_DEP_1)
	v_div_fmas_f32 v0, v0, v1, v5
	v_div_fixup_f32 v2, v0, v11, 1.0
.LBB56_143:
	v_cvt_f32_f16_e32 v14, v45
	v_add_nc_u32_e32 v0, s2, v27
	v_cvt_f32_f16_e32 v11, v44
	v_lshrrev_b32_e32 v10, 16, v45
	s_delay_alu instid0(VALU_DEP_4) | instskip(NEXT) | instid1(VALU_DEP_4)
	v_mul_f32_e32 v15, v2, v14
	v_mad_u64_u32 v[5:6], null, v0, s39, s[34:35]
	s_delay_alu instid0(VALU_DEP_4) | instskip(NEXT) | instid1(VALU_DEP_4)
	v_dual_mov_b32 v6, 0 :: v_dual_mul_f32 v13, v2, v11
	v_cvt_f32_f16_e32 v10, v10
	s_delay_alu instid0(VALU_DEP_3) | instskip(SKIP_1) | instid1(VALU_DEP_3)
	v_mad_u64_u32 v[0:1], null, s1, v5, s[14:15]
	v_lshrrev_b32_e32 v1, 16, v44
	v_mul_f32_e32 v16, v2, v10
	s_delay_alu instid0(VALU_DEP_2) | instskip(NEXT) | instid1(VALU_DEP_4)
	v_cvt_f32_f16_e32 v1, v1
	v_lshl_add_u32 v5, v0, 7, v28
	s_delay_alu instid0(VALU_DEP_2) | instskip(NEXT) | instid1(VALU_DEP_2)
	v_mul_f32_e32 v14, v2, v1
	v_lshlrev_b64 v[5:6], 2, v[5:6]
	s_delay_alu instid0(VALU_DEP_1) | instskip(NEXT) | instid1(VALU_DEP_2)
	v_add_co_u32 v1, vcc_lo, s28, v5
	v_add_co_ci_u32_e32 v2, vcc_lo, s29, v6, vcc_lo
	global_store_b128 v[1:2], v[13:16], off
	s_and_saveexec_b32 s3, s0
	s_cbranch_execz .LBB56_145
; %bb.144:
	v_ashrrev_i32_e32 v1, 31, v0
	v_mov_b32_e32 v6, v3
	s_delay_alu instid0(VALU_DEP_2) | instskip(NEXT) | instid1(VALU_DEP_1)
	v_lshlrev_b64 v[0:1], 3, v[0:1]
	v_add_co_u32 v0, vcc_lo, s30, v0
	s_delay_alu instid0(VALU_DEP_2)
	v_add_co_ci_u32_e32 v1, vcc_lo, s31, v1, vcc_lo
	global_store_b64 v[0:1], v[6:7], off
.LBB56_145:
	s_or_b32 exec_lo, exec_lo, s3
	v_cmp_gt_i32_e32 vcc_lo, s38, v26
	s_and_b32 exec_lo, exec_lo, vcc_lo
	s_cbranch_execz .LBB56_129
; %bb.146:
	v_cmp_ne_u32_e32 vcc_lo, 1, v9
	v_mov_b32_e32 v2, 1.0
	s_cbranch_vccnz .LBB56_148
; %bb.147:
	v_div_scale_f32 v0, null, v12, v12, 1.0
	s_delay_alu instid0(VALU_DEP_1) | instskip(SKIP_2) | instid1(VALU_DEP_1)
	v_rcp_f32_e32 v1, v0
	s_waitcnt_depctr 0xfff
	v_fma_f32 v2, -v0, v1, 1.0
	v_fmac_f32_e32 v1, v2, v1
	v_div_scale_f32 v2, vcc_lo, 1.0, v12, 1.0
	s_delay_alu instid0(VALU_DEP_1) | instskip(NEXT) | instid1(VALU_DEP_1)
	v_mul_f32_e32 v3, v2, v1
	v_fma_f32 v5, -v0, v3, v2
	s_delay_alu instid0(VALU_DEP_1) | instskip(NEXT) | instid1(VALU_DEP_1)
	v_fmac_f32_e32 v3, v5, v1
	v_fma_f32 v0, -v0, v3, v2
	s_delay_alu instid0(VALU_DEP_1) | instskip(NEXT) | instid1(VALU_DEP_1)
	v_div_fmas_f32 v0, v0, v1, v3
	v_div_fixup_f32 v2, v0, v12, 1.0
.LBB56_148:
	v_cvt_f32_f16_e32 v7, v42
	v_add_nc_u32_e32 v0, s2, v25
	v_cvt_f32_f16_e32 v10, v41
	v_lshrrev_b32_e32 v3, 16, v41
	s_delay_alu instid0(VALU_DEP_4) | instskip(NEXT) | instid1(VALU_DEP_4)
	v_mul_f32_e32 v9, v2, v7
	v_mad_u64_u32 v[5:6], null, v0, s39, s[34:35]
	s_delay_alu instid0(VALU_DEP_4) | instskip(NEXT) | instid1(VALU_DEP_4)
	v_dual_mov_b32 v6, 0 :: v_dual_mul_f32 v11, v2, v10
	v_cvt_f32_f16_e32 v3, v3
	s_delay_alu instid0(VALU_DEP_3) | instskip(SKIP_1) | instid1(VALU_DEP_3)
	v_mad_u64_u32 v[0:1], null, s1, v5, s[14:15]
	v_lshrrev_b32_e32 v1, 16, v42
	v_mul_f32_e32 v12, v2, v3
	s_delay_alu instid0(VALU_DEP_2) | instskip(NEXT) | instid1(VALU_DEP_4)
	v_cvt_f32_f16_e32 v1, v1
	v_lshl_add_u32 v5, v0, 7, v28
	s_delay_alu instid0(VALU_DEP_2) | instskip(NEXT) | instid1(VALU_DEP_2)
	v_mul_f32_e32 v10, v2, v1
	v_lshlrev_b64 v[5:6], 2, v[5:6]
	s_delay_alu instid0(VALU_DEP_1) | instskip(NEXT) | instid1(VALU_DEP_2)
	v_add_co_u32 v1, vcc_lo, s28, v5
	v_add_co_ci_u32_e32 v2, vcc_lo, s29, v6, vcc_lo
	global_store_b128 v[1:2], v[9:12], off
	s_and_b32 exec_lo, exec_lo, s0
	s_cbranch_execz .LBB56_129
; %bb.149:
	v_ashrrev_i32_e32 v1, 31, v0
	v_mov_b32_e32 v7, v4
	s_delay_alu instid0(VALU_DEP_2) | instskip(NEXT) | instid1(VALU_DEP_1)
	v_lshlrev_b64 v[0:1], 3, v[0:1]
	v_add_co_u32 v0, vcc_lo, s30, v0
	s_delay_alu instid0(VALU_DEP_2)
	v_add_co_ci_u32_e32 v1, vcc_lo, s31, v1, vcc_lo
	global_store_b64 v[0:1], v[7:8], off
	s_nop 0
	s_sendmsg sendmsg(MSG_DEALLOC_VGPRS)
	s_endpgm
	.section	.rodata,"a",@progbits
	.p2align	6, 0x0
	.amdhsa_kernel _ZL15flash_attn_tileILi128ELi128ELi32ELi1ELb0EEvPKcS1_S1_S1_S1_PKiPfP15HIP_vector_typeIfLj2EEffffjfiS5_IjLj3EEiiiiiiiiiiiliiliiiiil
		.amdhsa_group_segment_fixed_size 43008
		.amdhsa_private_segment_fixed_size 0
		.amdhsa_kernarg_size 464
		.amdhsa_user_sgpr_count 13
		.amdhsa_user_sgpr_dispatch_ptr 1
		.amdhsa_user_sgpr_queue_ptr 0
		.amdhsa_user_sgpr_kernarg_segment_ptr 1
		.amdhsa_user_sgpr_dispatch_id 0
		.amdhsa_user_sgpr_private_segment_size 0
		.amdhsa_wavefront_size32 1
		.amdhsa_uses_dynamic_stack 0
		.amdhsa_enable_private_segment 0
		.amdhsa_system_sgpr_workgroup_id_x 1
		.amdhsa_system_sgpr_workgroup_id_y 1
		.amdhsa_system_sgpr_workgroup_id_z 1
		.amdhsa_system_sgpr_workgroup_info 0
		.amdhsa_system_vgpr_workitem_id 2
		.amdhsa_next_free_vgpr 130
		.amdhsa_next_free_sgpr 48
		.amdhsa_reserve_vcc 1
		.amdhsa_float_round_mode_32 0
		.amdhsa_float_round_mode_16_64 0
		.amdhsa_float_denorm_mode_32 3
		.amdhsa_float_denorm_mode_16_64 3
		.amdhsa_dx10_clamp 1
		.amdhsa_ieee_mode 1
		.amdhsa_fp16_overflow 0
		.amdhsa_workgroup_processor_mode 1
		.amdhsa_memory_ordered 1
		.amdhsa_forward_progress 0
		.amdhsa_shared_vgpr_count 0
		.amdhsa_exception_fp_ieee_invalid_op 0
		.amdhsa_exception_fp_denorm_src 0
		.amdhsa_exception_fp_ieee_div_zero 0
		.amdhsa_exception_fp_ieee_overflow 0
		.amdhsa_exception_fp_ieee_underflow 0
		.amdhsa_exception_fp_ieee_inexact 0
		.amdhsa_exception_int_div_zero 0
	.end_amdhsa_kernel
	.section	.text._ZL15flash_attn_tileILi128ELi128ELi32ELi1ELb0EEvPKcS1_S1_S1_S1_PKiPfP15HIP_vector_typeIfLj2EEffffjfiS5_IjLj3EEiiiiiiiiiiiliiliiiiil,"axG",@progbits,_ZL15flash_attn_tileILi128ELi128ELi32ELi1ELb0EEvPKcS1_S1_S1_S1_PKiPfP15HIP_vector_typeIfLj2EEffffjfiS5_IjLj3EEiiiiiiiiiiiliiliiiiil,comdat
.Lfunc_end56:
	.size	_ZL15flash_attn_tileILi128ELi128ELi32ELi1ELb0EEvPKcS1_S1_S1_S1_PKiPfP15HIP_vector_typeIfLj2EEffffjfiS5_IjLj3EEiiiiiiiiiiiliiliiiiil, .Lfunc_end56-_ZL15flash_attn_tileILi128ELi128ELi32ELi1ELb0EEvPKcS1_S1_S1_S1_PKiPfP15HIP_vector_typeIfLj2EEffffjfiS5_IjLj3EEiiiiiiiiiiiliiliiiiil
                                        ; -- End function
	.section	.AMDGPU.csdata,"",@progbits
; Kernel info:
; codeLenInByte = 82504
; NumSgprs: 50
; NumVgprs: 130
; ScratchSize: 0
; MemoryBound: 0
; FloatMode: 240
; IeeeMode: 1
; LDSByteSize: 43008 bytes/workgroup (compile time only)
; SGPRBlocks: 6
; VGPRBlocks: 16
; NumSGPRsForWavesPerEU: 50
; NumVGPRsForWavesPerEU: 130
; Occupancy: 6
; WaveLimiterHint : 0
; COMPUTE_PGM_RSRC2:SCRATCH_EN: 0
; COMPUTE_PGM_RSRC2:USER_SGPR: 13
; COMPUTE_PGM_RSRC2:TRAP_HANDLER: 0
; COMPUTE_PGM_RSRC2:TGID_X_EN: 1
; COMPUTE_PGM_RSRC2:TGID_Y_EN: 1
; COMPUTE_PGM_RSRC2:TGID_Z_EN: 1
; COMPUTE_PGM_RSRC2:TIDIG_COMP_CNT: 2
	.section	.text._ZL33flash_attn_stream_k_fixup_uniformILi128ELi32ELi1EEvPfPK15HIP_vector_typeIfLj2EEiiiiiiS1_IjLj3EES5_S5_,"axG",@progbits,_ZL33flash_attn_stream_k_fixup_uniformILi128ELi32ELi1EEvPfPK15HIP_vector_typeIfLj2EEiiiiiiS1_IjLj3EES5_S5_,comdat
	.globl	_ZL33flash_attn_stream_k_fixup_uniformILi128ELi32ELi1EEvPfPK15HIP_vector_typeIfLj2EEiiiiiiS1_IjLj3EES5_S5_ ; -- Begin function _ZL33flash_attn_stream_k_fixup_uniformILi128ELi32ELi1EEvPfPK15HIP_vector_typeIfLj2EEiiiiiiS1_IjLj3EES5_S5_
	.p2align	8
	.type	_ZL33flash_attn_stream_k_fixup_uniformILi128ELi32ELi1EEvPfPK15HIP_vector_typeIfLj2EEiiiiiiS1_IjLj3EES5_S5_,@function
_ZL33flash_attn_stream_k_fixup_uniformILi128ELi32ELi1EEvPfPK15HIP_vector_typeIfLj2EEiiiiiiS1_IjLj3EES5_S5_: ; @_ZL33flash_attn_stream_k_fixup_uniformILi128ELi32ELi1EEvPfPK15HIP_vector_typeIfLj2EEiiiiiiS1_IjLj3EES5_S5_
; %bb.0:
	s_clause 0x1
	s_load_b256 s[4:11], s[0:1], 0x1c
	s_load_b128 s[16:19], s[0:1], 0x3c
	s_waitcnt lgkmcnt(0)
	s_mul_hi_u32 s2, s7, s13
	s_delay_alu instid0(SALU_CYCLE_1) | instskip(NEXT) | instid1(SALU_CYCLE_1)
	s_add_i32 s2, s13, s2
	s_lshr_b32 s2, s2, s8
	s_delay_alu instid0(SALU_CYCLE_1) | instskip(SKIP_2) | instid1(SALU_CYCLE_1)
	s_mul_i32 s3, s2, s9
	s_load_b64 s[8:9], s[0:1], 0x10
	s_sub_i32 s7, s13, s3
	s_mul_hi_u32 s3, s7, s10
	s_delay_alu instid0(SALU_CYCLE_1) | instskip(NEXT) | instid1(SALU_CYCLE_1)
	s_add_i32 s3, s7, s3
	s_lshr_b32 s3, s3, s11
	s_delay_alu instid0(SALU_CYCLE_1) | instskip(NEXT) | instid1(SALU_CYCLE_1)
	s_mul_i32 s10, s3, s16
	s_sub_i32 s10, s7, s10
	s_delay_alu instid0(SALU_CYCLE_1) | instskip(NEXT) | instid1(SALU_CYCLE_1)
	s_mul_hi_u32 s7, s10, s17
	s_add_i32 s7, s10, s7
	s_delay_alu instid0(SALU_CYCLE_1) | instskip(NEXT) | instid1(SALU_CYCLE_1)
	s_lshr_b32 s7, s7, s18
	s_mul_i32 s11, s7, s19
	s_delay_alu instid0(SALU_CYCLE_1) | instskip(NEXT) | instid1(SALU_CYCLE_1)
	s_sub_i32 s10, s10, s11
	s_lshl_b32 s11, s10, 5
	s_delay_alu instid0(SALU_CYCLE_1) | instskip(SKIP_4) | instid1(SALU_CYCLE_1)
	s_add_i32 s11, s11, s14
	s_waitcnt lgkmcnt(0)
	s_cmp_lt_i32 s11, s8
	s_cselect_b32 s11, -1, 0
	s_add_i32 s12, s7, s15
	s_cmp_lt_i32 s12, s5
	s_cselect_b32 s12, -1, 0
	s_delay_alu instid0(SALU_CYCLE_1) | instskip(NEXT) | instid1(SALU_CYCLE_1)
	s_and_b32 s11, s11, s12
	s_and_not1_b32 vcc_lo, exec_lo, s11
	s_cbranch_vccnz .LBB57_6
; %bb.1:
	s_mul_i32 s2, s2, s8
	s_mul_i32 s5, s3, s5
	s_add_i32 s2, s2, s14
	s_delay_alu instid0(SALU_CYCLE_1) | instskip(NEXT) | instid1(SALU_CYCLE_1)
	s_mul_i32 s2, s2, s9
	s_add_i32 s8, s2, s15
	s_load_b128 s[0:3], s[0:1], 0x0
	s_add_i32 s5, s8, s5
	s_mul_i32 s8, s9, s10
	s_add_i32 s5, s5, s7
	s_lshl_b32 s7, s8, 12
	s_lshl_b32 s5, s5, 7
	s_add_i32 s10, s14, s15
	s_add_i32 s7, s7, s5
	s_mul_i32 s5, s13, s6
	v_or_b32_e32 v1, s7, v0
	s_add_i32 s9, s5, s6
	s_delay_alu instid0(VALU_DEP_1) | instskip(NEXT) | instid1(VALU_DEP_1)
	v_ashrrev_i32_e32 v2, 31, v1
	v_lshlrev_b64 v[1:2], 2, v[1:2]
	s_waitcnt lgkmcnt(0)
	s_delay_alu instid0(VALU_DEP_1) | instskip(NEXT) | instid1(VALU_DEP_2)
	v_add_co_u32 v1, vcc_lo, s0, v1
	v_add_co_ci_u32_e32 v2, vcc_lo, s1, v2, vcc_lo
	s_lshl_b32 s0, s9, 5
	s_delay_alu instid0(SALU_CYCLE_1) | instskip(SKIP_2) | instid1(SALU_CYCLE_1)
	s_add_i32 s0, s10, s0
	global_load_b32 v5, v[1:2], off
	s_sub_i32 s0, s0, 32
	s_ashr_i32 s1, s0, 31
	s_delay_alu instid0(SALU_CYCLE_1) | instskip(NEXT) | instid1(SALU_CYCLE_1)
	s_lshl_b64 s[0:1], s[0:1], 3
	s_add_u32 s0, s2, s0
	s_addc_u32 s1, s3, s1
	s_add_i32 s7, s9, -2
	s_load_b32 s11, s[0:1], 0x4
	s_cmp_lt_i32 s7, s5
	s_cbranch_scc1 .LBB57_4
; %bb.2:
	s_lshl_b32 s14, s4, 7
	s_load_b32 s12, s[0:1], 0x0
	s_ashr_i32 s15, s14, 31
	s_delay_alu instid0(SALU_CYCLE_1) | instskip(NEXT) | instid1(SALU_CYCLE_1)
	s_lshl_b64 s[0:1], s[14:15], 2
	s_add_u32 s7, s2, s0
	s_addc_u32 s8, s3, s1
	s_add_i32 s13, s13, 1
	s_lshl_b32 s1, s10, 7
	s_mul_i32 s0, s6, s13
	s_delay_alu instid0(SALU_CYCLE_1)
	s_lshl_b32 s6, s0, 12
	s_lshl_b32 s0, s0, 5
	s_add_i32 s1, s1, s6
	s_add_i32 s0, s10, s0
	v_or_b32_e32 v0, s1, v0
	s_lshl_b32 s1, s4, 5
	s_waitcnt lgkmcnt(0)
	v_mov_b32_e32 v6, s11
	s_add_i32 s0, s0, s1
	s_add_i32 s4, s9, -1
	v_dual_mov_b32 v0, s12 :: v_dual_add_nc_u32 v3, 0xffffe000, v0
	s_sub_i32 s0, s0, 64
.LBB57_3:                               ; =>This Inner Loop Header: Depth=1
	s_delay_alu instid0(VALU_DEP_1) | instskip(SKIP_1) | instid1(SALU_CYCLE_1)
	v_ashrrev_i32_e32 v4, 31, v3
	s_ashr_i32 s1, s0, 31
	s_lshl_b64 s[10:11], s[0:1], 3
	s_delay_alu instid0(SALU_CYCLE_1) | instskip(NEXT) | instid1(VALU_DEP_1)
	s_add_u32 s10, s2, s10
	v_lshlrev_b64 v[7:8], 2, v[3:4]
	s_addc_u32 s11, s3, s11
	s_add_i32 s4, s4, -1
	s_sub_i32 s0, s0, 32
	s_cmp_le_i32 s4, s5
	s_load_b64 s[10:11], s[10:11], 0x0
	v_add_co_u32 v7, vcc_lo, s7, v7
	v_add_co_ci_u32_e32 v8, vcc_lo, s8, v8, vcc_lo
	global_load_b32 v4, v[7:8], off
	v_max_f32_e32 v7, v0, v0
	s_waitcnt lgkmcnt(0)
	v_max_f32_e64 v8, s10, s10
	s_delay_alu instid0(VALU_DEP_1) | instskip(NEXT) | instid1(VALU_DEP_1)
	v_max_f32_e32 v7, v7, v8
	v_sub_f32_e32 v8, s10, v7
	s_delay_alu instid0(VALU_DEP_1) | instskip(NEXT) | instid1(VALU_DEP_1)
	v_dual_sub_f32 v0, v0, v7 :: v_dual_mul_f32 v9, 0x3fb8aa3b, v8
	v_fma_f32 v10, 0x3fb8aa3b, v8, -v9
	v_rndne_f32_e32 v11, v9
	s_delay_alu instid0(VALU_DEP_3) | instskip(NEXT) | instid1(VALU_DEP_2)
	v_mul_f32_e32 v12, 0x3fb8aa3b, v0
	v_dual_fmac_f32 v10, 0x32a5705f, v8 :: v_dual_sub_f32 v9, v9, v11
	v_cvt_i32_f32_e32 v11, v11
	s_delay_alu instid0(VALU_DEP_3) | instskip(SKIP_1) | instid1(VALU_DEP_4)
	v_fma_f32 v13, 0x3fb8aa3b, v0, -v12
	v_rndne_f32_e32 v14, v12
	v_add_f32_e32 v9, v9, v10
	v_cmp_ngt_f32_e32 vcc_lo, 0xc2ce8ed0, v8
	s_delay_alu instid0(VALU_DEP_3) | instskip(NEXT) | instid1(VALU_DEP_3)
	v_sub_f32_e32 v10, v12, v14
	v_exp_f32_e32 v9, v9
	s_waitcnt_depctr 0xfff
	v_ldexp_f32 v9, v9, v11
	v_cvt_i32_f32_e32 v11, v14
	s_delay_alu instid0(VALU_DEP_2) | instskip(SKIP_1) | instid1(VALU_DEP_2)
	v_cndmask_b32_e32 v9, 0, v9, vcc_lo
	v_cmp_nlt_f32_e32 vcc_lo, 0x42b17218, v8
	v_cndmask_b32_e32 v9, 0x7f800000, v9, vcc_lo
	v_cmp_ngt_f32_e32 vcc_lo, 0xc2ce8ed0, v0
	v_fmac_f32_e32 v13, 0x32a5705f, v0
	s_delay_alu instid0(VALU_DEP_1) | instskip(NEXT) | instid1(VALU_DEP_1)
	v_add_f32_e32 v10, v10, v13
	v_exp_f32_e32 v10, v10
	s_waitcnt_depctr 0xfff
	v_ldexp_f32 v10, v10, v11
	s_delay_alu instid0(VALU_DEP_1)
	v_dual_mov_b32 v11, v6 :: v_dual_cndmask_b32 v10, 0, v10
	v_cmp_le_f32_e32 vcc_lo, 0xc1a00000, v8
	s_waitcnt vmcnt(1)
	v_dual_cndmask_b32 v8, 0, v9 :: v_dual_mov_b32 v9, v5
	v_cmp_nlt_f32_e32 vcc_lo, 0x42b17218, v0
	v_cndmask_b32_e32 v5, 0x7f800000, v10, vcc_lo
	s_delay_alu instid0(VALU_DEP_3) | instskip(SKIP_2) | instid1(VALU_DEP_3)
	v_mul_f32_e32 v10, s11, v8
	v_cmp_le_f32_e32 vcc_lo, 0xc1a00000, v0
	v_mov_b32_e32 v0, v7
	v_mov_b32_e32 v6, v10
	s_waitcnt vmcnt(0)
	v_dual_cndmask_b32 v12, 0, v5 :: v_dual_mul_f32 v5, v4, v8
	s_delay_alu instid0(VALU_DEP_1) | instskip(NEXT) | instid1(VALU_DEP_2)
	v_dual_fmac_f32 v6, v11, v12 :: v_dual_add_nc_u32 v3, 0xfffff000, v3
	v_fmac_f32_e32 v5, v9, v12
	s_cbranch_scc0 .LBB57_3
	s_branch .LBB57_5
.LBB57_4:
	s_waitcnt lgkmcnt(0)
	v_mov_b32_e32 v6, s11
.LBB57_5:
	s_waitcnt vmcnt(0)
	s_delay_alu instid0(VALU_DEP_1) | instskip(NEXT) | instid1(VALU_DEP_1)
	v_div_scale_f32 v0, null, v6, v6, v5
	v_rcp_f32_e32 v3, v0
	s_waitcnt_depctr 0xfff
	v_fma_f32 v4, -v0, v3, 1.0
	s_delay_alu instid0(VALU_DEP_1) | instskip(SKIP_1) | instid1(VALU_DEP_1)
	v_fmac_f32_e32 v3, v4, v3
	v_div_scale_f32 v4, vcc_lo, v5, v6, v5
	v_mul_f32_e32 v7, v4, v3
	s_delay_alu instid0(VALU_DEP_1) | instskip(NEXT) | instid1(VALU_DEP_1)
	v_fma_f32 v8, -v0, v7, v4
	v_fmac_f32_e32 v7, v8, v3
	s_delay_alu instid0(VALU_DEP_1) | instskip(NEXT) | instid1(VALU_DEP_1)
	v_fma_f32 v0, -v0, v7, v4
	v_div_fmas_f32 v0, v0, v3, v7
	s_delay_alu instid0(VALU_DEP_1)
	v_div_fixup_f32 v0, v0, v6, v5
	global_store_b32 v[1:2], v0, off
.LBB57_6:
	s_nop 0
	s_sendmsg sendmsg(MSG_DEALLOC_VGPRS)
	s_endpgm
	.section	.rodata,"a",@progbits
	.p2align	6, 0x0
	.amdhsa_kernel _ZL33flash_attn_stream_k_fixup_uniformILi128ELi32ELi1EEvPfPK15HIP_vector_typeIfLj2EEiiiiiiS1_IjLj3EES5_S5_
		.amdhsa_group_segment_fixed_size 0
		.amdhsa_private_segment_fixed_size 0
		.amdhsa_kernarg_size 76
		.amdhsa_user_sgpr_count 13
		.amdhsa_user_sgpr_dispatch_ptr 0
		.amdhsa_user_sgpr_queue_ptr 0
		.amdhsa_user_sgpr_kernarg_segment_ptr 1
		.amdhsa_user_sgpr_dispatch_id 0
		.amdhsa_user_sgpr_private_segment_size 0
		.amdhsa_wavefront_size32 1
		.amdhsa_uses_dynamic_stack 0
		.amdhsa_enable_private_segment 0
		.amdhsa_system_sgpr_workgroup_id_x 1
		.amdhsa_system_sgpr_workgroup_id_y 1
		.amdhsa_system_sgpr_workgroup_id_z 1
		.amdhsa_system_sgpr_workgroup_info 0
		.amdhsa_system_vgpr_workitem_id 0
		.amdhsa_next_free_vgpr 15
		.amdhsa_next_free_sgpr 20
		.amdhsa_reserve_vcc 1
		.amdhsa_float_round_mode_32 0
		.amdhsa_float_round_mode_16_64 0
		.amdhsa_float_denorm_mode_32 3
		.amdhsa_float_denorm_mode_16_64 3
		.amdhsa_dx10_clamp 1
		.amdhsa_ieee_mode 1
		.amdhsa_fp16_overflow 0
		.amdhsa_workgroup_processor_mode 1
		.amdhsa_memory_ordered 1
		.amdhsa_forward_progress 0
		.amdhsa_shared_vgpr_count 0
		.amdhsa_exception_fp_ieee_invalid_op 0
		.amdhsa_exception_fp_denorm_src 0
		.amdhsa_exception_fp_ieee_div_zero 0
		.amdhsa_exception_fp_ieee_overflow 0
		.amdhsa_exception_fp_ieee_underflow 0
		.amdhsa_exception_fp_ieee_inexact 0
		.amdhsa_exception_int_div_zero 0
	.end_amdhsa_kernel
	.section	.text._ZL33flash_attn_stream_k_fixup_uniformILi128ELi32ELi1EEvPfPK15HIP_vector_typeIfLj2EEiiiiiiS1_IjLj3EES5_S5_,"axG",@progbits,_ZL33flash_attn_stream_k_fixup_uniformILi128ELi32ELi1EEvPfPK15HIP_vector_typeIfLj2EEiiiiiiS1_IjLj3EES5_S5_,comdat
.Lfunc_end57:
	.size	_ZL33flash_attn_stream_k_fixup_uniformILi128ELi32ELi1EEvPfPK15HIP_vector_typeIfLj2EEiiiiiiS1_IjLj3EES5_S5_, .Lfunc_end57-_ZL33flash_attn_stream_k_fixup_uniformILi128ELi32ELi1EEvPfPK15HIP_vector_typeIfLj2EEiiiiiiS1_IjLj3EES5_S5_
                                        ; -- End function
	.section	.AMDGPU.csdata,"",@progbits
; Kernel info:
; codeLenInByte = 976
; NumSgprs: 22
; NumVgprs: 15
; ScratchSize: 0
; MemoryBound: 0
; FloatMode: 240
; IeeeMode: 1
; LDSByteSize: 0 bytes/workgroup (compile time only)
; SGPRBlocks: 2
; VGPRBlocks: 1
; NumSGPRsForWavesPerEU: 22
; NumVGPRsForWavesPerEU: 15
; Occupancy: 16
; WaveLimiterHint : 0
; COMPUTE_PGM_RSRC2:SCRATCH_EN: 0
; COMPUTE_PGM_RSRC2:USER_SGPR: 13
; COMPUTE_PGM_RSRC2:TRAP_HANDLER: 0
; COMPUTE_PGM_RSRC2:TGID_X_EN: 1
; COMPUTE_PGM_RSRC2:TGID_Y_EN: 1
; COMPUTE_PGM_RSRC2:TGID_Z_EN: 1
; COMPUTE_PGM_RSRC2:TIDIG_COMP_CNT: 0
	.section	.text._ZL33flash_attn_stream_k_fixup_generalILi128ELi32ELi1EEvPfPK15HIP_vector_typeIfLj2EEiiiiS1_IjLj3EES5_S5_S5_,"axG",@progbits,_ZL33flash_attn_stream_k_fixup_generalILi128ELi32ELi1EEvPfPK15HIP_vector_typeIfLj2EEiiiiS1_IjLj3EES5_S5_S5_,comdat
	.globl	_ZL33flash_attn_stream_k_fixup_generalILi128ELi32ELi1EEvPfPK15HIP_vector_typeIfLj2EEiiiiS1_IjLj3EES5_S5_S5_ ; -- Begin function _ZL33flash_attn_stream_k_fixup_generalILi128ELi32ELi1EEvPfPK15HIP_vector_typeIfLj2EEiiiiS1_IjLj3EES5_S5_S5_
	.p2align	8
	.type	_ZL33flash_attn_stream_k_fixup_generalILi128ELi32ELi1EEvPfPK15HIP_vector_typeIfLj2EEiiiiS1_IjLj3EES5_S5_S5_,@function
_ZL33flash_attn_stream_k_fixup_generalILi128ELi32ELi1EEvPfPK15HIP_vector_typeIfLj2EEiiiiS1_IjLj3EES5_S5_S5_: ; @_ZL33flash_attn_stream_k_fixup_generalILi128ELi32ELi1EEvPfPK15HIP_vector_typeIfLj2EEiiiiS1_IjLj3EES5_S5_S5_
; %bb.0:
	s_clause 0x1
	s_load_b128 s[4:7], s[0:1], 0x10
	s_load_b32 s20, s[0:1], 0x50
	s_mov_b32 s2, 0
	s_waitcnt lgkmcnt(0)
	s_mul_hi_i32 s3, s7, s13
	s_mul_i32 s12, s7, s13
	s_cmp_lg_u64 s[2:3], 0
	s_cbranch_scc0 .LBB58_21
; %bb.1:
	v_cvt_f32_ubyte0_e32 v1, 0
	v_cvt_f32_u32_e32 v2, s20
	s_sub_u32 s10, 0, s20
	s_subb_u32 s11, 0, 0
	s_delay_alu instid0(VALU_DEP_1) | instskip(NEXT) | instid1(VALU_DEP_1)
	v_fmamk_f32 v1, v1, 0x4f800000, v2
	v_rcp_f32_e32 v1, v1
	s_waitcnt_depctr 0xfff
	v_mul_f32_e32 v1, 0x5f7ffffc, v1
	s_delay_alu instid0(VALU_DEP_1) | instskip(NEXT) | instid1(VALU_DEP_1)
	v_mul_f32_e32 v2, 0x2f800000, v1
	v_trunc_f32_e32 v2, v2
	s_delay_alu instid0(VALU_DEP_1) | instskip(SKIP_1) | instid1(VALU_DEP_2)
	v_fmamk_f32 v1, v2, 0xcf800000, v1
	v_cvt_u32_f32_e32 v2, v2
	v_cvt_u32_f32_e32 v1, v1
	s_delay_alu instid0(VALU_DEP_2) | instskip(NEXT) | instid1(VALU_DEP_2)
	v_readfirstlane_b32 s8, v2
	v_readfirstlane_b32 s9, v1
	s_delay_alu instid0(VALU_DEP_2) | instskip(NEXT) | instid1(VALU_DEP_1)
	s_mul_i32 s16, s10, s8
	s_mul_hi_u32 s18, s10, s9
	s_mul_i32 s17, s11, s9
	s_add_i32 s16, s18, s16
	s_mul_i32 s19, s10, s9
	s_add_i32 s16, s16, s17
	s_mul_hi_u32 s18, s9, s19
	s_mul_hi_u32 s21, s8, s19
	s_mul_i32 s17, s8, s19
	s_mul_hi_u32 s19, s9, s16
	s_mul_i32 s9, s9, s16
	s_mul_hi_u32 s22, s8, s16
	s_add_u32 s9, s18, s9
	s_addc_u32 s18, 0, s19
	s_add_u32 s9, s9, s17
	s_mul_i32 s16, s8, s16
	s_addc_u32 s9, s18, s21
	s_addc_u32 s17, s22, 0
	s_add_u32 s9, s9, s16
	s_addc_u32 s16, 0, s17
	v_add_co_u32 v1, s9, v1, s9
	s_delay_alu instid0(VALU_DEP_1) | instskip(SKIP_1) | instid1(VALU_DEP_1)
	s_cmp_lg_u32 s9, 0
	s_addc_u32 s8, s8, s16
	v_readfirstlane_b32 s9, v1
	s_mul_i32 s16, s10, s8
	s_delay_alu instid0(VALU_DEP_1)
	s_mul_hi_u32 s17, s10, s9
	s_mul_i32 s11, s11, s9
	s_add_i32 s16, s17, s16
	s_mul_i32 s10, s10, s9
	s_add_i32 s16, s16, s11
	s_mul_hi_u32 s17, s8, s10
	s_mul_i32 s18, s8, s10
	s_mul_hi_u32 s10, s9, s10
	s_mul_hi_u32 s19, s9, s16
	s_mul_i32 s9, s9, s16
	s_mul_hi_u32 s11, s8, s16
	s_add_u32 s9, s10, s9
	s_addc_u32 s10, 0, s19
	s_add_u32 s9, s9, s18
	s_mul_i32 s16, s8, s16
	s_addc_u32 s9, s10, s17
	s_addc_u32 s10, s11, 0
	s_add_u32 s9, s9, s16
	s_addc_u32 s10, 0, s10
	v_add_co_u32 v1, s9, v1, s9
	s_delay_alu instid0(VALU_DEP_1) | instskip(SKIP_2) | instid1(SALU_CYCLE_1)
	s_cmp_lg_u32 s9, 0
	s_addc_u32 s16, s8, s10
	s_ashr_i32 s8, s3, 31
	s_add_u32 s10, s12, s8
	s_addc_u32 s11, s3, s8
	v_readfirstlane_b32 s3, v1
	s_mov_b32 s9, s8
	s_delay_alu instid0(SALU_CYCLE_1) | instskip(NEXT) | instid1(SALU_CYCLE_1)
	s_xor_b64 s[10:11], s[10:11], s[8:9]
	s_mul_i32 s18, s10, s16
	s_delay_alu instid0(VALU_DEP_1)
	s_mul_hi_u32 s19, s10, s3
	s_mul_hi_u32 s17, s10, s16
	;; [unrolled: 1-line block ×3, first 2 shown]
	s_mul_i32 s3, s11, s3
	s_add_u32 s18, s19, s18
	s_addc_u32 s17, 0, s17
	s_mul_hi_u32 s21, s11, s16
	s_add_u32 s3, s18, s3
	s_mul_i32 s16, s11, s16
	s_addc_u32 s3, s17, s22
	s_addc_u32 s17, s21, 0
	s_add_u32 s3, s3, s16
	s_addc_u32 s16, 0, s17
	s_mul_i32 s18, s20, s3
	s_add_u32 s17, s3, 1
	v_sub_co_u32 v1, s10, s10, s18
	s_mul_hi_u32 s18, s20, s3
	s_addc_u32 s19, s16, 0
	s_mul_i32 s21, s20, s16
	s_delay_alu instid0(VALU_DEP_1)
	v_sub_co_u32 v2, s22, v1, s20
	s_add_u32 s23, s3, 2
	s_addc_u32 s24, s16, 0
	s_add_i32 s18, s18, s21
	s_cmp_lg_u32 s10, 0
	v_readfirstlane_b32 s10, v2
	s_subb_u32 s11, s11, s18
	s_cmp_lg_u32 s22, 0
	s_subb_u32 s18, s11, 0
	s_delay_alu instid0(VALU_DEP_1) | instskip(SKIP_4) | instid1(SALU_CYCLE_1)
	s_cmp_ge_u32 s10, s20
	s_cselect_b32 s10, -1, 0
	s_cmp_eq_u32 s18, 0
	v_readfirstlane_b32 s18, v1
	s_cselect_b32 s10, s10, -1
	s_cmp_lg_u32 s10, 0
	s_cselect_b32 s10, s23, s17
	s_cselect_b32 s17, s24, s19
	s_cmp_ge_u32 s18, s20
	s_cselect_b32 s18, -1, 0
	s_cmp_eq_u32 s11, 0
	s_cselect_b32 s11, s18, -1
	s_delay_alu instid0(SALU_CYCLE_1) | instskip(SKIP_2) | instid1(SALU_CYCLE_1)
	s_cmp_lg_u32 s11, 0
	s_cselect_b32 s11, s17, s16
	s_cselect_b32 s10, s10, s3
	s_xor_b64 s[10:11], s[10:11], s[8:9]
	s_delay_alu instid0(SALU_CYCLE_1)
	s_sub_u32 s16, s10, s8
	s_load_b128 s[8:11], s[0:1], 0x44
	s_and_not1_b32 vcc_lo, exec_lo, s2
	s_cbranch_vccnz .LBB58_3
.LBB58_2:
	v_cvt_f32_u32_e32 v1, s20
	s_sub_i32 s3, 0, s20
	s_delay_alu instid0(VALU_DEP_1) | instskip(SKIP_2) | instid1(VALU_DEP_1)
	v_rcp_iflag_f32_e32 v1, v1
	s_waitcnt_depctr 0xfff
	v_mul_f32_e32 v1, 0x4f7ffffe, v1
	v_cvt_u32_f32_e32 v1, v1
	s_delay_alu instid0(VALU_DEP_1) | instskip(NEXT) | instid1(VALU_DEP_1)
	v_readfirstlane_b32 s2, v1
	s_mul_i32 s3, s3, s2
	s_delay_alu instid0(SALU_CYCLE_1) | instskip(NEXT) | instid1(SALU_CYCLE_1)
	s_mul_hi_u32 s3, s2, s3
	s_add_i32 s2, s2, s3
	s_delay_alu instid0(SALU_CYCLE_1) | instskip(NEXT) | instid1(SALU_CYCLE_1)
	s_mul_hi_u32 s2, s12, s2
	s_mul_i32 s3, s2, s20
	s_waitcnt lgkmcnt(0)
	s_add_i32 s11, s2, 1
	s_sub_i32 s3, s12, s3
	s_delay_alu instid0(SALU_CYCLE_1)
	s_sub_i32 s12, s3, s20
	s_cmp_ge_u32 s3, s20
	s_cselect_b32 s2, s11, s2
	s_cselect_b32 s3, s12, s3
	s_add_i32 s11, s2, 1
	s_cmp_ge_u32 s3, s20
	s_cselect_b32 s16, s11, s2
.LBB58_3:
	s_waitcnt lgkmcnt(0)
	s_add_i32 s11, s13, 1
	s_mov_b32 s2, 0
	s_mul_hi_i32 s3, s7, s11
	s_mul_i32 s11, s7, s11
	s_cmp_lg_u64 s[2:3], 0
	s_cbranch_scc0 .LBB58_22
; %bb.4:
	v_cvt_f32_ubyte0_e32 v1, 0
	v_cvt_f32_u32_e32 v2, s20
	s_sub_u32 s18, 0, s20
	s_subb_u32 s19, 0, 0
	s_delay_alu instid0(VALU_DEP_1) | instskip(NEXT) | instid1(VALU_DEP_1)
	v_fmamk_f32 v1, v1, 0x4f800000, v2
	v_rcp_f32_e32 v1, v1
	s_waitcnt_depctr 0xfff
	v_mul_f32_e32 v1, 0x5f7ffffc, v1
	s_delay_alu instid0(VALU_DEP_1) | instskip(NEXT) | instid1(VALU_DEP_1)
	v_mul_f32_e32 v2, 0x2f800000, v1
	v_trunc_f32_e32 v2, v2
	s_delay_alu instid0(VALU_DEP_1) | instskip(SKIP_1) | instid1(VALU_DEP_2)
	v_fmamk_f32 v1, v2, 0xcf800000, v1
	v_cvt_u32_f32_e32 v2, v2
	v_cvt_u32_f32_e32 v1, v1
	s_delay_alu instid0(VALU_DEP_2) | instskip(NEXT) | instid1(VALU_DEP_2)
	v_readfirstlane_b32 s12, v2
	v_readfirstlane_b32 s17, v1
	s_delay_alu instid0(VALU_DEP_2) | instskip(NEXT) | instid1(VALU_DEP_1)
	s_mul_i32 s21, s18, s12
	s_mul_hi_u32 s23, s18, s17
	s_mul_i32 s22, s19, s17
	s_add_i32 s21, s23, s21
	s_mul_i32 s24, s18, s17
	s_add_i32 s21, s21, s22
	s_mul_hi_u32 s23, s17, s24
	s_mul_hi_u32 s25, s12, s24
	s_mul_i32 s22, s12, s24
	s_mul_hi_u32 s24, s17, s21
	s_mul_i32 s17, s17, s21
	s_mul_hi_u32 s26, s12, s21
	s_add_u32 s17, s23, s17
	s_addc_u32 s23, 0, s24
	s_add_u32 s17, s17, s22
	s_mul_i32 s21, s12, s21
	s_addc_u32 s17, s23, s25
	s_addc_u32 s22, s26, 0
	s_add_u32 s17, s17, s21
	s_addc_u32 s21, 0, s22
	v_add_co_u32 v1, s17, v1, s17
	s_delay_alu instid0(VALU_DEP_1) | instskip(SKIP_1) | instid1(VALU_DEP_1)
	s_cmp_lg_u32 s17, 0
	s_addc_u32 s12, s12, s21
	v_readfirstlane_b32 s17, v1
	s_mul_i32 s21, s18, s12
	s_delay_alu instid0(VALU_DEP_1)
	s_mul_hi_u32 s22, s18, s17
	s_mul_i32 s19, s19, s17
	s_add_i32 s21, s22, s21
	s_mul_i32 s18, s18, s17
	s_add_i32 s21, s21, s19
	s_mul_hi_u32 s22, s12, s18
	s_mul_i32 s23, s12, s18
	s_mul_hi_u32 s18, s17, s18
	s_mul_hi_u32 s24, s17, s21
	s_mul_i32 s17, s17, s21
	s_mul_hi_u32 s19, s12, s21
	s_add_u32 s17, s18, s17
	s_addc_u32 s18, 0, s24
	s_add_u32 s17, s17, s23
	s_mul_i32 s21, s12, s21
	s_addc_u32 s17, s18, s22
	s_addc_u32 s18, s19, 0
	s_add_u32 s17, s17, s21
	s_addc_u32 s18, 0, s18
	v_add_co_u32 v1, s17, v1, s17
	s_delay_alu instid0(VALU_DEP_1) | instskip(SKIP_2) | instid1(SALU_CYCLE_1)
	s_cmp_lg_u32 s17, 0
	s_addc_u32 s12, s12, s18
	s_ashr_i32 s18, s3, 31
	s_add_u32 s22, s11, s18
	s_addc_u32 s23, s3, s18
	v_readfirstlane_b32 s3, v1
	s_mov_b32 s19, s18
	s_delay_alu instid0(SALU_CYCLE_1) | instskip(NEXT) | instid1(SALU_CYCLE_1)
	s_xor_b64 s[22:23], s[22:23], s[18:19]
	s_mul_i32 s21, s22, s12
	s_delay_alu instid0(VALU_DEP_1)
	s_mul_hi_u32 s24, s22, s3
	s_mul_hi_u32 s17, s22, s12
	;; [unrolled: 1-line block ×3, first 2 shown]
	s_mul_i32 s3, s23, s3
	s_add_u32 s21, s24, s21
	s_addc_u32 s17, 0, s17
	s_mul_hi_u32 s25, s23, s12
	s_add_u32 s3, s21, s3
	s_mul_i32 s12, s23, s12
	s_addc_u32 s3, s17, s26
	s_addc_u32 s17, s25, 0
	s_add_u32 s3, s3, s12
	s_addc_u32 s12, 0, s17
	s_mul_i32 s21, s20, s3
	s_add_u32 s17, s3, 1
	v_sub_co_u32 v1, s21, s22, s21
	s_mul_hi_u32 s22, s20, s3
	s_addc_u32 s24, s12, 0
	s_mul_i32 s25, s20, s12
	s_delay_alu instid0(VALU_DEP_1)
	v_sub_co_u32 v2, s26, v1, s20
	s_add_u32 s27, s3, 2
	s_addc_u32 s28, s12, 0
	s_add_i32 s22, s22, s25
	s_cmp_lg_u32 s21, 0
	v_readfirstlane_b32 s21, v2
	s_subb_u32 s22, s23, s22
	s_cmp_lg_u32 s26, 0
	s_subb_u32 s23, s22, 0
	s_delay_alu instid0(VALU_DEP_1) | instskip(SKIP_4) | instid1(SALU_CYCLE_1)
	s_cmp_ge_u32 s21, s20
	s_cselect_b32 s21, -1, 0
	s_cmp_eq_u32 s23, 0
	v_readfirstlane_b32 s23, v1
	s_cselect_b32 s21, s21, -1
	s_cmp_lg_u32 s21, 0
	s_cselect_b32 s17, s27, s17
	s_cselect_b32 s21, s28, s24
	s_cmp_ge_u32 s23, s20
	s_cselect_b32 s23, -1, 0
	s_cmp_eq_u32 s22, 0
	s_cselect_b32 s22, s23, -1
	s_delay_alu instid0(SALU_CYCLE_1) | instskip(SKIP_2) | instid1(SALU_CYCLE_1)
	s_cmp_lg_u32 s22, 0
	s_cselect_b32 s23, s21, s12
	s_cselect_b32 s22, s17, s3
	s_xor_b64 s[22:23], s[22:23], s[18:19]
	s_delay_alu instid0(SALU_CYCLE_1)
	s_sub_u32 s18, s22, s18
	s_and_not1_b32 vcc_lo, exec_lo, s2
	s_cbranch_vccnz .LBB58_6
.LBB58_5:
	v_cvt_f32_u32_e32 v1, s20
	s_sub_i32 s3, 0, s20
	s_delay_alu instid0(VALU_DEP_1) | instskip(SKIP_2) | instid1(VALU_DEP_1)
	v_rcp_iflag_f32_e32 v1, v1
	s_waitcnt_depctr 0xfff
	v_mul_f32_e32 v1, 0x4f7ffffe, v1
	v_cvt_u32_f32_e32 v1, v1
	s_delay_alu instid0(VALU_DEP_1) | instskip(NEXT) | instid1(VALU_DEP_1)
	v_readfirstlane_b32 s2, v1
	s_mul_i32 s3, s3, s2
	s_delay_alu instid0(SALU_CYCLE_1) | instskip(NEXT) | instid1(SALU_CYCLE_1)
	s_mul_hi_u32 s3, s2, s3
	s_add_i32 s2, s2, s3
	s_delay_alu instid0(SALU_CYCLE_1) | instskip(NEXT) | instid1(SALU_CYCLE_1)
	s_mul_hi_u32 s2, s11, s2
	s_mul_i32 s3, s2, s20
	s_delay_alu instid0(SALU_CYCLE_1)
	s_sub_i32 s3, s11, s3
	s_add_i32 s11, s2, 1
	s_sub_i32 s12, s3, s20
	s_cmp_ge_u32 s3, s20
	s_cselect_b32 s2, s11, s2
	s_cselect_b32 s3, s12, s3
	s_add_i32 s11, s2, 1
	s_cmp_ge_u32 s3, s20
	s_cselect_b32 s18, s11, s2
.LBB58_6:
	s_delay_alu instid0(SALU_CYCLE_1) | instskip(SKIP_3) | instid1(SALU_CYCLE_1)
	s_cmp_eq_u32 s16, s18
	s_mul_hi_u32 s2, s16, s8
	s_cselect_b32 s3, -1, 0
	s_add_i32 s2, s2, s16
	s_lshr_b32 s11, s2, s9
	s_delay_alu instid0(SALU_CYCLE_1) | instskip(NEXT) | instid1(SALU_CYCLE_1)
	s_mul_i32 s2, s11, s10
	s_cmp_eq_u32 s2, s16
	s_mul_hi_u32 s2, s18, s8
	s_cselect_b32 s12, -1, 0
	s_add_i32 s2, s2, s18
	s_delay_alu instid0(SALU_CYCLE_1) | instskip(NEXT) | instid1(SALU_CYCLE_1)
	s_lshr_b32 s2, s2, s9
	s_cmp_eq_u32 s11, s2
	s_mul_i32 s2, s2, s10
	s_cselect_b32 s17, -1, 0
	s_cmp_lg_u32 s2, s18
	s_cselect_b32 s2, -1, 0
	s_or_b32 s3, s3, s12
	s_and_b32 s2, s17, s2
	s_delay_alu instid0(SALU_CYCLE_1) | instskip(NEXT) | instid1(SALU_CYCLE_1)
	s_or_b32 s2, s3, s2
	s_and_b32 vcc_lo, exec_lo, s2
	s_cbranch_vccnz .LBB58_24
; %bb.7:
	s_load_b256 s[24:31], s[0:1], 0x20
	s_waitcnt lgkmcnt(0)
	s_mul_hi_u32 s2, s16, s24
	s_delay_alu instid0(SALU_CYCLE_1) | instskip(NEXT) | instid1(SALU_CYCLE_1)
	s_add_i32 s2, s2, s16
	s_lshr_b32 s18, s2, s25
	s_load_b32 s2, s[0:1], 0x40
	s_mul_i32 s3, s18, s26
	s_delay_alu instid0(SALU_CYCLE_1) | instskip(NEXT) | instid1(SALU_CYCLE_1)
	s_sub_i32 s3, s16, s3
	s_mul_hi_u32 s12, s3, s27
	s_delay_alu instid0(SALU_CYCLE_1) | instskip(NEXT) | instid1(SALU_CYCLE_1)
	s_add_i32 s12, s3, s12
	s_lshr_b32 s21, s12, s28
	s_delay_alu instid0(SALU_CYCLE_1) | instskip(NEXT) | instid1(SALU_CYCLE_1)
	s_mul_i32 s12, s21, s29
	s_sub_i32 s3, s3, s12
	s_delay_alu instid0(SALU_CYCLE_1) | instskip(NEXT) | instid1(SALU_CYCLE_1)
	s_mul_hi_u32 s12, s3, s30
	s_add_i32 s12, s3, s12
	s_delay_alu instid0(SALU_CYCLE_1) | instskip(SKIP_3) | instid1(SALU_CYCLE_1)
	s_lshr_b32 s22, s12, s31
	s_mov_b32 s12, 0
	s_waitcnt lgkmcnt(0)
	s_mul_i32 s2, s22, s2
	s_sub_i32 s2, s3, s2
	s_delay_alu instid0(SALU_CYCLE_1) | instskip(NEXT) | instid1(SALU_CYCLE_1)
	s_mul_hi_u32 s3, s2, s8
	s_add_i32 s2, s2, s3
	s_delay_alu instid0(SALU_CYCLE_1) | instskip(NEXT) | instid1(SALU_CYCLE_1)
	s_lshr_b32 s23, s2, s9
	s_lshl_b32 s2, s23, 5
	s_delay_alu instid0(SALU_CYCLE_1) | instskip(NEXT) | instid1(SALU_CYCLE_1)
	s_add_i32 s2, s2, s14
	s_cmp_lt_i32 s2, s4
	s_cselect_b32 s2, -1, 0
	s_add_i32 s3, s22, s15
	s_delay_alu instid0(SALU_CYCLE_1) | instskip(SKIP_1) | instid1(SALU_CYCLE_1)
	s_cmp_lt_i32 s3, s6
	s_cselect_b32 s3, -1, 0
	s_and_b32 s2, s2, s3
	s_delay_alu instid0(SALU_CYCLE_1)
	s_and_not1_b32 vcc_lo, exec_lo, s2
	s_cbranch_vccnz .LBB58_24
; %bb.8:
	s_load_b128 s[0:3], s[0:1], 0x0
	s_lshl_b32 s24, s20, 7
	s_mov_b32 s25, s12
	s_add_i32 s17, s14, s15
	s_lshl_b64 s[24:25], s[24:25], 2
	s_mul_i32 s4, s18, s4
	s_mul_i32 s21, s21, s6
	v_cvt_f32_ubyte0_e32 v4, 0
	v_cvt_f32_u32_e32 v5, s20
	s_waitcnt lgkmcnt(0)
	s_add_u32 s18, s2, s24
	s_addc_u32 s19, s3, s25
	s_add_i32 s4, s4, s14
	s_delay_alu instid0(SALU_CYCLE_1) | instskip(SKIP_4) | instid1(SALU_CYCLE_1)
	s_mul_i32 s4, s4, s5
	s_mul_i32 s5, s5, s23
	s_add_i32 s4, s4, s15
	s_lshl_b32 s5, s5, 12
	s_add_i32 s4, s4, s21
	s_add_i32 s4, s4, s22
	s_delay_alu instid0(SALU_CYCLE_1) | instskip(NEXT) | instid1(SALU_CYCLE_1)
	s_lshl_b32 s4, s4, 7
	s_add_i32 s5, s5, s4
	s_delay_alu instid0(SALU_CYCLE_1) | instskip(SKIP_1) | instid1(VALU_DEP_2)
	v_or_b32_e32 v1, s5, v0
	v_lshl_or_b32 v0, s17, 7, v0
	v_ashrrev_i32_e32 v2, 31, v1
	s_delay_alu instid0(VALU_DEP_1) | instskip(NEXT) | instid1(VALU_DEP_1)
	v_lshlrev_b64 v[1:2], 2, v[1:2]
	v_add_co_u32 v1, vcc_lo, s0, v1
	s_delay_alu instid0(VALU_DEP_2) | instskip(SKIP_1) | instid1(SALU_CYCLE_1)
	v_add_co_ci_u32_e32 v2, vcc_lo, s1, v2, vcc_lo
	s_lshl_b32 s0, s13, 5
	s_add_i32 s0, s0, s17
	global_load_b32 v3, v[1:2], off
	s_ashr_i32 s1, s0, 31
	s_delay_alu instid0(SALU_CYCLE_1) | instskip(NEXT) | instid1(SALU_CYCLE_1)
	s_lshl_b64 s[0:1], s[0:1], 3
	s_add_u32 s0, s2, s0
	s_addc_u32 s1, s3, s1
	s_add_i32 s14, s13, -1
	s_load_b64 s[0:1], s[0:1], 0x0
	v_fmac_f32_e32 v5, 0x4f800000, v4
	s_sub_i32 s6, 0, s20
	s_waitcnt lgkmcnt(0)
	v_mov_b32_e32 v8, s0
	s_delay_alu instid0(VALU_DEP_2) | instskip(SKIP_2) | instid1(VALU_DEP_2)
	v_rcp_f32_e32 v4, v5
	v_cvt_f32_u32_e32 v5, s20
	v_mov_b32_e32 v7, s1
	v_rcp_iflag_f32_e32 v5, v5
	s_waitcnt_depctr 0xfff
	v_mul_f32_e32 v4, 0x5f7ffffc, v4
	s_delay_alu instid0(VALU_DEP_1) | instskip(SKIP_1) | instid1(VALU_DEP_2)
	v_mul_f32_e32 v6, 0x2f800000, v4
	v_mul_f32_e32 v9, 0x4f7ffffe, v5
	v_trunc_f32_e32 v6, v6
	s_delay_alu instid0(VALU_DEP_1) | instskip(SKIP_1) | instid1(VALU_DEP_4)
	v_fmac_f32_e32 v4, 0xcf800000, v6
	v_cvt_u32_f32_e32 v5, v6
	v_cvt_u32_f32_e32 v6, v9
	s_delay_alu instid0(VALU_DEP_3)
	v_cvt_u32_f32_e32 v4, v4
.LBB58_9:                               ; =>This Inner Loop Header: Depth=1
	s_mul_hi_i32 s13, s14, s7
	s_mul_i32 s4, s14, s7
	s_cmp_lg_u64 s[12:13], 0
	s_mov_b32 s5, -1
                                        ; implicit-def: $sgpr0_sgpr1
	s_cbranch_scc0 .LBB58_11
; %bb.10:                               ;   in Loop: Header=BB58_9 Depth=1
	v_readfirstlane_b32 s0, v4
	v_readfirstlane_b32 s1, v5
	s_sub_u32 s5, 0, s20
	s_subb_u32 s15, 0, 0
	s_delay_alu instid0(VALU_DEP_2) | instskip(NEXT) | instid1(VALU_DEP_1)
	s_mul_hi_u32 s21, s5, s0
	s_mul_i32 s22, s5, s1
	s_mul_i32 s23, s15, s0
	s_add_i32 s21, s21, s22
	s_mul_i32 s22, s5, s0
	s_add_i32 s21, s21, s23
	s_mul_hi_u32 s23, s0, s22
	s_mul_i32 s24, s0, s21
	s_mul_hi_u32 s0, s0, s21
	s_add_u32 s23, s23, s24
	s_mul_i32 s25, s1, s22
	s_addc_u32 s0, 0, s0
	s_mul_hi_u32 s22, s1, s22
	s_mul_hi_u32 s24, s1, s21
	s_add_u32 s23, s23, s25
	s_addc_u32 s0, s0, s22
	s_mul_i32 s21, s1, s21
	s_addc_u32 s22, s24, 0
	s_add_u32 s0, s0, s21
	s_addc_u32 s21, 0, s22
	v_add_co_u32 v9, s0, v4, s0
	s_delay_alu instid0(VALU_DEP_1) | instskip(SKIP_1) | instid1(VALU_DEP_1)
	s_cmp_lg_u32 s0, 0
	s_addc_u32 s1, s1, s21
	v_readfirstlane_b32 s0, v9
	s_mul_i32 s21, s5, s1
	s_delay_alu instid0(VALU_DEP_1)
	s_mul_hi_u32 s22, s5, s0
	s_mul_i32 s15, s15, s0
	s_add_i32 s21, s22, s21
	s_mul_i32 s5, s5, s0
	s_add_i32 s21, s21, s15
	s_mul_hi_u32 s15, s1, s5
	s_mul_i32 s23, s1, s5
	s_mul_i32 s24, s0, s21
	s_mul_hi_u32 s5, s0, s5
	s_mul_hi_u32 s0, s0, s21
	s_add_u32 s5, s5, s24
	s_addc_u32 s0, 0, s0
	s_mul_hi_u32 s22, s1, s21
	s_add_u32 s5, s5, s23
	s_addc_u32 s0, s0, s15
	s_mul_i32 s5, s1, s21
	s_addc_u32 s15, s22, 0
	s_add_u32 s0, s0, s5
	s_addc_u32 s5, 0, s15
	v_add_co_u32 v9, s0, v9, s0
	s_delay_alu instid0(VALU_DEP_1) | instskip(SKIP_2) | instid1(SALU_CYCLE_1)
	s_cmp_lg_u32 s0, 0
	s_addc_u32 s5, s1, s5
	s_ashr_i32 s0, s13, 31
	s_add_u32 s22, s4, s0
	s_addc_u32 s23, s13, s0
	v_readfirstlane_b32 s13, v9
	s_mov_b32 s1, s0
	s_delay_alu instid0(SALU_CYCLE_1) | instskip(NEXT) | instid1(SALU_CYCLE_1)
	s_xor_b64 s[22:23], s[22:23], s[0:1]
	s_mul_i32 s15, s22, s5
	s_delay_alu instid0(VALU_DEP_1)
	s_mul_hi_u32 s21, s22, s13
	s_mul_hi_u32 s24, s22, s5
	s_add_u32 s15, s21, s15
	s_mul_i32 s25, s23, s13
	s_addc_u32 s21, 0, s24
	s_mul_hi_u32 s13, s23, s13
	s_mul_hi_u32 s24, s23, s5
	s_add_u32 s15, s15, s25
	s_addc_u32 s13, s21, s13
	s_mul_i32 s5, s23, s5
	s_addc_u32 s15, s24, 0
	s_add_u32 s5, s13, s5
	s_addc_u32 s13, 0, s15
	s_mul_i32 s21, s20, s5
	s_add_u32 s15, s5, 1
	v_sub_co_u32 v9, s21, s22, s21
	s_addc_u32 s22, s13, 0
	s_mul_i32 s25, s20, s13
	s_mul_hi_u32 s27, s20, s5
	s_delay_alu instid0(VALU_DEP_1)
	v_sub_co_u32 v10, s26, v9, s20
	s_add_u32 s24, s5, 2
	s_addc_u32 s28, s13, 0
	s_add_i32 s27, s27, s25
	s_cmp_lg_u32 s21, 0
	v_readfirstlane_b32 s21, v10
	s_subb_u32 s23, s23, s27
	s_cmp_lg_u32 s26, 0
	s_subb_u32 s25, s23, 0
	s_delay_alu instid0(VALU_DEP_1) | instskip(SKIP_4) | instid1(SALU_CYCLE_1)
	s_cmp_ge_u32 s21, s20
	s_cselect_b32 s21, -1, 0
	s_cmp_eq_u32 s25, 0
	v_readfirstlane_b32 s25, v9
	s_cselect_b32 s21, s21, -1
	s_cmp_lg_u32 s21, 0
	s_cselect_b32 s15, s24, s15
	s_cselect_b32 s21, s28, s22
	s_cmp_ge_u32 s25, s20
	s_cselect_b32 s22, -1, 0
	s_cmp_eq_u32 s23, 0
	s_cselect_b32 s22, s22, -1
	s_delay_alu instid0(SALU_CYCLE_1) | instskip(SKIP_4) | instid1(SALU_CYCLE_1)
	s_cmp_lg_u32 s22, 0
	s_cselect_b32 s23, s21, s13
	s_cselect_b32 s22, s15, s5
	s_mov_b32 s5, 0
	s_xor_b64 s[22:23], s[22:23], s[0:1]
	s_sub_u32 s0, s22, s0
.LBB58_11:                              ;   in Loop: Header=BB58_9 Depth=1
	s_and_not1_b32 vcc_lo, exec_lo, s5
	s_cbranch_vccnz .LBB58_13
; %bb.12:                               ;   in Loop: Header=BB58_9 Depth=1
	v_readfirstlane_b32 s0, v6
	s_delay_alu instid0(VALU_DEP_1) | instskip(NEXT) | instid1(SALU_CYCLE_1)
	s_mul_i32 s1, s6, s0
	s_mul_hi_u32 s1, s0, s1
	s_delay_alu instid0(SALU_CYCLE_1) | instskip(NEXT) | instid1(SALU_CYCLE_1)
	s_add_i32 s0, s0, s1
	s_mul_hi_u32 s0, s4, s0
	s_delay_alu instid0(SALU_CYCLE_1) | instskip(NEXT) | instid1(SALU_CYCLE_1)
	s_mul_i32 s1, s0, s20
	s_sub_i32 s1, s4, s1
	s_add_i32 s4, s0, 1
	s_sub_i32 s5, s1, s20
	s_cmp_ge_u32 s1, s20
	s_cselect_b32 s0, s4, s0
	s_cselect_b32 s1, s5, s1
	s_add_i32 s4, s0, 1
	s_cmp_ge_u32 s1, s20
	s_cselect_b32 s0, s4, s0
.LBB58_13:                              ;   in Loop: Header=BB58_9 Depth=1
	s_delay_alu instid0(SALU_CYCLE_1)
	s_cmp_lg_u32 s16, s0
	s_cbranch_scc0 .LBB58_17
; %bb.14:                               ;   in Loop: Header=BB58_9 Depth=1
	s_add_i32 s1, s14, s20
	s_mov_b32 s5, s12
	s_lshl_b32 s1, s1, 5
	s_mov_b32 s15, s16
	s_add_i32 s4, s1, s17
	s_mul_hi_u32 s1, s0, s8
	s_lshl_b64 s[4:5], s[4:5], 3
	s_delay_alu instid0(SALU_CYCLE_1) | instskip(SKIP_2) | instid1(SALU_CYCLE_1)
	s_add_u32 s4, s2, s4
	s_addc_u32 s5, s3, s5
	s_add_i32 s1, s1, s0
	s_lshr_b32 s1, s1, s9
	s_delay_alu instid0(SALU_CYCLE_1) | instskip(NEXT) | instid1(SALU_CYCLE_1)
	s_mul_i32 s13, s1, s10
	s_cmp_eq_u32 s13, s0
	s_cselect_b32 s13, -1, 0
	s_cmp_lt_u32 s1, s11
	s_cselect_b32 s1, -1, 0
	s_delay_alu instid0(SALU_CYCLE_1)
	s_or_b32 s1, s1, s13
	s_mov_b32 s13, -1
	s_and_b32 vcc_lo, exec_lo, s1
	s_mov_b32 s1, s14
	s_cbranch_vccnz .LBB58_16
; %bb.15:                               ;   in Loop: Header=BB58_9 Depth=1
	s_add_i32 s1, s14, -1
	s_mov_b32 s13, 0
	s_mov_b32 s15, s0
.LBB58_16:                              ;   in Loop: Header=BB58_9 Depth=1
	v_lshl_add_u32 v9, s14, 12, v0
	s_load_b64 s[4:5], s[4:5], 0x0
	s_delay_alu instid0(VALU_DEP_1) | instskip(NEXT) | instid1(VALU_DEP_1)
	v_ashrrev_i32_e32 v10, 31, v9
	v_lshlrev_b64 v[9:10], 2, v[9:10]
	s_delay_alu instid0(VALU_DEP_1) | instskip(NEXT) | instid1(VALU_DEP_2)
	v_add_co_u32 v9, vcc_lo, s18, v9
	v_add_co_ci_u32_e32 v10, vcc_lo, s19, v10, vcc_lo
	s_waitcnt lgkmcnt(0)
	v_max_f32_e64 v11, s4, s4
	global_load_b32 v10, v[9:10], off
	v_max_f32_e32 v9, v8, v8
	s_delay_alu instid0(VALU_DEP_1) | instskip(NEXT) | instid1(VALU_DEP_1)
	v_max_f32_e32 v9, v9, v11
	v_sub_f32_e32 v12, v8, v9
	s_delay_alu instid0(VALU_DEP_1) | instskip(NEXT) | instid1(VALU_DEP_1)
	v_dual_mul_f32 v14, 0x3fb8aa3b, v12 :: v_dual_sub_f32 v11, s4, v9
	v_rndne_f32_e32 v18, v14
	s_delay_alu instid0(VALU_DEP_2) | instskip(SKIP_2) | instid1(VALU_DEP_4)
	v_mul_f32_e32 v13, 0x3fb8aa3b, v11
	v_fma_f32 v17, 0x3fb8aa3b, v12, -v14
	v_cmp_ngt_f32_e32 vcc_lo, 0xc2ce8ed0, v11
	v_sub_f32_e32 v14, v14, v18
	s_delay_alu instid0(VALU_DEP_4) | instskip(SKIP_2) | instid1(VALU_DEP_3)
	v_fma_f32 v15, 0x3fb8aa3b, v11, -v13
	v_rndne_f32_e32 v16, v13
	v_fmac_f32_e32 v17, 0x32a5705f, v12
	v_fmac_f32_e32 v15, 0x32a5705f, v11
	s_delay_alu instid0(VALU_DEP_2) | instskip(NEXT) | instid1(VALU_DEP_1)
	v_dual_sub_f32 v13, v13, v16 :: v_dual_add_f32 v14, v14, v17
	v_add_f32_e32 v13, v13, v15
	s_delay_alu instid0(VALU_DEP_2) | instskip(SKIP_2) | instid1(VALU_DEP_3)
	v_exp_f32_e32 v14, v14
	v_cvt_i32_f32_e32 v15, v16
	v_cvt_i32_f32_e32 v16, v18
	v_exp_f32_e32 v13, v13
	s_waitcnt_depctr 0xfff
	v_ldexp_f32 v14, v14, v16
	v_ldexp_f32 v13, v13, v15
	s_delay_alu instid0(VALU_DEP_1) | instskip(SKIP_1) | instid1(VALU_DEP_4)
	v_cndmask_b32_e32 v13, 0, v13, vcc_lo
	v_cmp_ngt_f32_e32 vcc_lo, 0xc2ce8ed0, v12
	v_cndmask_b32_e32 v14, 0, v14, vcc_lo
	v_cmp_nlt_f32_e32 vcc_lo, 0x42b17218, v11
	s_delay_alu instid0(VALU_DEP_4) | instskip(SKIP_1) | instid1(VALU_DEP_4)
	v_cndmask_b32_e32 v13, 0x7f800000, v13, vcc_lo
	v_cmp_nlt_f32_e32 vcc_lo, 0x42b17218, v12
	v_cndmask_b32_e32 v14, 0x7f800000, v14, vcc_lo
	v_cmp_le_f32_e32 vcc_lo, 0xc1a00000, v11
	s_delay_alu instid0(VALU_DEP_4) | instskip(SKIP_1) | instid1(VALU_DEP_4)
	v_cndmask_b32_e32 v11, 0, v13, vcc_lo
	v_cmp_le_f32_e32 vcc_lo, 0xc1a00000, v12
	v_cndmask_b32_e32 v12, 0, v14, vcc_lo
	s_waitcnt vmcnt(0)
	s_delay_alu instid0(VALU_DEP_3) | instskip(NEXT) | instid1(VALU_DEP_1)
	v_mul_f32_e32 v10, v10, v11
	v_dual_mul_f32 v11, s5, v11 :: v_dual_fmac_f32 v10, v3, v12
	s_delay_alu instid0(VALU_DEP_1)
	v_fmac_f32_e32 v11, v7, v12
	s_cbranch_execz .LBB58_18
	s_branch .LBB58_19
.LBB58_17:                              ;   in Loop: Header=BB58_9 Depth=1
                                        ; implicit-def: $sgpr13
                                        ; implicit-def: $vgpr10
                                        ; implicit-def: $vgpr9
                                        ; implicit-def: $vgpr11
                                        ; implicit-def: $sgpr1
                                        ; implicit-def: $sgpr15
.LBB58_18:                              ;   in Loop: Header=BB58_9 Depth=1
	v_mov_b32_e32 v11, v7
	s_waitcnt vmcnt(0)
	v_dual_mov_b32 v9, v8 :: v_dual_mov_b32 v10, v3
	s_add_i32 s1, s14, -1
	s_mov_b32 s13, 0
	s_mov_b32 s15, s16
.LBB58_19:                              ;   in Loop: Header=BB58_9 Depth=1
	s_and_not1_b32 vcc_lo, exec_lo, s13
	s_cbranch_vccz .LBB58_23
; %bb.20:                               ;   in Loop: Header=BB58_9 Depth=1
	v_dual_mov_b32 v7, v11 :: v_dual_mov_b32 v8, v9
	s_waitcnt vmcnt(0)
	v_mov_b32_e32 v3, v10
	s_mov_b32 s16, s15
	s_mov_b32 s14, s1
	s_branch .LBB58_9
.LBB58_21:
                                        ; implicit-def: $sgpr16_sgpr17
	s_load_b128 s[8:11], s[0:1], 0x44
	s_branch .LBB58_2
.LBB58_22:
                                        ; implicit-def: $sgpr18_sgpr19
	s_branch .LBB58_5
.LBB58_23:
	v_div_scale_f32 v0, null, v11, v11, v10
	s_waitcnt vmcnt(0)
	s_delay_alu instid0(VALU_DEP_1) | instskip(SKIP_2) | instid1(VALU_DEP_1)
	v_rcp_f32_e32 v3, v0
	s_waitcnt_depctr 0xfff
	v_fma_f32 v4, -v0, v3, 1.0
	v_fmac_f32_e32 v3, v4, v3
	v_div_scale_f32 v4, vcc_lo, v10, v11, v10
	s_delay_alu instid0(VALU_DEP_1) | instskip(NEXT) | instid1(VALU_DEP_1)
	v_mul_f32_e32 v5, v4, v3
	v_fma_f32 v6, -v0, v5, v4
	s_delay_alu instid0(VALU_DEP_1) | instskip(NEXT) | instid1(VALU_DEP_1)
	v_fmac_f32_e32 v5, v6, v3
	v_fma_f32 v0, -v0, v5, v4
	s_delay_alu instid0(VALU_DEP_1) | instskip(NEXT) | instid1(VALU_DEP_1)
	v_div_fmas_f32 v0, v0, v3, v5
	v_div_fixup_f32 v0, v0, v11, v10
	global_store_b32 v[1:2], v0, off
.LBB58_24:
	s_nop 0
	s_sendmsg sendmsg(MSG_DEALLOC_VGPRS)
	s_endpgm
	.section	.rodata,"a",@progbits
	.p2align	6, 0x0
	.amdhsa_kernel _ZL33flash_attn_stream_k_fixup_generalILi128ELi32ELi1EEvPfPK15HIP_vector_typeIfLj2EEiiiiS1_IjLj3EES5_S5_S5_
		.amdhsa_group_segment_fixed_size 0
		.amdhsa_private_segment_fixed_size 0
		.amdhsa_kernarg_size 336
		.amdhsa_user_sgpr_count 13
		.amdhsa_user_sgpr_dispatch_ptr 0
		.amdhsa_user_sgpr_queue_ptr 0
		.amdhsa_user_sgpr_kernarg_segment_ptr 1
		.amdhsa_user_sgpr_dispatch_id 0
		.amdhsa_user_sgpr_private_segment_size 0
		.amdhsa_wavefront_size32 1
		.amdhsa_uses_dynamic_stack 0
		.amdhsa_enable_private_segment 0
		.amdhsa_system_sgpr_workgroup_id_x 1
		.amdhsa_system_sgpr_workgroup_id_y 1
		.amdhsa_system_sgpr_workgroup_id_z 1
		.amdhsa_system_sgpr_workgroup_info 0
		.amdhsa_system_vgpr_workitem_id 0
		.amdhsa_next_free_vgpr 19
		.amdhsa_next_free_sgpr 32
		.amdhsa_reserve_vcc 1
		.amdhsa_float_round_mode_32 0
		.amdhsa_float_round_mode_16_64 0
		.amdhsa_float_denorm_mode_32 3
		.amdhsa_float_denorm_mode_16_64 3
		.amdhsa_dx10_clamp 1
		.amdhsa_ieee_mode 1
		.amdhsa_fp16_overflow 0
		.amdhsa_workgroup_processor_mode 1
		.amdhsa_memory_ordered 1
		.amdhsa_forward_progress 0
		.amdhsa_shared_vgpr_count 0
		.amdhsa_exception_fp_ieee_invalid_op 0
		.amdhsa_exception_fp_denorm_src 0
		.amdhsa_exception_fp_ieee_div_zero 0
		.amdhsa_exception_fp_ieee_overflow 0
		.amdhsa_exception_fp_ieee_underflow 0
		.amdhsa_exception_fp_ieee_inexact 0
		.amdhsa_exception_int_div_zero 0
	.end_amdhsa_kernel
	.section	.text._ZL33flash_attn_stream_k_fixup_generalILi128ELi32ELi1EEvPfPK15HIP_vector_typeIfLj2EEiiiiS1_IjLj3EES5_S5_S5_,"axG",@progbits,_ZL33flash_attn_stream_k_fixup_generalILi128ELi32ELi1EEvPfPK15HIP_vector_typeIfLj2EEiiiiS1_IjLj3EES5_S5_S5_,comdat
.Lfunc_end58:
	.size	_ZL33flash_attn_stream_k_fixup_generalILi128ELi32ELi1EEvPfPK15HIP_vector_typeIfLj2EEiiiiS1_IjLj3EES5_S5_S5_, .Lfunc_end58-_ZL33flash_attn_stream_k_fixup_generalILi128ELi32ELi1EEvPfPK15HIP_vector_typeIfLj2EEiiiiS1_IjLj3EES5_S5_S5_
                                        ; -- End function
	.section	.AMDGPU.csdata,"",@progbits
; Kernel info:
; codeLenInByte = 3220
; NumSgprs: 34
; NumVgprs: 19
; ScratchSize: 0
; MemoryBound: 0
; FloatMode: 240
; IeeeMode: 1
; LDSByteSize: 0 bytes/workgroup (compile time only)
; SGPRBlocks: 4
; VGPRBlocks: 2
; NumSGPRsForWavesPerEU: 34
; NumVGPRsForWavesPerEU: 19
; Occupancy: 16
; WaveLimiterHint : 0
; COMPUTE_PGM_RSRC2:SCRATCH_EN: 0
; COMPUTE_PGM_RSRC2:USER_SGPR: 13
; COMPUTE_PGM_RSRC2:TRAP_HANDLER: 0
; COMPUTE_PGM_RSRC2:TGID_X_EN: 1
; COMPUTE_PGM_RSRC2:TGID_Y_EN: 1
; COMPUTE_PGM_RSRC2:TGID_Z_EN: 1
; COMPUTE_PGM_RSRC2:TIDIG_COMP_CNT: 0
	.section	.text._ZL15flash_attn_tileILi128ELi128ELi16ELi1ELb0EEvPKcS1_S1_S1_S1_PKiPfP15HIP_vector_typeIfLj2EEffffjfiS5_IjLj3EEiiiiiiiiiiiliiliiiiil,"axG",@progbits,_ZL15flash_attn_tileILi128ELi128ELi16ELi1ELb0EEvPKcS1_S1_S1_S1_PKiPfP15HIP_vector_typeIfLj2EEffffjfiS5_IjLj3EEiiiiiiiiiiiliiliiiiil,comdat
	.globl	_ZL15flash_attn_tileILi128ELi128ELi16ELi1ELb0EEvPKcS1_S1_S1_S1_PKiPfP15HIP_vector_typeIfLj2EEffffjfiS5_IjLj3EEiiiiiiiiiiiliiliiiiil ; -- Begin function _ZL15flash_attn_tileILi128ELi128ELi16ELi1ELb0EEvPKcS1_S1_S1_S1_PKiPfP15HIP_vector_typeIfLj2EEffffjfiS5_IjLj3EEiiiiiiiiiiiliiliiiiil
	.p2align	8
	.type	_ZL15flash_attn_tileILi128ELi128ELi16ELi1ELb0EEvPKcS1_S1_S1_S1_PKiPfP15HIP_vector_typeIfLj2EEffffjfiS5_IjLj3EEiiiiiiiiiiiliiliiiiil,@function
_ZL15flash_attn_tileILi128ELi128ELi16ELi1ELb0EEvPKcS1_S1_S1_S1_PKiPfP15HIP_vector_typeIfLj2EEffffjfiS5_IjLj3EEiiiiiiiiiiiliiliiiiil: ; @_ZL15flash_attn_tileILi128ELi128ELi16ELi1ELb0EEvPKcS1_S1_S1_S1_PKiPfP15HIP_vector_typeIfLj2EEffffjfiS5_IjLj3EEiiiiiiiiiiiliiliiiiil
; %bb.0:
	s_clause 0x3
	s_load_b128 s[36:39], s[0:1], 0x5c
	s_load_b64 s[42:43], s[0:1], 0x80
	s_load_b512 s[16:31], s[0:1], 0x0
	s_load_b64 s[44:45], s[0:1], 0xb8
	s_mov_b64 s[40:41], 0
	s_waitcnt lgkmcnt(0)
	v_cvt_f32_u32_e32 v1, s39
	s_sub_i32 s3, 0, s39
	s_delay_alu instid0(VALU_DEP_1) | instskip(SKIP_2) | instid1(VALU_DEP_1)
	v_rcp_iflag_f32_e32 v1, v1
	s_waitcnt_depctr 0xfff
	v_mul_f32_e32 v1, 0x4f7ffffe, v1
	v_cvt_u32_f32_e32 v1, v1
	s_delay_alu instid0(VALU_DEP_1) | instskip(NEXT) | instid1(VALU_DEP_1)
	v_readfirstlane_b32 s2, v1
	s_mul_i32 s3, s3, s2
	s_delay_alu instid0(SALU_CYCLE_1) | instskip(NEXT) | instid1(SALU_CYCLE_1)
	s_mul_hi_u32 s3, s2, s3
	s_add_i32 s2, s2, s3
	s_delay_alu instid0(SALU_CYCLE_1) | instskip(NEXT) | instid1(SALU_CYCLE_1)
	s_mul_hi_u32 s2, s15, s2
	s_mul_i32 s3, s2, s39
	s_add_i32 s4, s2, 1
	s_sub_i32 s3, s15, s3
	s_delay_alu instid0(SALU_CYCLE_1)
	s_sub_i32 s5, s3, s39
	s_cmp_ge_u32 s3, s39
	s_cselect_b32 s2, s4, s2
	s_cselect_b32 s3, s5, s3
	s_add_i32 s4, s2, 1
	s_cmp_ge_u32 s3, s39
	s_cselect_b32 s33, s4, s2
	s_abs_i32 s2, s43
	s_abs_i32 s6, s39
	v_cvt_f32_u32_e32 v1, s2
	s_sub_i32 s4, 0, s2
	s_mul_i32 s5, s33, s39
	s_delay_alu instid0(SALU_CYCLE_1) | instskip(NEXT) | instid1(VALU_DEP_1)
	s_sub_i32 s34, s15, s5
	v_rcp_iflag_f32_e32 v1, v1
	s_waitcnt_depctr 0xfff
	v_mul_f32_e32 v1, 0x4f7ffffe, v1
	s_delay_alu instid0(VALU_DEP_1) | instskip(NEXT) | instid1(VALU_DEP_1)
	v_cvt_u32_f32_e32 v1, v1
	v_readfirstlane_b32 s3, v1
	s_delay_alu instid0(VALU_DEP_1) | instskip(NEXT) | instid1(SALU_CYCLE_1)
	s_mul_i32 s4, s4, s3
	s_mul_hi_u32 s4, s3, s4
	s_delay_alu instid0(SALU_CYCLE_1) | instskip(SKIP_4) | instid1(SALU_CYCLE_1)
	s_add_i32 s3, s3, s4
	s_xor_b32 s4, s39, s43
	s_mul_hi_u32 s3, s6, s3
	s_ashr_i32 s4, s4, 31
	s_mul_i32 s5, s3, s2
	s_sub_i32 s5, s6, s5
	s_add_i32 s6, s3, 1
	s_sub_i32 s7, s5, s2
	s_cmp_ge_u32 s5, s2
	s_cselect_b32 s3, s6, s3
	s_cselect_b32 s5, s7, s5
	s_add_i32 s6, s3, 1
	s_cmp_ge_u32 s5, s2
	s_cselect_b32 s2, s6, s3
	s_abs_i32 s43, s34
	s_xor_b32 s2, s2, s4
	s_delay_alu instid0(SALU_CYCLE_1) | instskip(NEXT) | instid1(SALU_CYCLE_1)
	s_sub_i32 s46, s2, s4
	s_abs_i32 s12, s46
	s_delay_alu instid0(SALU_CYCLE_1) | instskip(SKIP_1) | instid1(VALU_DEP_1)
	v_cvt_f32_u32_e32 v1, s12
	s_sub_i32 s3, 0, s12
	v_rcp_iflag_f32_e32 v1, v1
	s_waitcnt_depctr 0xfff
	v_mul_f32_e32 v1, 0x4f7ffffe, v1
	s_delay_alu instid0(VALU_DEP_1) | instskip(NEXT) | instid1(VALU_DEP_1)
	v_cvt_u32_f32_e32 v1, v1
	v_readfirstlane_b32 s2, v1
	s_delay_alu instid0(VALU_DEP_1) | instskip(NEXT) | instid1(SALU_CYCLE_1)
	s_mul_i32 s3, s3, s2
	s_mul_hi_u32 s3, s2, s3
	s_delay_alu instid0(SALU_CYCLE_1)
	s_add_i32 s2, s2, s3
	s_cmp_eq_u64 s[22:23], 0
	s_cbranch_scc1 .LBB59_2
; %bb.1:
	s_abs_i32 s3, s44
	s_abs_i32 s6, s33
	v_cvt_f32_u32_e32 v1, s3
	s_sub_i32 s5, 0, s3
	s_delay_alu instid0(VALU_DEP_1) | instskip(SKIP_2) | instid1(VALU_DEP_1)
	v_rcp_iflag_f32_e32 v1, v1
	s_waitcnt_depctr 0xfff
	v_mul_f32_e32 v1, 0x4f7ffffe, v1
	v_cvt_u32_f32_e32 v1, v1
	s_delay_alu instid0(VALU_DEP_1) | instskip(NEXT) | instid1(VALU_DEP_1)
	v_readfirstlane_b32 s4, v1
	s_mul_i32 s5, s5, s4
	s_delay_alu instid0(SALU_CYCLE_1) | instskip(NEXT) | instid1(SALU_CYCLE_1)
	s_mul_hi_u32 s5, s4, s5
	s_add_i32 s7, s4, s5
	s_load_b64 s[4:5], s[0:1], 0xc8
	s_mul_hi_u32 s7, s6, s7
	s_delay_alu instid0(SALU_CYCLE_1) | instskip(NEXT) | instid1(SALU_CYCLE_1)
	s_mul_i32 s7, s7, s3
	s_sub_i32 s6, s6, s7
	s_ashr_i32 s7, s33, 31
	s_sub_i32 s8, s6, s3
	s_cmp_ge_u32 s6, s3
	s_cselect_b32 s6, s8, s6
	s_delay_alu instid0(SALU_CYCLE_1) | instskip(SKIP_2) | instid1(SALU_CYCLE_1)
	s_sub_i32 s8, s6, s3
	s_cmp_ge_u32 s6, s3
	s_cselect_b32 s3, s8, s6
	s_xor_b32 s3, s3, s7
	s_delay_alu instid0(SALU_CYCLE_1)
	s_sub_i32 s3, s3, s7
	s_waitcnt lgkmcnt(0)
	s_mul_i32 s5, s3, s5
	s_mul_hi_u32 s6, s3, s4
	s_ashr_i32 s7, s3, 31
	s_add_i32 s5, s6, s5
	s_mul_i32 s7, s7, s4
	s_mul_i32 s3, s3, s4
	s_add_i32 s5, s5, s7
	s_add_u32 s40, s22, s3
	s_addc_u32 s41, s23, s5
.LBB59_2:
	s_clause 0x1
	s_load_b128 s[8:11], s[0:1], 0x40
	s_load_b32 s3, s[0:1], 0x50
	v_mov_b32_e32 v43, 1.0
	s_waitcnt lgkmcnt(0)
	v_cmp_le_f32_e64 s4, s9, 0
	s_mul_hi_u32 s9, s43, s2
	s_delay_alu instid0(VALU_DEP_1)
	s_and_b32 vcc_lo, exec_lo, s4
	s_cbranch_vccnz .LBB59_4
; %bb.3:
	s_sub_i32 s2, s34, s3
	s_add_i32 s4, s34, 1
	s_lshl_b32 s2, s2, 1
	v_mov_b32_e32 v1, s10
	s_or_b32 s2, s2, 1
	s_cmp_lt_u32 s34, s3
	s_cselect_b32 vcc_lo, -1, 0
	s_delay_alu instid0(VALU_DEP_1)
	v_cndmask_b32_e32 v3, s11, v1, vcc_lo
	s_and_b32 s3, vcc_lo, exec_lo
	s_cselect_b32 s2, s4, s2
	s_mov_b32 s3, 0x3e76c4e1
	v_cvt_f32_i32_e32 v1, s2
	v_cmp_neq_f32_e32 vcc_lo, 1.0, v3
	s_delay_alu instid0(VALU_DEP_2) | instskip(NEXT) | instid1(VALU_DEP_1)
	v_cndmask_b32_e32 v4, 1.0, v1, vcc_lo
	v_cmp_eq_f32_e32 vcc_lo, 0, v4
	v_cndmask_b32_e64 v5, |v3|, 1.0, vcc_lo
	s_delay_alu instid0(VALU_DEP_1) | instskip(NEXT) | instid1(VALU_DEP_1)
	v_frexp_mant_f32_e32 v1, v5
	v_cmp_gt_f32_e64 s2, 0x3f2aaaab, v1
	s_delay_alu instid0(VALU_DEP_1) | instskip(NEXT) | instid1(VALU_DEP_1)
	v_cndmask_b32_e64 v2, 1.0, 2.0, s2
	v_mul_f32_e32 v1, v1, v2
	s_delay_alu instid0(VALU_DEP_1) | instskip(SKIP_1) | instid1(VALU_DEP_2)
	v_add_f32_e32 v2, 1.0, v1
	v_add_f32_e32 v7, -1.0, v1
	v_rcp_f32_e32 v6, v2
	s_waitcnt_depctr 0xfff
	v_mul_f32_e32 v8, v7, v6
	s_delay_alu instid0(VALU_DEP_1) | instskip(NEXT) | instid1(VALU_DEP_1)
	v_dual_add_f32 v9, -1.0, v2 :: v_dual_mul_f32 v10, v2, v8
	v_sub_f32_e32 v1, v1, v9
	v_cndmask_b32_e64 v3, v3, 1.0, vcc_lo
	s_delay_alu instid0(VALU_DEP_3) | instskip(NEXT) | instid1(VALU_DEP_2)
	v_fma_f32 v2, v8, v2, -v10
	v_cmp_eq_f32_e64 s4, 0, v3
	s_delay_alu instid0(VALU_DEP_2) | instskip(NEXT) | instid1(VALU_DEP_1)
	v_fmac_f32_e32 v2, v8, v1
	v_add_f32_e32 v1, v10, v2
	s_delay_alu instid0(VALU_DEP_1) | instskip(NEXT) | instid1(VALU_DEP_1)
	v_dual_sub_f32 v10, v1, v10 :: v_dual_sub_f32 v9, v7, v1
	v_dual_sub_f32 v2, v10, v2 :: v_dual_sub_f32 v7, v7, v9
	s_delay_alu instid0(VALU_DEP_1) | instskip(NEXT) | instid1(VALU_DEP_1)
	v_sub_f32_e32 v1, v7, v1
	v_add_f32_e32 v1, v2, v1
	s_delay_alu instid0(VALU_DEP_1) | instskip(NEXT) | instid1(VALU_DEP_1)
	v_add_f32_e32 v1, v9, v1
	v_mul_f32_e32 v1, v6, v1
	s_delay_alu instid0(VALU_DEP_1) | instskip(NEXT) | instid1(VALU_DEP_1)
	v_add_f32_e32 v6, v8, v1
	v_sub_f32_e32 v2, v6, v8
	v_mul_f32_e32 v7, v6, v6
	s_delay_alu instid0(VALU_DEP_2) | instskip(NEXT) | instid1(VALU_DEP_2)
	v_sub_f32_e32 v8, v1, v2
	v_fma_f32 v9, v6, v6, -v7
	s_delay_alu instid0(VALU_DEP_2) | instskip(NEXT) | instid1(VALU_DEP_1)
	v_add_f32_e32 v1, v8, v8
	v_fmac_f32_e32 v9, v6, v1
	v_cvt_f64_f32_e32 v[1:2], v5
	s_delay_alu instid0(VALU_DEP_2) | instskip(NEXT) | instid1(VALU_DEP_1)
	v_add_f32_e32 v10, v7, v9
	v_fmaak_f32 v11, s3, v10, 0x3e91f4c4
	v_sub_f32_e32 v7, v10, v7
	v_mul_f32_e32 v14, v6, v10
	s_delay_alu instid0(VALU_DEP_3) | instskip(NEXT) | instid1(VALU_DEP_3)
	v_fmaak_f32 v11, v10, v11, 0x3ecccdef
	v_sub_f32_e32 v7, v9, v7
	s_delay_alu instid0(VALU_DEP_2) | instskip(NEXT) | instid1(VALU_DEP_1)
	v_mul_f32_e32 v12, v10, v11
	v_fma_f32 v9, v10, v11, -v12
	s_delay_alu instid0(VALU_DEP_1) | instskip(NEXT) | instid1(VALU_DEP_1)
	v_fmac_f32_e32 v9, v7, v11
	v_add_f32_e32 v11, v12, v9
	v_frexp_exp_i32_f64_e32 v1, v[1:2]
	s_delay_alu instid0(VALU_DEP_2) | instskip(NEXT) | instid1(VALU_DEP_1)
	v_sub_f32_e32 v12, v11, v12
	v_sub_f32_e32 v2, v9, v12
	v_fma_f32 v12, v10, v6, -v14
	s_delay_alu instid0(VALU_DEP_2) | instskip(NEXT) | instid1(VALU_DEP_2)
	v_add_f32_e32 v2, 0x31739010, v2
	v_dual_add_f32 v13, 0x3f2aaaaa, v11 :: v_dual_fmac_f32 v12, v10, v8
	v_ldexp_f32 v8, v8, 1
	s_delay_alu instid0(VALU_DEP_2) | instskip(NEXT) | instid1(VALU_DEP_1)
	v_dual_add_f32 v9, 0xbf2aaaaa, v13 :: v_dual_fmac_f32 v12, v7, v6
	v_sub_f32_e32 v9, v11, v9
	s_delay_alu instid0(VALU_DEP_1) | instskip(NEXT) | instid1(VALU_DEP_3)
	v_add_f32_e32 v2, v2, v9
	v_add_f32_e32 v9, v14, v12
	s_delay_alu instid0(VALU_DEP_2) | instskip(NEXT) | instid1(VALU_DEP_1)
	v_add_f32_e32 v7, v13, v2
	v_sub_f32_e32 v10, v13, v7
	s_delay_alu instid0(VALU_DEP_3) | instskip(SKIP_2) | instid1(VALU_DEP_4)
	v_mul_f32_e32 v11, v9, v7
	v_sub_f32_e32 v13, v9, v14
	v_subrev_co_ci_u32_e64 v1, s2, 0, v1, s2
	v_add_f32_e32 v2, v2, v10
	s_delay_alu instid0(VALU_DEP_4) | instskip(NEXT) | instid1(VALU_DEP_4)
	v_fma_f32 v10, v9, v7, -v11
	v_sub_f32_e32 v12, v12, v13
	s_delay_alu instid0(VALU_DEP_4) | instskip(NEXT) | instid1(VALU_DEP_3)
	v_cvt_f32_i32_e32 v1, v1
	v_fmac_f32_e32 v10, v9, v2
	v_ldexp_f32 v2, v6, 1
	s_delay_alu instid0(VALU_DEP_2) | instskip(NEXT) | instid1(VALU_DEP_1)
	v_fmac_f32_e32 v10, v12, v7
	v_add_f32_e32 v6, v11, v10
	s_delay_alu instid0(VALU_DEP_1) | instskip(NEXT) | instid1(VALU_DEP_1)
	v_add_f32_e32 v7, v2, v6
	v_dual_sub_f32 v2, v7, v2 :: v_dual_sub_f32 v9, v6, v11
	s_delay_alu instid0(VALU_DEP_1) | instskip(NEXT) | instid1(VALU_DEP_2)
	v_sub_f32_e32 v2, v6, v2
	v_sub_f32_e32 v9, v10, v9
	s_delay_alu instid0(VALU_DEP_1) | instskip(NEXT) | instid1(VALU_DEP_1)
	v_add_f32_e32 v6, v8, v9
	v_dual_mul_f32 v11, 0x3f317218, v1 :: v_dual_add_f32 v2, v6, v2
	s_delay_alu instid0(VALU_DEP_1) | instskip(NEXT) | instid1(VALU_DEP_2)
	v_fma_f32 v10, 0x3f317218, v1, -v11
	v_add_f32_e32 v8, v7, v2
	s_delay_alu instid0(VALU_DEP_1) | instskip(NEXT) | instid1(VALU_DEP_1)
	v_sub_f32_e32 v7, v8, v7
	v_dual_fmamk_f32 v1, v1, 0xb102e308, v10 :: v_dual_sub_f32 v2, v2, v7
	s_delay_alu instid0(VALU_DEP_1) | instskip(NEXT) | instid1(VALU_DEP_1)
	v_add_f32_e32 v6, v11, v1
	v_add_f32_e32 v9, v6, v8
	s_delay_alu instid0(VALU_DEP_1) | instskip(NEXT) | instid1(VALU_DEP_1)
	v_dual_sub_f32 v11, v6, v11 :: v_dual_sub_f32 v10, v9, v6
	v_sub_f32_e32 v12, v9, v10
	s_delay_alu instid0(VALU_DEP_2) | instskip(NEXT) | instid1(VALU_DEP_2)
	v_sub_f32_e32 v1, v1, v11
	v_dual_sub_f32 v7, v8, v10 :: v_dual_sub_f32 v6, v6, v12
	s_delay_alu instid0(VALU_DEP_2) | instskip(NEXT) | instid1(VALU_DEP_2)
	v_add_f32_e32 v8, v1, v2
	v_add_f32_e32 v6, v7, v6
	s_delay_alu instid0(VALU_DEP_1) | instskip(NEXT) | instid1(VALU_DEP_1)
	v_add_f32_e32 v6, v8, v6
	v_dual_sub_f32 v7, v8, v1 :: v_dual_add_f32 v10, v9, v6
	s_delay_alu instid0(VALU_DEP_1) | instskip(SKIP_1) | instid1(VALU_DEP_3)
	v_sub_f32_e32 v8, v8, v7
	v_sub_f32_e32 v2, v2, v7
	;; [unrolled: 1-line block ×3, first 2 shown]
	s_delay_alu instid0(VALU_DEP_3) | instskip(NEXT) | instid1(VALU_DEP_1)
	v_sub_f32_e32 v1, v1, v8
	v_add_f32_e32 v1, v2, v1
	s_delay_alu instid0(VALU_DEP_3) | instskip(NEXT) | instid1(VALU_DEP_1)
	v_sub_f32_e32 v2, v6, v7
	v_add_f32_e32 v1, v1, v2
	s_delay_alu instid0(VALU_DEP_1) | instskip(NEXT) | instid1(VALU_DEP_1)
	v_add_f32_e32 v2, v10, v1
	v_mul_f32_e32 v7, v4, v2
	v_sub_f32_e32 v6, v2, v10
	s_delay_alu instid0(VALU_DEP_2) | instskip(NEXT) | instid1(VALU_DEP_2)
	v_fma_f32 v2, v4, v2, -v7
	v_sub_f32_e32 v1, v1, v6
	v_cmp_class_f32_e64 s2, v7, 0x204
	s_delay_alu instid0(VALU_DEP_2) | instskip(NEXT) | instid1(VALU_DEP_1)
	v_fmac_f32_e32 v2, v4, v1
	v_add_f32_e32 v1, v7, v2
	s_delay_alu instid0(VALU_DEP_1) | instskip(NEXT) | instid1(VALU_DEP_1)
	v_cndmask_b32_e64 v6, v1, v7, s2
	v_cmp_eq_f32_e64 s2, 0x42b17218, v6
	s_delay_alu instid0(VALU_DEP_1) | instskip(SKIP_1) | instid1(VALU_DEP_2)
	v_cndmask_b32_e64 v8, 0, 0x37000000, s2
	v_cmp_neq_f32_e64 s2, 0x7f800000, |v6|
	v_sub_f32_e32 v9, v6, v8
	v_trunc_f32_e32 v6, v4
	s_delay_alu instid0(VALU_DEP_2) | instskip(NEXT) | instid1(VALU_DEP_1)
	v_mul_f32_e32 v10, 0x3fb8aa3b, v9
	v_fma_f32 v11, 0x3fb8aa3b, v9, -v10
	v_rndne_f32_e32 v12, v10
	s_delay_alu instid0(VALU_DEP_1) | instskip(NEXT) | instid1(VALU_DEP_1)
	v_dual_fmamk_f32 v11, v9, 0x32a5705f, v11 :: v_dual_sub_f32 v10, v10, v12
	v_add_f32_e32 v10, v10, v11
	v_sub_f32_e32 v1, v1, v7
	v_cvt_i32_f32_e32 v7, v12
	s_delay_alu instid0(VALU_DEP_3) | instskip(NEXT) | instid1(VALU_DEP_2)
	v_exp_f32_e32 v10, v10
	v_sub_f32_e32 v1, v2, v1
	s_delay_alu instid0(VALU_DEP_1)
	v_cndmask_b32_e64 v1, 0, v1, s2
	v_cmp_ngt_f32_e64 s2, 0xc2ce8ed0, v9
	s_waitcnt_depctr 0xfff
	v_ldexp_f32 v2, v10, v7
	v_mul_f32_e32 v7, 0.5, v4
	v_add_f32_e32 v1, v8, v1
	s_delay_alu instid0(VALU_DEP_3) | instskip(NEXT) | instid1(VALU_DEP_3)
	v_cndmask_b32_e64 v2, 0, v2, s2
	v_trunc_f32_e32 v10, v7
	v_cmp_nlt_f32_e64 s2, 0x42b17218, v9
	s_delay_alu instid0(VALU_DEP_2) | instskip(NEXT) | instid1(VALU_DEP_2)
	v_cmp_neq_f32_e64 s3, v10, v7
	v_cndmask_b32_e64 v2, 0x7f800000, v2, s2
	v_cmp_eq_f32_e64 s2, v6, v4
	s_delay_alu instid0(VALU_DEP_2) | instskip(NEXT) | instid1(VALU_DEP_2)
	v_fma_f32 v1, v2, v1, v2
	s_and_b32 vcc_lo, s2, s3
	v_cmp_class_f32_e64 s3, v2, 0x204
	v_cndmask_b32_e32 v6, 1.0, v3, vcc_lo
	s_delay_alu instid0(VALU_DEP_2) | instskip(SKIP_1) | instid1(VALU_DEP_2)
	v_cndmask_b32_e64 v1, v1, v2, s3
	v_cmp_gt_f32_e64 s3, 0, v4
	v_bfi_b32 v1, 0x7fffffff, v1, v6
	v_cndmask_b32_e32 v6, 0, v3, vcc_lo
	s_delay_alu instid0(VALU_DEP_3)
	s_xor_b32 s3, s3, s4
	v_cmp_eq_f32_e32 vcc_lo, 0x7f800000, v5
	v_cndmask_b32_e64 v2, 0x7f800000, 0, s3
	v_cndmask_b32_e64 v4, 0x7fc00000, v1, s2
	v_cmp_gt_f32_e64 s2, 0, v3
	s_or_b32 vcc_lo, vcc_lo, s4
	s_delay_alu instid0(VALU_DEP_3) | instskip(NEXT) | instid1(VALU_DEP_2)
	v_bfi_b32 v2, 0x7fffffff, v2, v6
	v_cndmask_b32_e64 v1, v1, v4, s2
	s_delay_alu instid0(VALU_DEP_1) | instskip(SKIP_1) | instid1(VALU_DEP_2)
	v_cndmask_b32_e32 v1, v1, v2, vcc_lo
	v_cmp_o_f32_e32 vcc_lo, v3, v3
	v_cndmask_b32_e32 v43, 0x7fc00000, v1, vcc_lo
.LBB59_4:
	v_bfe_u32 v2, v0, 10, 10
	s_lshl_b32 s15, s13, 4
	s_load_b128 s[4:7], s[0:1], 0x70
	s_ashr_i32 s35, s34, 31
	s_ashr_i32 s10, s46, 31
	v_lshlrev_b32_e32 v36, 1, v2
	v_and_b32_e32 v38, 0x3ff, v0
	s_delay_alu instid0(VALU_DEP_2) | instskip(SKIP_1) | instid1(VALU_DEP_3)
	v_add_nc_u32_e32 v39, s15, v36
	v_or_b32_e32 v34, 1, v36
	v_lshlrev_b32_e32 v13, 1, v38
	s_delay_alu instid0(VALU_DEP_3) | instskip(NEXT) | instid1(VALU_DEP_3)
	v_mul_hi_u32 v1, v39, s36
	v_add_nc_u32_e32 v35, s15, v34
	v_lshlrev_b32_e32 v15, 6, v34
	s_delay_alu instid0(VALU_DEP_2) | instskip(SKIP_2) | instid1(VALU_DEP_4)
	v_mul_hi_u32 v3, v35, s36
	s_waitcnt lgkmcnt(0)
	s_mul_i32 s2, s33, s6
	v_add_nc_u32_e32 v1, v39, v1
	s_mul_i32 s3, s34, s5
	s_ashr_i32 s5, s2, 31
	s_add_u32 s2, s16, s2
	s_addc_u32 s5, s17, s5
	v_lshrrev_b32_e32 v1, s37, v1
	v_add_nc_u32_e32 v3, v35, v3
	s_ashr_i32 s6, s3, 31
	s_add_u32 s2, s2, s3
	s_addc_u32 s3, s5, s6
	v_mul_lo_u32 v1, v1, s38
	v_lshrrev_b32_e32 v3, s37, v3
	s_ashr_i32 s5, s4, 31
	s_delay_alu instid0(SALU_CYCLE_1) | instskip(SKIP_1) | instid1(VALU_DEP_2)
	v_alignbit_b32 v7, s5, s4, 2
	s_lshr_b32 s4, s5, 2
	v_mul_lo_u32 v5, v3, s38
	s_cmp_eq_u64 s[26:27], 0
	s_delay_alu instid0(VALU_DEP_4) | instskip(NEXT) | instid1(VALU_DEP_1)
	v_sub_nc_u32_e32 v47, v39, v1
	v_mad_u64_u32 v[3:4], null, v7, v47, 0
	s_delay_alu instid0(VALU_DEP_3) | instskip(NEXT) | instid1(VALU_DEP_1)
	v_sub_nc_u32_e32 v10, v35, v5
	v_mad_u64_u32 v[5:6], null, v7, v10, 0
	s_delay_alu instid0(VALU_DEP_3) | instskip(NEXT) | instid1(VALU_DEP_1)
	v_mov_b32_e32 v1, v4
	v_mad_u64_u32 v[7:8], null, s4, v47, v[1:2]
	s_delay_alu instid0(VALU_DEP_3) | instskip(NEXT) | instid1(VALU_DEP_1)
	v_mov_b32_e32 v1, v6
	v_mad_u64_u32 v[8:9], null, s4, v10, v[1:2]
	s_delay_alu instid0(VALU_DEP_3) | instskip(NEXT) | instid1(VALU_DEP_1)
	v_dual_mov_b32 v4, v7 :: v_dual_lshlrev_b32 v7, 4, v38
	v_lshlrev_b64 v[0:1], 2, v[3:4]
	s_delay_alu instid0(VALU_DEP_3) | instskip(NEXT) | instid1(VALU_DEP_3)
	v_mov_b32_e32 v6, v8
	v_add_co_u32 v7, s2, s2, v7
	s_delay_alu instid0(VALU_DEP_1) | instskip(NEXT) | instid1(VALU_DEP_3)
	v_add_co_ci_u32_e64 v8, null, s3, 0, s2
	v_lshlrev_b64 v[3:4], 2, v[5:6]
	s_delay_alu instid0(VALU_DEP_3) | instskip(NEXT) | instid1(VALU_DEP_3)
	v_add_co_u32 v0, vcc_lo, v7, v0
	v_add_co_ci_u32_e32 v1, vcc_lo, v8, v1, vcc_lo
	s_mov_b32 s3, 0
	s_delay_alu instid0(VALU_DEP_3) | instskip(NEXT) | instid1(VALU_DEP_4)
	v_add_co_u32 v7, vcc_lo, v7, v3
	v_add_co_ci_u32_e32 v8, vcc_lo, v8, v4, vcc_lo
	s_clause 0x1
	global_load_b128 v[3:6], v[0:1], off
	global_load_b128 v[7:10], v[7:8], off
	v_lshlrev_b32_e32 v0, 7, v2
	s_delay_alu instid0(VALU_DEP_1)
	v_add_lshl_u32 v14, v0, v13, 2
	s_waitcnt vmcnt(1)
	v_fma_mixlo_f16 v1, v5, s8, 0
	v_fma_mixlo_f16 v0, v3, s8, 0
	s_waitcnt vmcnt(0)
	v_fma_mixlo_f16 v12, v9, s8, 0
	v_fma_mixlo_f16 v11, v7, s8, 0
	v_add_lshl_u32 v3, v15, v13, 2
	v_fma_mixhi_f16 v1, v6, s8, 0
	v_fma_mixhi_f16 v0, v4, s8, 0
	;; [unrolled: 1-line block ×4, first 2 shown]
	ds_store_b64 v14, v[0:1] offset:38912
	ds_store_b64 v3, v[11:12] offset:38912
	s_waitcnt lgkmcnt(0)
	s_barrier
	buffer_gl0_inv
	s_cbranch_scc1 .LBB59_6
; %bb.5:
	s_load_b32 s2, s[0:1], 0xd0
	s_waitcnt lgkmcnt(0)
	s_mul_i32 s2, s2, s33
	s_delay_alu instid0(SALU_CYCLE_1) | instskip(NEXT) | instid1(SALU_CYCLE_1)
	s_add_i32 s2, s2, s13
	s_lshl_b64 s[2:3], s[2:3], 2
	s_delay_alu instid0(SALU_CYCLE_1)
	s_add_u32 s2, s26, s2
	s_addc_u32 s3, s27, s3
	s_load_b32 s42, s[2:3], 0x0
.LBB59_6:
	s_clause 0x1
	s_load_b64 s[2:3], s[0:1], 0x8c
	s_load_b128 s[4:7], s[0:1], 0x98
	s_ashr_i32 s11, s33, 31
	s_load_b64 s[26:27], s[0:1], 0xa8
	s_ashr_i32 s17, s45, 1
	s_mul_i32 s13, s9, s12
	v_dual_mov_b32 v52, 0 :: v_dual_lshlrev_b32 v37, 2, v38
	v_dual_mov_b32 v48, 0 :: v_dual_lshlrev_b32 v41, 9, v2
	v_lshrrev_b32_e32 v53, 4, v38
	s_delay_alu instid0(VALU_DEP_3)
	v_and_b32_e32 v54, 60, v37
	v_mul_u32_u24_e32 v50, 0x110, v38
	v_or_b32_e32 v45, 1, v39
	v_lshlrev_b32_e32 v42, 3, v38
	v_mbcnt_lo_u32_b32 v40, -1, 0
	s_mov_b32 s44, 0xfeffffff
	s_waitcnt lgkmcnt(0)
	s_ashr_i32 s8, s2, 2
	s_mul_i32 s2, s33, s5
	s_mul_hi_u32 s5, s33, s4
	s_ashr_i32 s22, s6, 2
	s_mul_i32 s6, s11, s4
	s_add_i32 s2, s5, s2
	s_mul_i32 s4, s33, s4
	s_add_i32 s2, s2, s6
	s_add_u32 s4, s18, s4
	s_addc_u32 s2, s19, s2
	s_sub_i32 s6, s43, s13
	s_xor_b32 s5, s35, s10
	s_add_i32 s10, s9, 1
	s_sub_i32 s13, s6, s12
	s_cmp_ge_u32 s6, s12
	s_mul_i32 s11, s11, s26
	s_cselect_b32 s9, s10, s9
	s_cselect_b32 s6, s13, s6
	s_add_i32 s10, s9, 1
	s_cmp_ge_u32 s6, s12
	s_mul_i32 s12, s33, s26
	s_cselect_b32 s6, s10, s9
	s_mul_i32 s9, s33, s27
	s_xor_b32 s6, s6, s5
	s_mul_hi_u32 s10, s33, s26
	s_sub_i32 s6, s6, s5
	s_delay_alu instid0(SALU_CYCLE_1)
	s_mul_i32 s3, s6, s3
	s_mul_i32 s6, s6, s7
	s_ashr_i32 s5, s3, 31
	s_add_u32 s4, s4, s3
	s_addc_u32 s5, s2, s5
	s_add_i32 s2, s10, s9
	s_delay_alu instid0(SALU_CYCLE_1)
	s_add_i32 s2, s2, s11
	s_add_u32 s3, s20, s12
	s_addc_u32 s2, s21, s2
	s_ashr_i32 s7, s6, 31
	s_add_u32 s19, s3, s6
	s_addc_u32 s18, s2, s7
	s_lshl_b32 s16, s14, 7
	s_add_i32 s6, s42, 0xffffff80
	s_delay_alu instid0(SALU_CYCLE_1)
	s_cmp_ge_i32 s16, s6
	s_cbranch_scc1 .LBB59_27
; %bb.7:
	v_dual_mov_b32 v44, 0 :: v_dual_add_nc_u32 v1, v53, v36
	s_lshl_b32 s2, s8, 4
	s_cmp_lg_u64 s[40:41], 0
	v_mul_hi_u32 v3, s36, v45
	s_delay_alu instid0(VALU_DEP_2)
	v_mul_lo_u32 v0, s8, v1
	v_mul_lo_u32 v18, s22, v1
	s_cselect_b32 s7, -1, 0
	s_lshl_b32 s3, s22, 4
	v_dual_mov_b32 v49, 0 :: v_dual_lshlrev_b32 v2, 2, v54
	v_mov_b32_e32 v80, 0xfeffffff
	v_mul_lo_u32 v56, v47, s17
	v_dual_mov_b32 v79, 0xfeffffff :: v_dual_add_nc_u32 v4, s2, v0
	v_add_nc_u32_e32 v20, s3, v18
	v_mad_u32_u24 v58, 0x110, v1, v2
	v_lshl_or_b32 v59, v1, 8, v2
	s_delay_alu instid0(VALU_DEP_4)
	v_add_nc_u32_e32 v6, s2, v4
	v_add_nc_u32_e32 v1, v45, v3
	v_add_nc_u32_e32 v22, s3, v20
	v_ashrrev_i32_e32 v19, 31, v18
	v_ashrrev_i32_e32 v5, 31, v4
	v_add_nc_u32_e32 v8, s2, v6
	v_lshrrev_b32_e32 v1, s37, v1
	v_add_nc_u32_e32 v24, s3, v22
	v_ashrrev_i32_e32 v7, 31, v6
	v_ashrrev_i32_e32 v21, 31, v20
	v_add_nc_u32_e32 v10, s2, v8
	v_mul_lo_u32 v2, v1, s38
	v_add_nc_u32_e32 v26, s3, v24
	v_ashrrev_i32_e32 v1, 31, v0
	v_ashrrev_i32_e32 v9, 31, v8
	v_add_nc_u32_e32 v12, s2, v10
	v_ashrrev_i32_e32 v11, 31, v10
	v_add_nc_u32_e32 v28, s3, v26
	v_ashrrev_i32_e32 v23, 31, v22
	v_sub_nc_u32_e32 v2, v45, v2
	v_add_nc_u32_e32 v14, s2, v12
	v_ashrrev_i32_e32 v13, 31, v12
	v_add_nc_u32_e32 v30, s3, v28
	v_ashrrev_i32_e32 v25, 31, v24
	v_ashrrev_i32_e32 v27, 31, v26
	v_add_nc_u32_e32 v16, s2, v14
	v_ashrrev_i32_e32 v15, 31, v14
	v_add_nc_u32_e32 v32, s3, v30
	v_ashrrev_i32_e32 v29, 31, v28
	v_ashrrev_i32_e32 v31, 31, v30
	;; [unrolled: 1-line block ×3, first 2 shown]
	s_add_u32 s2, s0, 0xd0
	v_ashrrev_i32_e32 v33, 31, v32
	v_mul_lo_u32 v68, v2, s17
	s_addc_u32 s3, s1, 0
	s_add_u32 s9, s40, 64
	s_addc_u32 s10, s41, 0
	v_lshlrev_b64 v[2:3], 2, v[0:1]
	v_lshlrev_b64 v[4:5], 2, v[4:5]
	v_lshlrev_b64 v[6:7], 2, v[6:7]
	v_lshlrev_b64 v[8:9], 2, v[8:9]
	v_lshlrev_b64 v[10:11], 2, v[10:11]
	v_lshlrev_b64 v[12:13], 2, v[12:13]
	v_lshlrev_b64 v[14:15], 2, v[14:15]
	v_lshlrev_b64 v[16:17], 2, v[16:17]
	v_lshlrev_b64 v[18:19], 2, v[18:19]
	v_lshlrev_b64 v[20:21], 2, v[20:21]
	v_lshlrev_b64 v[22:23], 2, v[22:23]
	v_lshlrev_b64 v[24:25], 2, v[24:25]
	v_lshlrev_b64 v[26:27], 2, v[26:27]
	v_lshlrev_b64 v[28:29], 2, v[28:29]
	v_lshlrev_b64 v[30:31], 2, v[30:31]
	v_lshlrev_b64 v[32:33], 2, v[32:33]
	v_dual_mov_b32 v46, 0 :: v_dual_add_nc_u32 v55, 0x9800, v41
	v_dual_mov_b32 v48, 0 :: v_dual_add_nc_u32 v57, 0x8800, v41
	v_dual_mov_b32 v77, 0 :: v_dual_add_nc_u32 v60, 0x1100, v58
	v_dual_mov_b32 v78, 0 :: v_dual_add_nc_u32 v61, 0x2200, v58
	v_add_nc_u32_e32 v62, 0x3300, v58
	v_add_nc_u32_e32 v63, 0x4400, v58
	;; [unrolled: 1-line block ×12, first 2 shown]
	s_add_u32 s11, s40, 0x80
	v_lshlrev_b32_e32 v75, 2, v54
	v_mbcnt_lo_u32_b32 v76, -1, 0
	s_addc_u32 s12, s41, 0
	s_add_u32 s13, s40, 0xc0
	s_addc_u32 s20, s41, 0
.LBB59_8:                               ; =>This Inner Loop Header: Depth=1
	s_mul_hi_i32 s27, s16, s8
	s_mul_i32 s26, s16, s8
	s_delay_alu instid0(SALU_CYCLE_1) | instskip(NEXT) | instid1(SALU_CYCLE_1)
	s_lshl_b64 s[26:27], s[26:27], 2
	s_add_u32 s21, s4, s26
	s_addc_u32 s23, s5, s27
	v_add_co_u32 v0, vcc_lo, s21, v2
	v_add_co_ci_u32_e32 v1, vcc_lo, s23, v3, vcc_lo
	v_add_co_u32 v51, vcc_lo, s21, v4
	v_add_co_ci_u32_e32 v52, vcc_lo, s23, v5, vcc_lo
	s_delay_alu instid0(VALU_DEP_4) | instskip(NEXT) | instid1(VALU_DEP_4)
	v_add_co_u32 v0, vcc_lo, v0, v75
	v_add_co_ci_u32_e32 v1, vcc_lo, 0, v1, vcc_lo
	s_delay_alu instid0(VALU_DEP_4) | instskip(NEXT) | instid1(VALU_DEP_4)
	v_add_co_u32 v51, vcc_lo, v51, v75
	v_add_co_ci_u32_e32 v52, vcc_lo, 0, v52, vcc_lo
	s_clause 0x1
	global_load_b128 v[81:84], v[0:1], off
	global_load_b128 v[85:88], v[51:52], off
	v_add_co_u32 v0, vcc_lo, s21, v6
	v_add_co_ci_u32_e32 v1, vcc_lo, s23, v7, vcc_lo
	v_add_co_u32 v51, vcc_lo, s21, v8
	v_add_co_ci_u32_e32 v52, vcc_lo, s23, v9, vcc_lo
	s_delay_alu instid0(VALU_DEP_4) | instskip(NEXT) | instid1(VALU_DEP_4)
	v_add_co_u32 v0, vcc_lo, v0, v75
	v_add_co_ci_u32_e32 v1, vcc_lo, 0, v1, vcc_lo
	s_delay_alu instid0(VALU_DEP_4) | instskip(NEXT) | instid1(VALU_DEP_4)
	v_add_co_u32 v51, vcc_lo, v51, v75
	v_add_co_ci_u32_e32 v52, vcc_lo, 0, v52, vcc_lo
	v_add_co_u32 v89, vcc_lo, s21, v10
	v_add_co_ci_u32_e32 v90, vcc_lo, s23, v11, vcc_lo
	v_add_co_u32 v91, vcc_lo, s21, v12
	v_add_co_ci_u32_e32 v92, vcc_lo, s23, v13, vcc_lo
	s_delay_alu instid0(VALU_DEP_4) | instskip(NEXT) | instid1(VALU_DEP_4)
	v_add_co_u32 v97, vcc_lo, v89, v75
	v_add_co_ci_u32_e32 v98, vcc_lo, 0, v90, vcc_lo
	s_delay_alu instid0(VALU_DEP_4) | instskip(NEXT) | instid1(VALU_DEP_4)
	v_add_co_u32 v101, vcc_lo, v91, v75
	v_add_co_ci_u32_e32 v102, vcc_lo, 0, v92, vcc_lo
	;; [unrolled: 10-line block ×3, first 2 shown]
	s_clause 0x5
	global_load_b128 v[89:92], v[0:1], off
	global_load_b128 v[93:96], v[51:52], off
	;; [unrolled: 1-line block ×6, first 2 shown]
	v_dual_mov_b32 v51, 0 :: v_dual_mov_b32 v52, 0
	s_and_not1_b32 vcc_lo, exec_lo, s7
	s_waitcnt vmcnt(7)
	ds_store_b128 v58, v[81:84]
	s_waitcnt vmcnt(6)
	ds_store_b128 v60, v[85:88]
	;; [unrolled: 2-line block ×8, first 2 shown]
	s_waitcnt lgkmcnt(0)
	s_barrier
	buffer_gl0_inv
	ds_load_b128 v[87:90], v50
	ds_load_b128 v[91:94], v55
	ds_load_b128 v[95:98], v55 offset:256
	ds_load_b128 v[99:102], v50 offset:8704
	v_dual_mov_b32 v83, 0 :: v_dual_mov_b32 v84, 0
	ds_load_b128 v[103:106], v50 offset:17408
	ds_load_b128 v[107:110], v50 offset:26112
	s_waitcnt lgkmcnt(4)
	;;#ASMSTART
	v_dot2_f32_f16 v83, v87, v91, v83
	;;#ASMEND
	;;#ASMSTART
	v_dot2_f32_f16 v83, v88, v92, v83
	;;#ASMEND
	;;#ASMSTART
	v_dot2_f32_f16 v83, v89, v93, v83
	;;#ASMEND
	;;#ASMSTART
	v_dot2_f32_f16 v83, v90, v94, v83
	;;#ASMEND
	s_waitcnt lgkmcnt(3)
	;;#ASMSTART
	v_dot2_f32_f16 v51, v87, v95, v51
	;;#ASMEND
	;;#ASMSTART
	v_dot2_f32_f16 v51, v88, v96, v51
	;;#ASMEND
	;;#ASMSTART
	v_dot2_f32_f16 v51, v89, v97, v51
	;;#ASMEND
	;;#ASMSTART
	v_dot2_f32_f16 v51, v90, v98, v51
	;;#ASMEND
	;; [unrolled: 13-line block ×3, first 2 shown]
	;;#ASMSTART
	v_dot2_f32_f16 v52, v99, v95, v52
	;;#ASMEND
	;;#ASMSTART
	v_dot2_f32_f16 v52, v100, v96, v52
	;;#ASMEND
	v_dual_mov_b32 v86, 0 :: v_dual_mov_b32 v81, 0
	;;#ASMSTART
	v_dot2_f32_f16 v52, v101, v97, v52
	;;#ASMEND
	;;#ASMSTART
	v_dot2_f32_f16 v52, v102, v98, v52
	;;#ASMEND
	s_waitcnt lgkmcnt(1)
	;;#ASMSTART
	v_dot2_f32_f16 v86, v103, v91, v86
	;;#ASMEND
	;;#ASMSTART
	v_dot2_f32_f16 v86, v104, v92, v86
	;;#ASMEND
	;; [unrolled: 3-line block ×6, first 2 shown]
	v_dual_mov_b32 v85, 0 :: v_dual_mov_b32 v82, 0
	;;#ASMSTART
	v_dot2_f32_f16 v81, v105, v97, v81
	;;#ASMEND
	;;#ASMSTART
	v_dot2_f32_f16 v81, v106, v98, v81
	;;#ASMEND
	s_waitcnt lgkmcnt(0)
	;;#ASMSTART
	v_dot2_f32_f16 v85, v107, v91, v85
	;;#ASMEND
	;;#ASMSTART
	v_dot2_f32_f16 v85, v108, v92, v85
	;;#ASMEND
	;; [unrolled: 3-line block ×8, first 2 shown]
	ds_load_b128 v[87:90], v50 offset:16
	ds_load_b128 v[91:94], v55 offset:16
	;; [unrolled: 1-line block ×6, first 2 shown]
	s_waitcnt lgkmcnt(4)
	;;#ASMSTART
	v_dot2_f32_f16 v83, v87, v91, v83
	;;#ASMEND
	;;#ASMSTART
	v_dot2_f32_f16 v83, v88, v92, v83
	;;#ASMEND
	;;#ASMSTART
	v_dot2_f32_f16 v83, v89, v93, v83
	;;#ASMEND
	;;#ASMSTART
	v_dot2_f32_f16 v83, v90, v94, v83
	;;#ASMEND
	s_waitcnt lgkmcnt(3)
	;;#ASMSTART
	v_dot2_f32_f16 v51, v87, v95, v51
	;;#ASMEND
	;;#ASMSTART
	v_dot2_f32_f16 v51, v88, v96, v51
	;;#ASMEND
	;;#ASMSTART
	v_dot2_f32_f16 v51, v89, v97, v51
	;;#ASMEND
	;;#ASMSTART
	v_dot2_f32_f16 v51, v90, v98, v51
	;;#ASMEND
	;; [unrolled: 13-line block ×3, first 2 shown]
	;;#ASMSTART
	v_dot2_f32_f16 v52, v99, v95, v52
	;;#ASMEND
	;;#ASMSTART
	v_dot2_f32_f16 v52, v100, v96, v52
	;;#ASMEND
	;; [unrolled: 3-line block ×4, first 2 shown]
	s_waitcnt lgkmcnt(1)
	;;#ASMSTART
	v_dot2_f32_f16 v86, v103, v91, v86
	;;#ASMEND
	;;#ASMSTART
	v_dot2_f32_f16 v86, v104, v92, v86
	;;#ASMEND
	;; [unrolled: 3-line block ×8, first 2 shown]
	s_waitcnt lgkmcnt(0)
	;;#ASMSTART
	v_dot2_f32_f16 v85, v107, v91, v85
	;;#ASMEND
	;;#ASMSTART
	v_dot2_f32_f16 v85, v108, v92, v85
	;;#ASMEND
	;; [unrolled: 3-line block ×8, first 2 shown]
	ds_load_b128 v[87:90], v50 offset:32
	ds_load_b128 v[91:94], v55 offset:32
	;; [unrolled: 1-line block ×6, first 2 shown]
	s_waitcnt lgkmcnt(4)
	;;#ASMSTART
	v_dot2_f32_f16 v83, v87, v91, v83
	;;#ASMEND
	;;#ASMSTART
	v_dot2_f32_f16 v83, v88, v92, v83
	;;#ASMEND
	;;#ASMSTART
	v_dot2_f32_f16 v83, v89, v93, v83
	;;#ASMEND
	;;#ASMSTART
	v_dot2_f32_f16 v83, v90, v94, v83
	;;#ASMEND
	s_waitcnt lgkmcnt(3)
	;;#ASMSTART
	v_dot2_f32_f16 v51, v87, v95, v51
	;;#ASMEND
	;;#ASMSTART
	v_dot2_f32_f16 v51, v88, v96, v51
	;;#ASMEND
	;;#ASMSTART
	v_dot2_f32_f16 v51, v89, v97, v51
	;;#ASMEND
	;;#ASMSTART
	v_dot2_f32_f16 v51, v90, v98, v51
	;;#ASMEND
	;; [unrolled: 13-line block ×3, first 2 shown]
	;;#ASMSTART
	v_dot2_f32_f16 v52, v99, v95, v52
	;;#ASMEND
	;;#ASMSTART
	v_dot2_f32_f16 v52, v100, v96, v52
	;;#ASMEND
	;; [unrolled: 3-line block ×4, first 2 shown]
	s_waitcnt lgkmcnt(1)
	;;#ASMSTART
	v_dot2_f32_f16 v86, v103, v91, v86
	;;#ASMEND
	;;#ASMSTART
	v_dot2_f32_f16 v86, v104, v92, v86
	;;#ASMEND
	;; [unrolled: 3-line block ×8, first 2 shown]
	s_waitcnt lgkmcnt(0)
	;;#ASMSTART
	v_dot2_f32_f16 v85, v107, v91, v85
	;;#ASMEND
	;;#ASMSTART
	v_dot2_f32_f16 v85, v108, v92, v85
	;;#ASMEND
	;; [unrolled: 3-line block ×8, first 2 shown]
	ds_load_b128 v[87:90], v50 offset:48
	ds_load_b128 v[91:94], v55 offset:48
	;; [unrolled: 1-line block ×6, first 2 shown]
	s_waitcnt lgkmcnt(4)
	;;#ASMSTART
	v_dot2_f32_f16 v83, v87, v91, v83
	;;#ASMEND
	;;#ASMSTART
	v_dot2_f32_f16 v83, v88, v92, v83
	;;#ASMEND
	;;#ASMSTART
	v_dot2_f32_f16 v83, v89, v93, v83
	;;#ASMEND
	;;#ASMSTART
	v_dot2_f32_f16 v83, v90, v94, v83
	;;#ASMEND
	s_waitcnt lgkmcnt(3)
	;;#ASMSTART
	v_dot2_f32_f16 v51, v87, v95, v51
	;;#ASMEND
	;;#ASMSTART
	v_dot2_f32_f16 v51, v88, v96, v51
	;;#ASMEND
	;;#ASMSTART
	v_dot2_f32_f16 v51, v89, v97, v51
	;;#ASMEND
	;;#ASMSTART
	v_dot2_f32_f16 v51, v90, v98, v51
	;;#ASMEND
	;; [unrolled: 13-line block ×3, first 2 shown]
	;;#ASMSTART
	v_dot2_f32_f16 v52, v99, v95, v52
	;;#ASMEND
	;;#ASMSTART
	v_dot2_f32_f16 v52, v100, v96, v52
	;;#ASMEND
	;; [unrolled: 3-line block ×4, first 2 shown]
	s_waitcnt lgkmcnt(1)
	;;#ASMSTART
	v_dot2_f32_f16 v86, v103, v91, v86
	;;#ASMEND
	;;#ASMSTART
	v_dot2_f32_f16 v86, v104, v92, v86
	;;#ASMEND
	;; [unrolled: 3-line block ×8, first 2 shown]
	s_waitcnt lgkmcnt(0)
	;;#ASMSTART
	v_dot2_f32_f16 v85, v107, v91, v85
	;;#ASMEND
	;;#ASMSTART
	v_dot2_f32_f16 v85, v108, v92, v85
	;;#ASMEND
	;; [unrolled: 3-line block ×8, first 2 shown]
	ds_load_b128 v[87:90], v50 offset:64
	ds_load_b128 v[91:94], v55 offset:64
	;; [unrolled: 1-line block ×6, first 2 shown]
	s_waitcnt lgkmcnt(4)
	;;#ASMSTART
	v_dot2_f32_f16 v83, v87, v91, v83
	;;#ASMEND
	;;#ASMSTART
	v_dot2_f32_f16 v83, v88, v92, v83
	;;#ASMEND
	;;#ASMSTART
	v_dot2_f32_f16 v83, v89, v93, v83
	;;#ASMEND
	;;#ASMSTART
	v_dot2_f32_f16 v83, v90, v94, v83
	;;#ASMEND
	s_waitcnt lgkmcnt(3)
	;;#ASMSTART
	v_dot2_f32_f16 v51, v87, v95, v51
	;;#ASMEND
	;;#ASMSTART
	v_dot2_f32_f16 v51, v88, v96, v51
	;;#ASMEND
	;;#ASMSTART
	v_dot2_f32_f16 v51, v89, v97, v51
	;;#ASMEND
	;;#ASMSTART
	v_dot2_f32_f16 v51, v90, v98, v51
	;;#ASMEND
	;; [unrolled: 13-line block ×3, first 2 shown]
	;;#ASMSTART
	v_dot2_f32_f16 v52, v99, v95, v52
	;;#ASMEND
	;;#ASMSTART
	v_dot2_f32_f16 v52, v100, v96, v52
	;;#ASMEND
	;; [unrolled: 3-line block ×4, first 2 shown]
	s_waitcnt lgkmcnt(1)
	;;#ASMSTART
	v_dot2_f32_f16 v86, v103, v91, v86
	;;#ASMEND
	;;#ASMSTART
	v_dot2_f32_f16 v86, v104, v92, v86
	;;#ASMEND
	;; [unrolled: 3-line block ×8, first 2 shown]
	s_waitcnt lgkmcnt(0)
	;;#ASMSTART
	v_dot2_f32_f16 v85, v107, v91, v85
	;;#ASMEND
	;;#ASMSTART
	v_dot2_f32_f16 v85, v108, v92, v85
	;;#ASMEND
	;; [unrolled: 3-line block ×8, first 2 shown]
	ds_load_b128 v[87:90], v50 offset:80
	ds_load_b128 v[91:94], v55 offset:80
	;; [unrolled: 1-line block ×6, first 2 shown]
	s_waitcnt lgkmcnt(4)
	;;#ASMSTART
	v_dot2_f32_f16 v83, v87, v91, v83
	;;#ASMEND
	;;#ASMSTART
	v_dot2_f32_f16 v83, v88, v92, v83
	;;#ASMEND
	;;#ASMSTART
	v_dot2_f32_f16 v83, v89, v93, v83
	;;#ASMEND
	;;#ASMSTART
	v_dot2_f32_f16 v83, v90, v94, v83
	;;#ASMEND
	s_waitcnt lgkmcnt(3)
	;;#ASMSTART
	v_dot2_f32_f16 v51, v87, v95, v51
	;;#ASMEND
	;;#ASMSTART
	v_dot2_f32_f16 v51, v88, v96, v51
	;;#ASMEND
	;;#ASMSTART
	v_dot2_f32_f16 v51, v89, v97, v51
	;;#ASMEND
	;;#ASMSTART
	v_dot2_f32_f16 v51, v90, v98, v51
	;;#ASMEND
	s_waitcnt lgkmcnt(2)
	;;#ASMSTART
	v_dot2_f32_f16 v84, v99, v91, v84
	;;#ASMEND
	;;#ASMSTART
	v_dot2_f32_f16 v84, v100, v92, v84
	;;#ASMEND
	;;#ASMSTART
	v_dot2_f32_f16 v84, v101, v93, v84
	;;#ASMEND
	;;#ASMSTART
	v_dot2_f32_f16 v84, v102, v94, v84
	;;#ASMEND
	;;#ASMSTART
	v_dot2_f32_f16 v52, v99, v95, v52
	;;#ASMEND
	;;#ASMSTART
	v_dot2_f32_f16 v52, v100, v96, v52
	;;#ASMEND
	;; [unrolled: 3-line block ×4, first 2 shown]
	s_waitcnt lgkmcnt(1)
	;;#ASMSTART
	v_dot2_f32_f16 v86, v103, v91, v86
	;;#ASMEND
	;;#ASMSTART
	v_dot2_f32_f16 v86, v104, v92, v86
	;;#ASMEND
	;; [unrolled: 3-line block ×8, first 2 shown]
	s_waitcnt lgkmcnt(0)
	;;#ASMSTART
	v_dot2_f32_f16 v85, v107, v91, v85
	;;#ASMEND
	;;#ASMSTART
	v_dot2_f32_f16 v85, v108, v92, v85
	;;#ASMEND
	;; [unrolled: 3-line block ×8, first 2 shown]
	ds_load_b128 v[87:90], v50 offset:96
	ds_load_b128 v[91:94], v55 offset:96
	;; [unrolled: 1-line block ×6, first 2 shown]
	s_waitcnt lgkmcnt(4)
	;;#ASMSTART
	v_dot2_f32_f16 v83, v87, v91, v83
	;;#ASMEND
	;;#ASMSTART
	v_dot2_f32_f16 v83, v88, v92, v83
	;;#ASMEND
	;;#ASMSTART
	v_dot2_f32_f16 v83, v89, v93, v83
	;;#ASMEND
	;;#ASMSTART
	v_dot2_f32_f16 v83, v90, v94, v83
	;;#ASMEND
	s_waitcnt lgkmcnt(3)
	;;#ASMSTART
	v_dot2_f32_f16 v51, v87, v95, v51
	;;#ASMEND
	;;#ASMSTART
	v_dot2_f32_f16 v51, v88, v96, v51
	;;#ASMEND
	;;#ASMSTART
	v_dot2_f32_f16 v51, v89, v97, v51
	;;#ASMEND
	;;#ASMSTART
	v_dot2_f32_f16 v51, v90, v98, v51
	;;#ASMEND
	;; [unrolled: 13-line block ×3, first 2 shown]
	;;#ASMSTART
	v_dot2_f32_f16 v52, v99, v95, v52
	;;#ASMEND
	;;#ASMSTART
	v_dot2_f32_f16 v52, v100, v96, v52
	;;#ASMEND
	;; [unrolled: 3-line block ×4, first 2 shown]
	s_waitcnt lgkmcnt(1)
	;;#ASMSTART
	v_dot2_f32_f16 v86, v103, v91, v86
	;;#ASMEND
	;;#ASMSTART
	v_dot2_f32_f16 v86, v104, v92, v86
	;;#ASMEND
	;; [unrolled: 3-line block ×8, first 2 shown]
	s_waitcnt lgkmcnt(0)
	;;#ASMSTART
	v_dot2_f32_f16 v85, v107, v91, v85
	;;#ASMEND
	;;#ASMSTART
	v_dot2_f32_f16 v85, v108, v92, v85
	;;#ASMEND
	;; [unrolled: 3-line block ×8, first 2 shown]
	ds_load_b128 v[87:90], v50 offset:112
	ds_load_b128 v[91:94], v55 offset:112
	ds_load_b128 v[95:98], v55 offset:368
	ds_load_b128 v[99:102], v50 offset:8816
	ds_load_b128 v[103:106], v50 offset:17520
	ds_load_b128 v[107:110], v50 offset:26224
	s_waitcnt lgkmcnt(4)
	;;#ASMSTART
	v_dot2_f32_f16 v83, v87, v91, v83
	;;#ASMEND
	;;#ASMSTART
	v_dot2_f32_f16 v83, v88, v92, v83
	;;#ASMEND
	;;#ASMSTART
	v_dot2_f32_f16 v83, v89, v93, v83
	;;#ASMEND
	;;#ASMSTART
	v_dot2_f32_f16 v83, v90, v94, v83
	;;#ASMEND
	s_waitcnt lgkmcnt(3)
	;;#ASMSTART
	v_dot2_f32_f16 v51, v87, v95, v51
	;;#ASMEND
	;;#ASMSTART
	v_dot2_f32_f16 v51, v88, v96, v51
	;;#ASMEND
	;;#ASMSTART
	v_dot2_f32_f16 v51, v89, v97, v51
	;;#ASMEND
	;;#ASMSTART
	v_dot2_f32_f16 v51, v90, v98, v51
	;;#ASMEND
	;; [unrolled: 13-line block ×3, first 2 shown]
	;;#ASMSTART
	v_dot2_f32_f16 v52, v99, v95, v52
	;;#ASMEND
	;;#ASMSTART
	v_dot2_f32_f16 v52, v100, v96, v52
	;;#ASMEND
	;; [unrolled: 3-line block ×4, first 2 shown]
	s_waitcnt lgkmcnt(1)
	;;#ASMSTART
	v_dot2_f32_f16 v86, v103, v91, v86
	;;#ASMEND
	;;#ASMSTART
	v_dot2_f32_f16 v86, v104, v92, v86
	;;#ASMEND
	;; [unrolled: 3-line block ×8, first 2 shown]
	s_waitcnt lgkmcnt(0)
	;;#ASMSTART
	v_dot2_f32_f16 v85, v107, v91, v85
	;;#ASMEND
	;;#ASMSTART
	v_dot2_f32_f16 v85, v108, v92, v85
	;;#ASMEND
	;; [unrolled: 3-line block ×8, first 2 shown]
	ds_load_b128 v[87:90], v50 offset:128
	ds_load_b128 v[91:94], v55 offset:128
	;; [unrolled: 1-line block ×6, first 2 shown]
	s_waitcnt lgkmcnt(4)
	;;#ASMSTART
	v_dot2_f32_f16 v83, v87, v91, v83
	;;#ASMEND
	;;#ASMSTART
	v_dot2_f32_f16 v83, v88, v92, v83
	;;#ASMEND
	;;#ASMSTART
	v_dot2_f32_f16 v83, v89, v93, v83
	;;#ASMEND
	;;#ASMSTART
	v_dot2_f32_f16 v83, v90, v94, v83
	;;#ASMEND
	s_waitcnt lgkmcnt(3)
	;;#ASMSTART
	v_dot2_f32_f16 v51, v87, v95, v51
	;;#ASMEND
	;;#ASMSTART
	v_dot2_f32_f16 v51, v88, v96, v51
	;;#ASMEND
	;;#ASMSTART
	v_dot2_f32_f16 v51, v89, v97, v51
	;;#ASMEND
	;;#ASMSTART
	v_dot2_f32_f16 v51, v90, v98, v51
	;;#ASMEND
	;; [unrolled: 13-line block ×3, first 2 shown]
	;;#ASMSTART
	v_dot2_f32_f16 v52, v99, v95, v52
	;;#ASMEND
	;;#ASMSTART
	v_dot2_f32_f16 v52, v100, v96, v52
	;;#ASMEND
	;; [unrolled: 3-line block ×4, first 2 shown]
	s_waitcnt lgkmcnt(1)
	;;#ASMSTART
	v_dot2_f32_f16 v86, v103, v91, v86
	;;#ASMEND
	;;#ASMSTART
	v_dot2_f32_f16 v86, v104, v92, v86
	;;#ASMEND
	;; [unrolled: 3-line block ×8, first 2 shown]
	s_waitcnt lgkmcnt(0)
	;;#ASMSTART
	v_dot2_f32_f16 v85, v107, v91, v85
	;;#ASMEND
	;;#ASMSTART
	v_dot2_f32_f16 v85, v108, v92, v85
	;;#ASMEND
	;; [unrolled: 3-line block ×8, first 2 shown]
	ds_load_b128 v[87:90], v50 offset:144
	ds_load_b128 v[91:94], v55 offset:144
	;; [unrolled: 1-line block ×6, first 2 shown]
	s_waitcnt lgkmcnt(4)
	;;#ASMSTART
	v_dot2_f32_f16 v83, v87, v91, v83
	;;#ASMEND
	;;#ASMSTART
	v_dot2_f32_f16 v83, v88, v92, v83
	;;#ASMEND
	;;#ASMSTART
	v_dot2_f32_f16 v83, v89, v93, v83
	;;#ASMEND
	;;#ASMSTART
	v_dot2_f32_f16 v83, v90, v94, v83
	;;#ASMEND
	s_waitcnt lgkmcnt(3)
	;;#ASMSTART
	v_dot2_f32_f16 v51, v87, v95, v51
	;;#ASMEND
	;;#ASMSTART
	v_dot2_f32_f16 v51, v88, v96, v51
	;;#ASMEND
	;;#ASMSTART
	v_dot2_f32_f16 v51, v89, v97, v51
	;;#ASMEND
	;;#ASMSTART
	v_dot2_f32_f16 v51, v90, v98, v51
	;;#ASMEND
	;; [unrolled: 13-line block ×3, first 2 shown]
	;;#ASMSTART
	v_dot2_f32_f16 v52, v99, v95, v52
	;;#ASMEND
	;;#ASMSTART
	v_dot2_f32_f16 v52, v100, v96, v52
	;;#ASMEND
	;; [unrolled: 3-line block ×4, first 2 shown]
	s_waitcnt lgkmcnt(1)
	;;#ASMSTART
	v_dot2_f32_f16 v86, v103, v91, v86
	;;#ASMEND
	;;#ASMSTART
	v_dot2_f32_f16 v86, v104, v92, v86
	;;#ASMEND
	;;#ASMSTART
	v_dot2_f32_f16 v86, v105, v93, v86
	;;#ASMEND
	;;#ASMSTART
	v_dot2_f32_f16 v86, v106, v94, v86
	;;#ASMEND
	;;#ASMSTART
	v_dot2_f32_f16 v81, v103, v95, v81
	;;#ASMEND
	;;#ASMSTART
	v_dot2_f32_f16 v81, v104, v96, v81
	;;#ASMEND
	;;#ASMSTART
	v_dot2_f32_f16 v81, v105, v97, v81
	;;#ASMEND
	;;#ASMSTART
	v_dot2_f32_f16 v81, v106, v98, v81
	;;#ASMEND
	s_waitcnt lgkmcnt(0)
	;;#ASMSTART
	v_dot2_f32_f16 v85, v107, v91, v85
	;;#ASMEND
	;;#ASMSTART
	v_dot2_f32_f16 v85, v108, v92, v85
	;;#ASMEND
	;;#ASMSTART
	v_dot2_f32_f16 v85, v109, v93, v85
	;;#ASMEND
	;;#ASMSTART
	v_dot2_f32_f16 v85, v110, v94, v85
	;;#ASMEND
	;;#ASMSTART
	v_dot2_f32_f16 v82, v107, v95, v82
	;;#ASMEND
	;;#ASMSTART
	v_dot2_f32_f16 v82, v108, v96, v82
	;;#ASMEND
	;;#ASMSTART
	v_dot2_f32_f16 v82, v109, v97, v82
	;;#ASMEND
	;;#ASMSTART
	v_dot2_f32_f16 v82, v110, v98, v82
	;;#ASMEND
	ds_load_b128 v[87:90], v50 offset:160
	ds_load_b128 v[91:94], v55 offset:160
	;; [unrolled: 1-line block ×6, first 2 shown]
	s_waitcnt lgkmcnt(4)
	;;#ASMSTART
	v_dot2_f32_f16 v83, v87, v91, v83
	;;#ASMEND
	;;#ASMSTART
	v_dot2_f32_f16 v83, v88, v92, v83
	;;#ASMEND
	;;#ASMSTART
	v_dot2_f32_f16 v83, v89, v93, v83
	;;#ASMEND
	;;#ASMSTART
	v_dot2_f32_f16 v83, v90, v94, v83
	;;#ASMEND
	s_waitcnt lgkmcnt(3)
	;;#ASMSTART
	v_dot2_f32_f16 v51, v87, v95, v51
	;;#ASMEND
	;;#ASMSTART
	v_dot2_f32_f16 v51, v88, v96, v51
	;;#ASMEND
	;;#ASMSTART
	v_dot2_f32_f16 v51, v89, v97, v51
	;;#ASMEND
	;;#ASMSTART
	v_dot2_f32_f16 v51, v90, v98, v51
	;;#ASMEND
	;; [unrolled: 13-line block ×3, first 2 shown]
	;;#ASMSTART
	v_dot2_f32_f16 v52, v99, v95, v52
	;;#ASMEND
	;;#ASMSTART
	v_dot2_f32_f16 v52, v100, v96, v52
	;;#ASMEND
	;;#ASMSTART
	v_dot2_f32_f16 v52, v101, v97, v52
	;;#ASMEND
	;;#ASMSTART
	v_dot2_f32_f16 v52, v102, v98, v52
	;;#ASMEND
	s_waitcnt lgkmcnt(1)
	;;#ASMSTART
	v_dot2_f32_f16 v86, v103, v91, v86
	;;#ASMEND
	;;#ASMSTART
	v_dot2_f32_f16 v86, v104, v92, v86
	;;#ASMEND
	;; [unrolled: 3-line block ×8, first 2 shown]
	s_waitcnt lgkmcnt(0)
	;;#ASMSTART
	v_dot2_f32_f16 v85, v107, v91, v85
	;;#ASMEND
	;;#ASMSTART
	v_dot2_f32_f16 v85, v108, v92, v85
	;;#ASMEND
	;; [unrolled: 3-line block ×8, first 2 shown]
	ds_load_b128 v[87:90], v50 offset:176
	ds_load_b128 v[91:94], v55 offset:176
	;; [unrolled: 1-line block ×6, first 2 shown]
	s_waitcnt lgkmcnt(4)
	;;#ASMSTART
	v_dot2_f32_f16 v83, v87, v91, v83
	;;#ASMEND
	;;#ASMSTART
	v_dot2_f32_f16 v83, v88, v92, v83
	;;#ASMEND
	;;#ASMSTART
	v_dot2_f32_f16 v83, v89, v93, v83
	;;#ASMEND
	;;#ASMSTART
	v_dot2_f32_f16 v83, v90, v94, v83
	;;#ASMEND
	s_waitcnt lgkmcnt(3)
	;;#ASMSTART
	v_dot2_f32_f16 v51, v87, v95, v51
	;;#ASMEND
	;;#ASMSTART
	v_dot2_f32_f16 v51, v88, v96, v51
	;;#ASMEND
	;;#ASMSTART
	v_dot2_f32_f16 v51, v89, v97, v51
	;;#ASMEND
	;;#ASMSTART
	v_dot2_f32_f16 v51, v90, v98, v51
	;;#ASMEND
	;; [unrolled: 13-line block ×3, first 2 shown]
	;;#ASMSTART
	v_dot2_f32_f16 v52, v99, v95, v52
	;;#ASMEND
	;;#ASMSTART
	v_dot2_f32_f16 v52, v100, v96, v52
	;;#ASMEND
	;; [unrolled: 3-line block ×4, first 2 shown]
	s_waitcnt lgkmcnt(1)
	;;#ASMSTART
	v_dot2_f32_f16 v86, v103, v91, v86
	;;#ASMEND
	;;#ASMSTART
	v_dot2_f32_f16 v86, v104, v92, v86
	;;#ASMEND
	;; [unrolled: 3-line block ×8, first 2 shown]
	s_waitcnt lgkmcnt(0)
	;;#ASMSTART
	v_dot2_f32_f16 v85, v107, v91, v85
	;;#ASMEND
	;;#ASMSTART
	v_dot2_f32_f16 v85, v108, v92, v85
	;;#ASMEND
	;; [unrolled: 3-line block ×8, first 2 shown]
	ds_load_b128 v[87:90], v50 offset:192
	ds_load_b128 v[91:94], v55 offset:192
	;; [unrolled: 1-line block ×6, first 2 shown]
	s_waitcnt lgkmcnt(4)
	;;#ASMSTART
	v_dot2_f32_f16 v83, v87, v91, v83
	;;#ASMEND
	;;#ASMSTART
	v_dot2_f32_f16 v83, v88, v92, v83
	;;#ASMEND
	;;#ASMSTART
	v_dot2_f32_f16 v83, v89, v93, v83
	;;#ASMEND
	;;#ASMSTART
	v_dot2_f32_f16 v83, v90, v94, v83
	;;#ASMEND
	s_waitcnt lgkmcnt(3)
	;;#ASMSTART
	v_dot2_f32_f16 v51, v87, v95, v51
	;;#ASMEND
	;;#ASMSTART
	v_dot2_f32_f16 v51, v88, v96, v51
	;;#ASMEND
	;;#ASMSTART
	v_dot2_f32_f16 v51, v89, v97, v51
	;;#ASMEND
	;;#ASMSTART
	v_dot2_f32_f16 v51, v90, v98, v51
	;;#ASMEND
	;; [unrolled: 13-line block ×3, first 2 shown]
	;;#ASMSTART
	v_dot2_f32_f16 v52, v99, v95, v52
	;;#ASMEND
	;;#ASMSTART
	v_dot2_f32_f16 v52, v100, v96, v52
	;;#ASMEND
	;; [unrolled: 3-line block ×4, first 2 shown]
	s_waitcnt lgkmcnt(1)
	;;#ASMSTART
	v_dot2_f32_f16 v86, v103, v91, v86
	;;#ASMEND
	;;#ASMSTART
	v_dot2_f32_f16 v86, v104, v92, v86
	;;#ASMEND
	;; [unrolled: 3-line block ×8, first 2 shown]
	s_waitcnt lgkmcnt(0)
	;;#ASMSTART
	v_dot2_f32_f16 v85, v107, v91, v85
	;;#ASMEND
	;;#ASMSTART
	v_dot2_f32_f16 v85, v108, v92, v85
	;;#ASMEND
	;; [unrolled: 3-line block ×8, first 2 shown]
	ds_load_b128 v[87:90], v50 offset:208
	ds_load_b128 v[91:94], v55 offset:208
	;; [unrolled: 1-line block ×6, first 2 shown]
	s_waitcnt lgkmcnt(4)
	;;#ASMSTART
	v_dot2_f32_f16 v83, v87, v91, v83
	;;#ASMEND
	;;#ASMSTART
	v_dot2_f32_f16 v83, v88, v92, v83
	;;#ASMEND
	;;#ASMSTART
	v_dot2_f32_f16 v83, v89, v93, v83
	;;#ASMEND
	;;#ASMSTART
	v_dot2_f32_f16 v83, v90, v94, v83
	;;#ASMEND
	s_waitcnt lgkmcnt(3)
	;;#ASMSTART
	v_dot2_f32_f16 v51, v87, v95, v51
	;;#ASMEND
	;;#ASMSTART
	v_dot2_f32_f16 v51, v88, v96, v51
	;;#ASMEND
	;;#ASMSTART
	v_dot2_f32_f16 v51, v89, v97, v51
	;;#ASMEND
	;;#ASMSTART
	v_dot2_f32_f16 v51, v90, v98, v51
	;;#ASMEND
	;; [unrolled: 13-line block ×3, first 2 shown]
	;;#ASMSTART
	v_dot2_f32_f16 v52, v99, v95, v52
	;;#ASMEND
	;;#ASMSTART
	v_dot2_f32_f16 v52, v100, v96, v52
	;;#ASMEND
	;; [unrolled: 3-line block ×4, first 2 shown]
	s_waitcnt lgkmcnt(1)
	;;#ASMSTART
	v_dot2_f32_f16 v86, v103, v91, v86
	;;#ASMEND
	;;#ASMSTART
	v_dot2_f32_f16 v86, v104, v92, v86
	;;#ASMEND
	;; [unrolled: 3-line block ×8, first 2 shown]
	s_waitcnt lgkmcnt(0)
	;;#ASMSTART
	v_dot2_f32_f16 v85, v107, v91, v85
	;;#ASMEND
	;;#ASMSTART
	v_dot2_f32_f16 v85, v108, v92, v85
	;;#ASMEND
	;; [unrolled: 3-line block ×8, first 2 shown]
	ds_load_b128 v[87:90], v50 offset:224
	ds_load_b128 v[91:94], v55 offset:224
	;; [unrolled: 1-line block ×6, first 2 shown]
	s_waitcnt lgkmcnt(4)
	;;#ASMSTART
	v_dot2_f32_f16 v83, v87, v91, v83
	;;#ASMEND
	;;#ASMSTART
	v_dot2_f32_f16 v83, v88, v92, v83
	;;#ASMEND
	;;#ASMSTART
	v_dot2_f32_f16 v83, v89, v93, v83
	;;#ASMEND
	;;#ASMSTART
	v_dot2_f32_f16 v83, v90, v94, v83
	;;#ASMEND
	s_waitcnt lgkmcnt(3)
	;;#ASMSTART
	v_dot2_f32_f16 v51, v87, v95, v51
	;;#ASMEND
	;;#ASMSTART
	v_dot2_f32_f16 v51, v88, v96, v51
	;;#ASMEND
	;;#ASMSTART
	v_dot2_f32_f16 v51, v89, v97, v51
	;;#ASMEND
	;;#ASMSTART
	v_dot2_f32_f16 v51, v90, v98, v51
	;;#ASMEND
	;; [unrolled: 13-line block ×3, first 2 shown]
	;;#ASMSTART
	v_dot2_f32_f16 v52, v99, v95, v52
	;;#ASMEND
	;;#ASMSTART
	v_dot2_f32_f16 v52, v100, v96, v52
	;;#ASMEND
	;; [unrolled: 3-line block ×4, first 2 shown]
	s_waitcnt lgkmcnt(1)
	;;#ASMSTART
	v_dot2_f32_f16 v86, v103, v91, v86
	;;#ASMEND
	;;#ASMSTART
	v_dot2_f32_f16 v86, v104, v92, v86
	;;#ASMEND
	;; [unrolled: 3-line block ×8, first 2 shown]
	s_waitcnt lgkmcnt(0)
	;;#ASMSTART
	v_dot2_f32_f16 v85, v107, v91, v85
	;;#ASMEND
	;;#ASMSTART
	v_dot2_f32_f16 v85, v108, v92, v85
	;;#ASMEND
	;; [unrolled: 3-line block ×8, first 2 shown]
	ds_load_b128 v[89:92], v50 offset:240
	ds_load_b128 v[96:99], v55 offset:240
	ds_load_b128 v[100:103], v55 offset:496
	ds_load_b128 v[104:107], v50 offset:8944
	ds_load_b128 v[108:111], v50 offset:17648
	ds_load_b128 v[112:115], v50 offset:26352
	s_waitcnt lgkmcnt(4)
	;;#ASMSTART
	v_dot2_f32_f16 v83, v89, v96, v83
	;;#ASMEND
	;;#ASMSTART
	v_dot2_f32_f16 v83, v90, v97, v83
	;;#ASMEND
	;; [unrolled: 3-line block ×4, first 2 shown]
	s_waitcnt lgkmcnt(3)
	;;#ASMSTART
	v_dot2_f32_f16 v51, v89, v100, v51
	;;#ASMEND
	;;#ASMSTART
	v_dot2_f32_f16 v51, v90, v101, v51
	;;#ASMEND
	;; [unrolled: 3-line block ×4, first 2 shown]
	s_waitcnt lgkmcnt(2)
	;;#ASMSTART
	v_dot2_f32_f16 v84, v104, v96, v84
	;;#ASMEND
	;;#ASMSTART
	v_dot2_f32_f16 v84, v105, v97, v84
	;;#ASMEND
	;; [unrolled: 3-line block ×3, first 2 shown]
	v_dual_mov_b32 v88, 0 :: v_dual_add_nc_u32 v95, s16, v38
	;;#ASMSTART
	v_dot2_f32_f16 v84, v107, v99, v84
	;;#ASMEND
	;;#ASMSTART
	v_dot2_f32_f16 v52, v104, v100, v52
	;;#ASMEND
	;;#ASMSTART
	v_dot2_f32_f16 v52, v105, v101, v52
	;;#ASMEND
	;;#ASMSTART
	v_dot2_f32_f16 v52, v106, v102, v52
	;;#ASMEND
	;;#ASMSTART
	v_dot2_f32_f16 v52, v107, v103, v52
	;;#ASMEND
	s_waitcnt lgkmcnt(1)
	;;#ASMSTART
	v_dot2_f32_f16 v86, v108, v96, v86
	;;#ASMEND
	;;#ASMSTART
	v_dot2_f32_f16 v86, v109, v97, v86
	;;#ASMEND
	v_add_nc_u32_e32 v0, v95, v56
	;;#ASMSTART
	v_dot2_f32_f16 v86, v110, v98, v86
	;;#ASMEND
	;;#ASMSTART
	v_dot2_f32_f16 v86, v111, v99, v86
	;;#ASMEND
	;; [unrolled: 3-line block ×6, first 2 shown]
	s_waitcnt lgkmcnt(0)
	;;#ASMSTART
	v_dot2_f32_f16 v85, v112, v96, v85
	;;#ASMEND
	v_ashrrev_i32_e32 v1, 31, v0
	;;#ASMSTART
	v_dot2_f32_f16 v85, v113, v97, v85
	;;#ASMEND
	;;#ASMSTART
	v_dot2_f32_f16 v85, v114, v98, v85
	;;#ASMEND
	;;#ASMSTART
	v_dot2_f32_f16 v85, v115, v99, v85
	;;#ASMEND
	;;#ASMSTART
	v_dot2_f32_f16 v82, v112, v100, v82
	;;#ASMEND
	;;#ASMSTART
	v_dot2_f32_f16 v82, v113, v101, v82
	;;#ASMEND
	;;#ASMSTART
	v_dot2_f32_f16 v82, v114, v102, v82
	;;#ASMEND
	;;#ASMSTART
	v_dot2_f32_f16 v82, v115, v103, v82
	;;#ASMEND
	s_cbranch_vccnz .LBB59_10
; %bb.9:                                ;   in Loop: Header=BB59_8 Depth=1
	v_lshlrev_b64 v[87:88], 1, v[0:1]
	s_delay_alu instid0(VALU_DEP_1) | instskip(NEXT) | instid1(VALU_DEP_2)
	v_add_co_u32 v87, vcc_lo, s40, v87
	v_add_co_ci_u32_e32 v88, vcc_lo, s41, v88, vcc_lo
	flat_load_u16 v87, v[87:88]
	s_waitcnt vmcnt(0) lgkmcnt(0)
	v_cvt_f32_f16_e32 v87, v87
	s_delay_alu instid0(VALU_DEP_1)
	v_mul_f32_e32 v88, v43, v87
.LBB59_10:                              ;   in Loop: Header=BB59_8 Depth=1
	v_dual_mov_b32 v89, 0 :: v_dual_mov_b32 v90, 0
	s_and_not1_b32 vcc_lo, exec_lo, s7
	s_cbranch_vccnz .LBB59_12
; %bb.11:                               ;   in Loop: Header=BB59_8 Depth=1
	v_lshlrev_b64 v[90:91], 1, v[0:1]
	s_delay_alu instid0(VALU_DEP_1) | instskip(NEXT) | instid1(VALU_DEP_2)
	v_add_co_u32 v90, vcc_lo, s9, v90
	v_add_co_ci_u32_e32 v91, vcc_lo, s10, v91, vcc_lo
	flat_load_u16 v87, v[90:91]
	s_waitcnt vmcnt(0) lgkmcnt(0)
	v_cvt_f32_f16_e32 v87, v87
	s_delay_alu instid0(VALU_DEP_1)
	v_mul_f32_e32 v90, v43, v87
.LBB59_12:                              ;   in Loop: Header=BB59_8 Depth=1
	s_and_not1_b32 vcc_lo, exec_lo, s7
	s_cbranch_vccnz .LBB59_14
; %bb.13:                               ;   in Loop: Header=BB59_8 Depth=1
	v_lshlrev_b64 v[91:92], 1, v[0:1]
	s_delay_alu instid0(VALU_DEP_1) | instskip(NEXT) | instid1(VALU_DEP_2)
	v_add_co_u32 v91, vcc_lo, s11, v91
	v_add_co_ci_u32_e32 v92, vcc_lo, s12, v92, vcc_lo
	flat_load_u16 v87, v[91:92]
	s_waitcnt vmcnt(0) lgkmcnt(0)
	v_cvt_f32_f16_e32 v87, v87
	s_delay_alu instid0(VALU_DEP_1)
	v_mul_f32_e32 v89, v43, v87
.LBB59_14:                              ;   in Loop: Header=BB59_8 Depth=1
	v_mov_b32_e32 v87, 0
	v_mov_b32_e32 v91, 0
	s_and_not1_b32 vcc_lo, exec_lo, s7
	s_cbranch_vccnz .LBB59_16
; %bb.15:                               ;   in Loop: Header=BB59_8 Depth=1
	v_lshlrev_b64 v[0:1], 1, v[0:1]
	s_delay_alu instid0(VALU_DEP_1) | instskip(NEXT) | instid1(VALU_DEP_2)
	v_add_co_u32 v0, vcc_lo, s13, v0
	v_add_co_ci_u32_e32 v1, vcc_lo, s20, v1, vcc_lo
	flat_load_u16 v0, v[0:1]
	s_waitcnt vmcnt(0) lgkmcnt(0)
	v_cvt_f32_f16_e32 v0, v0
	s_delay_alu instid0(VALU_DEP_1)
	v_mul_f32_e32 v91, v43, v0
.LBB59_16:                              ;   in Loop: Header=BB59_8 Depth=1
	v_dual_add_f32 v83, v83, v88 :: v_dual_add_f32 v84, v84, v90
	v_xor_b32_e32 v0, 16, v76
	v_add_f32_e32 v86, v86, v89
	s_delay_alu instid0(VALU_DEP_4) | instskip(NEXT) | instid1(VALU_DEP_4)
	v_add_f32_e32 v88, v85, v91
	v_add_f32_e32 v1, 0x40051340, v83
	;; [unrolled: 1-line block ×3, first 2 shown]
	v_cmp_gt_i32_e32 vcc_lo, 32, v0
	v_add_f32_e32 v85, 0x40051340, v86
	s_delay_alu instid0(VALU_DEP_3) | instskip(SKIP_2) | instid1(VALU_DEP_2)
	v_max3_f32 v1, v80, v1, v89
	v_cndmask_b32_e32 v0, v76, v0, vcc_lo
	v_add_f32_e32 v89, 0x40051340, v88
	v_lshlrev_b32_e32 v90, 2, v0
	s_delay_alu instid0(VALU_DEP_2) | instskip(SKIP_1) | instid1(VALU_DEP_1)
	v_max3_f32 v0, v1, v85, v89
	v_xor_b32_e32 v85, 8, v76
	v_cmp_gt_i32_e32 vcc_lo, 32, v85
	v_cndmask_b32_e32 v85, v76, v85, vcc_lo
	ds_bpermute_b32 v1, v90, v0
	v_lshlrev_b32_e32 v91, 2, v85
	v_xor_b32_e32 v85, 4, v76
	s_delay_alu instid0(VALU_DEP_1) | instskip(SKIP_3) | instid1(VALU_DEP_2)
	v_cmp_gt_i32_e32 vcc_lo, 32, v85
	v_cndmask_b32_e32 v85, v76, v85, vcc_lo
	s_waitcnt lgkmcnt(0)
	v_max_f32_e32 v1, v1, v1
	v_lshlrev_b32_e32 v92, 2, v85
	v_xor_b32_e32 v85, 2, v76
	s_delay_alu instid0(VALU_DEP_3) | instskip(NEXT) | instid1(VALU_DEP_2)
	v_max_f32_e32 v0, v0, v1
	v_cmp_gt_i32_e32 vcc_lo, 32, v85
	ds_bpermute_b32 v1, v91, v0
	v_cndmask_b32_e32 v85, v76, v85, vcc_lo
	s_delay_alu instid0(VALU_DEP_1) | instskip(SKIP_1) | instid1(VALU_DEP_1)
	v_lshlrev_b32_e32 v89, 2, v85
	v_xor_b32_e32 v85, 1, v76
	v_cmp_gt_i32_e32 vcc_lo, 32, v85
	v_cndmask_b32_e32 v85, v76, v85, vcc_lo
	s_and_not1_b32 vcc_lo, exec_lo, s7
	s_waitcnt lgkmcnt(0)
	v_max_f32_e32 v1, v1, v1
	s_delay_alu instid0(VALU_DEP_2) | instskip(NEXT) | instid1(VALU_DEP_2)
	v_lshlrev_b32_e32 v85, 2, v85
	v_max_f32_e32 v0, v0, v1
	ds_bpermute_b32 v1, v92, v0
	s_waitcnt lgkmcnt(0)
	v_max_f32_e32 v1, v1, v1
	s_delay_alu instid0(VALU_DEP_1) | instskip(SKIP_3) | instid1(VALU_DEP_1)
	v_max_f32_e32 v0, v0, v1
	ds_bpermute_b32 v1, v89, v0
	s_waitcnt lgkmcnt(0)
	v_max_f32_e32 v1, v1, v1
	v_dual_max_f32 v93, v0, v1 :: v_dual_add_nc_u32 v0, v95, v68
	ds_bpermute_b32 v94, v85, v93
	v_ashrrev_i32_e32 v1, 31, v0
	s_cbranch_vccnz .LBB59_18
; %bb.17:                               ;   in Loop: Header=BB59_8 Depth=1
	s_delay_alu instid0(VALU_DEP_1) | instskip(NEXT) | instid1(VALU_DEP_1)
	v_lshlrev_b64 v[95:96], 1, v[0:1]
	v_add_co_u32 v95, vcc_lo, s40, v95
	s_delay_alu instid0(VALU_DEP_2) | instskip(SKIP_3) | instid1(VALU_DEP_1)
	v_add_co_ci_u32_e32 v96, vcc_lo, s41, v96, vcc_lo
	flat_load_u16 v87, v[95:96]
	s_waitcnt vmcnt(0) lgkmcnt(0)
	v_cvt_f32_f16_e32 v87, v87
	v_mul_f32_e32 v87, v43, v87
.LBB59_18:                              ;   in Loop: Header=BB59_8 Depth=1
	v_dual_mov_b32 v95, 0 :: v_dual_mov_b32 v96, 0
	s_and_not1_b32 vcc_lo, exec_lo, s7
	s_cbranch_vccnz .LBB59_20
; %bb.19:                               ;   in Loop: Header=BB59_8 Depth=1
	v_lshlrev_b64 v[96:97], 1, v[0:1]
	s_delay_alu instid0(VALU_DEP_1) | instskip(NEXT) | instid1(VALU_DEP_2)
	v_add_co_u32 v96, vcc_lo, s9, v96
	v_add_co_ci_u32_e32 v97, vcc_lo, s10, v97, vcc_lo
	flat_load_u16 v96, v[96:97]
	s_waitcnt vmcnt(0) lgkmcnt(0)
	v_cvt_f32_f16_e32 v96, v96
	s_delay_alu instid0(VALU_DEP_1)
	v_mul_f32_e32 v96, v43, v96
.LBB59_20:                              ;   in Loop: Header=BB59_8 Depth=1
	s_and_not1_b32 vcc_lo, exec_lo, s7
	s_cbranch_vccnz .LBB59_22
; %bb.21:                               ;   in Loop: Header=BB59_8 Depth=1
	v_lshlrev_b64 v[97:98], 1, v[0:1]
	s_delay_alu instid0(VALU_DEP_1) | instskip(NEXT) | instid1(VALU_DEP_2)
	v_add_co_u32 v97, vcc_lo, s11, v97
	v_add_co_ci_u32_e32 v98, vcc_lo, s12, v98, vcc_lo
	flat_load_u16 v95, v[97:98]
	s_waitcnt vmcnt(0) lgkmcnt(0)
	v_cvt_f32_f16_e32 v95, v95
	s_delay_alu instid0(VALU_DEP_1)
	v_mul_f32_e32 v95, v43, v95
.LBB59_22:                              ;   in Loop: Header=BB59_8 Depth=1
	s_and_not1_b32 vcc_lo, exec_lo, s7
	s_cbranch_vccnz .LBB59_24
; %bb.23:                               ;   in Loop: Header=BB59_8 Depth=1
	v_lshlrev_b64 v[0:1], 1, v[0:1]
	s_delay_alu instid0(VALU_DEP_1) | instskip(NEXT) | instid1(VALU_DEP_2)
	v_add_co_u32 v0, vcc_lo, s13, v0
	v_add_co_ci_u32_e32 v1, vcc_lo, s20, v1, vcc_lo
	flat_load_u16 v0, v[0:1]
	s_waitcnt vmcnt(0) lgkmcnt(0)
	v_cvt_f32_f16_e32 v0, v0
	s_delay_alu instid0(VALU_DEP_1)
	v_mul_f32_e32 v0, v43, v0
	s_branch .LBB59_25
.LBB59_24:                              ;   in Loop: Header=BB59_8 Depth=1
	v_mov_b32_e32 v0, 0
.LBB59_25:                              ;   in Loop: Header=BB59_8 Depth=1
	s_mul_hi_i32 s27, s16, s22
	s_mul_i32 s26, s16, s22
	s_waitcnt lgkmcnt(0)
	s_lshl_b64 s[26:27], s[26:27], 2
	s_barrier
	s_add_u32 s21, s19, s26
	s_addc_u32 s23, s18, s27
	v_add_co_u32 v1, vcc_lo, s21, v18
	v_add_co_ci_u32_e32 v98, vcc_lo, s23, v19, vcc_lo
	v_add_co_u32 v99, vcc_lo, s21, v20
	v_add_co_ci_u32_e32 v100, vcc_lo, s23, v21, vcc_lo
	s_delay_alu instid0(VALU_DEP_4) | instskip(NEXT) | instid1(VALU_DEP_4)
	v_add_co_u32 v97, vcc_lo, v1, v75
	v_add_co_ci_u32_e32 v98, vcc_lo, 0, v98, vcc_lo
	s_delay_alu instid0(VALU_DEP_4) | instskip(NEXT) | instid1(VALU_DEP_4)
	v_add_co_u32 v101, vcc_lo, v99, v75
	v_add_co_ci_u32_e32 v102, vcc_lo, 0, v100, vcc_lo
	v_add_co_u32 v1, vcc_lo, s21, v22
	v_add_co_ci_u32_e32 v106, vcc_lo, s23, v23, vcc_lo
	v_add_co_u32 v107, vcc_lo, s21, v24
	v_add_co_ci_u32_e32 v108, vcc_lo, s23, v25, vcc_lo
	s_delay_alu instid0(VALU_DEP_4) | instskip(NEXT) | instid1(VALU_DEP_4)
	v_add_co_u32 v105, vcc_lo, v1, v75
	v_add_co_ci_u32_e32 v106, vcc_lo, 0, v106, vcc_lo
	s_delay_alu instid0(VALU_DEP_4) | instskip(NEXT) | instid1(VALU_DEP_4)
	v_add_co_u32 v109, vcc_lo, v107, v75
	v_add_co_ci_u32_e32 v110, vcc_lo, 0, v108, vcc_lo
	;; [unrolled: 10-line block ×4, first 2 shown]
	buffer_gl0_inv
	s_clause 0x7
	global_load_b128 v[97:100], v[97:98], off
	global_load_b128 v[101:104], v[101:102], off
	;; [unrolled: 1-line block ×8, first 2 shown]
	v_dual_add_f32 v87, v51, v87 :: v_dual_add_f32 v52, v52, v96
	v_dual_add_f32 v95, v81, v95 :: v_dual_add_f32 v96, v82, v0
	s_delay_alu instid0(VALU_DEP_2) | instskip(NEXT) | instid1(VALU_DEP_2)
	v_dual_add_f32 v0, 0x40051340, v87 :: v_dual_add_f32 v1, 0x40051340, v52
	v_add_f32_e32 v51, 0x40051340, v95
	s_delay_alu instid0(VALU_DEP_3) | instskip(NEXT) | instid1(VALU_DEP_3)
	v_add_f32_e32 v81, 0x40051340, v96
	v_max3_f32 v0, v79, v0, v1
	s_delay_alu instid0(VALU_DEP_1) | instskip(SKIP_4) | instid1(VALU_DEP_1)
	v_max3_f32 v0, v0, v51, v81
	v_max_f32_e32 v81, v93, v93
	ds_bpermute_b32 v1, v90, v0
	s_waitcnt lgkmcnt(0)
	v_max_f32_e32 v1, v1, v1
	v_max_f32_e32 v0, v0, v1
	ds_bpermute_b32 v1, v91, v0
	s_waitcnt lgkmcnt(0)
	v_max_f32_e32 v1, v1, v1
	s_delay_alu instid0(VALU_DEP_1) | instskip(NEXT) | instid1(VALU_DEP_1)
	v_dual_max_f32 v1, v0, v1 :: v_dual_max_f32 v0, v94, v94
	v_max_f32_e32 v0, v81, v0
	ds_bpermute_b32 v51, v92, v1
	v_dual_sub_f32 v81, v84, v0 :: v_dual_add_nc_u32 v90, v57, v37
	v_sub_f32_e32 v83, v83, v0
	v_sub_f32_e32 v84, v88, v0
	s_delay_alu instid0(VALU_DEP_3) | instskip(SKIP_1) | instid1(VALU_DEP_2)
	v_mul_f32_e32 v82, 0x3fb8aa3b, v81
	v_cmp_ngt_f32_e32 vcc_lo, 0xc2ce8ed0, v81
	v_fma_f32 v93, 0x3fb8aa3b, v81, -v82
	s_waitcnt lgkmcnt(0)
	v_max_f32_e32 v51, v51, v51
	s_delay_alu instid0(VALU_DEP_1) | instskip(SKIP_4) | instid1(VALU_DEP_4)
	v_max_f32_e32 v1, v1, v51
	v_rndne_f32_e32 v51, v82
	v_sub_f32_e32 v129, v80, v0
	v_sub_f32_e32 v80, v86, v0
	v_mul_f32_e32 v86, 0x3fb8aa3b, v83
	v_dual_sub_f32 v82, v82, v51 :: v_dual_mul_f32 v91, 0x3fb8aa3b, v84
	s_delay_alu instid0(VALU_DEP_4) | instskip(NEXT) | instid1(VALU_DEP_3)
	v_mul_f32_e32 v92, 0x3fb8aa3b, v129
	v_rndne_f32_e32 v130, v86
	v_mul_f32_e32 v88, 0x3fb8aa3b, v80
	v_fma_f32 v94, 0x3fb8aa3b, v83, -v86
	v_fmac_f32_e32 v93, 0x32a5705f, v81
	v_fma_f32 v133, 0x3fb8aa3b, v84, -v91
	v_sub_f32_e32 v86, v86, v130
	ds_bpermute_b32 v89, v89, v1
	v_fmac_f32_e32 v94, 0x32a5705f, v83
	v_fma_f32 v131, 0x3fb8aa3b, v80, -v88
	v_rndne_f32_e32 v132, v88
	v_rndne_f32_e32 v134, v91
	v_dual_add_f32 v82, v82, v93 :: v_dual_fmac_f32 v133, 0x32a5705f, v84
	s_delay_alu instid0(VALU_DEP_4) | instskip(NEXT) | instid1(VALU_DEP_3)
	v_dual_add_f32 v86, v86, v94 :: v_dual_fmac_f32 v131, 0x32a5705f, v80
	v_dual_sub_f32 v88, v88, v132 :: v_dual_sub_f32 v91, v91, v134
	s_delay_alu instid0(VALU_DEP_3)
	v_exp_f32_e32 v82, v82
	v_fma_f32 v135, 0x3fb8aa3b, v129, -v92
	v_rndne_f32_e32 v136, v92
	v_cvt_i32_f32_e32 v51, v51
	v_dual_add_f32 v88, v88, v131 :: v_dual_add_f32 v91, v91, v133
	v_exp_f32_e32 v86, v86
	v_cvt_i32_f32_e32 v130, v130
	v_dual_fmac_f32 v135, 0x32a5705f, v129 :: v_dual_sub_f32 v92, v92, v136
	s_waitcnt lgkmcnt(0)
	v_max_f32_e32 v89, v89, v89
	v_exp_f32_e32 v88, v88
	v_ldexp_f32 v51, v82, v51
	v_cvt_i32_f32_e32 v93, v134
	v_cvt_i32_f32_e32 v94, v136
	v_max_f32_e32 v1, v1, v89
	v_exp_f32_e32 v89, v91
	v_add_f32_e32 v91, v92, v135
	v_cvt_i32_f32_e32 v92, v132
	v_ldexp_f32 v82, v86, v130
	v_cndmask_b32_e32 v51, 0, v51, vcc_lo
	v_cmp_ngt_f32_e32 vcc_lo, 0xc2ce8ed0, v83
	s_delay_alu instid0(VALU_DEP_4) | instskip(NEXT) | instid1(TRANS32_DEP_1)
	v_ldexp_f32 v86, v88, v92
	v_ldexp_f32 v88, v89, v93
	v_cndmask_b32_e32 v89, 0, v82, vcc_lo
	v_cmp_ngt_f32_e32 vcc_lo, 0xc2ce8ed0, v80
	s_delay_alu instid0(VALU_DEP_4)
	v_cndmask_b32_e32 v86, 0, v86, vcc_lo
	v_cmp_ngt_f32_e32 vcc_lo, 0xc2ce8ed0, v84
	v_cndmask_b32_e32 v88, 0, v88, vcc_lo
	ds_bpermute_b32 v85, v85, v1
	v_cmp_nlt_f32_e32 vcc_lo, 0x42b17218, v81
	v_cndmask_b32_e32 v82, 0x7f800000, v51, vcc_lo
	v_cmp_nlt_f32_e32 vcc_lo, 0x42b17218, v80
	s_waitcnt lgkmcnt(0)
	v_max_f32_e32 v80, v85, v85
	v_exp_f32_e32 v91, v91
	s_delay_alu instid0(VALU_DEP_1) | instskip(SKIP_3) | instid1(VALU_DEP_4)
	v_max_f32_e32 v1, v1, v80
	v_cndmask_b32_e32 v81, 0x7f800000, v86, vcc_lo
	v_cmp_nlt_f32_e32 vcc_lo, 0x42b17218, v84
	v_cvt_f16_f32_e32 v80, v82
	v_sub_f32_e32 v92, v96, v1
	v_sub_f32_e32 v84, v87, v1
	;; [unrolled: 1-line block ×5, first 2 shown]
	v_mul_f32_e32 v96, 0x3fb8aa3b, v92
	v_mul_f32_e32 v79, 0x3fb8aa3b, v84
	v_cvt_f16_f32_e32 v86, v81
	v_mul_f32_e32 v130, 0x3fb8aa3b, v95
	s_delay_alu instid0(VALU_DEP_4) | instskip(NEXT) | instid1(VALU_DEP_4)
	v_fma_f32 v137, 0x3fb8aa3b, v92, -v96
	v_fma_f32 v131, 0x3fb8aa3b, v84, -v79
	v_rndne_f32_e32 v132, v79
	v_rndne_f32_e32 v138, v96
	v_cndmask_b32_e32 v51, 0x7f800000, v88, vcc_lo
	v_fmac_f32_e32 v137, 0x32a5705f, v92
	v_fmac_f32_e32 v131, 0x32a5705f, v84
	s_delay_alu instid0(VALU_DEP_4) | instskip(SKIP_3) | instid1(VALU_DEP_4)
	v_dual_sub_f32 v79, v79, v132 :: v_dual_sub_f32 v96, v96, v138
	v_cmp_nlt_f32_e32 vcc_lo, 0x42b17218, v83
	v_mul_f32_e32 v85, 0x3fb8aa3b, v52
	v_rndne_f32_e32 v140, v130
	v_dual_add_f32 v79, v79, v131 :: v_dual_add_f32 v96, v96, v137
	v_cvt_i32_f32_e32 v131, v132
	v_cndmask_b32_e32 v83, 0x7f800000, v89, vcc_lo
	v_rndne_f32_e32 v134, v85
	s_delay_alu instid0(VALU_DEP_4)
	v_exp_f32_e32 v79, v79
	v_exp_f32_e32 v96, v96
	v_cmp_ngt_f32_e32 vcc_lo, 0xc2ce8ed0, v84
	v_fma_f32 v133, 0x3fb8aa3b, v52, -v85
	v_cvt_i32_f32_e32 v132, v134
	v_fma_f32 v139, 0x3fb8aa3b, v95, -v130
	v_sub_f32_e32 v130, v130, v140
	s_delay_alu instid0(VALU_DEP_4) | instskip(SKIP_1) | instid1(TRANS32_DEP_2)
	v_dual_add_f32 v82, v83, v82 :: v_dual_fmac_f32 v133, 0x32a5705f, v52
	v_cvt_f16_f32_e32 v88, v51
	v_ldexp_f32 v79, v79, v131
	v_cvt_f16_f32_e32 v89, v83
	v_cvt_i32_f32_e32 v131, v140
	v_add_f32_e32 v81, v81, v82
	s_delay_alu instid0(VALU_DEP_4) | instskip(SKIP_4) | instid1(VALU_DEP_4)
	v_cndmask_b32_e32 v79, 0, v79, vcc_lo
	v_sub_f32_e32 v85, v85, v134
	v_cvt_i32_f32_e32 v134, v138
	v_cmp_ngt_f32_e32 vcc_lo, 0xc2ce8ed0, v52
	v_add_f32_e32 v51, v51, v81
	v_add_f32_e32 v85, v85, v133
	s_delay_alu instid0(VALU_DEP_4) | instskip(SKIP_1) | instid1(VALU_DEP_3)
	v_ldexp_f32 v96, v96, v134
	v_mul_f32_e32 v93, 0x3fb8aa3b, v87
	v_exp_f32_e32 v85, v85
	s_delay_alu instid0(VALU_DEP_1) | instskip(SKIP_1) | instid1(VALU_DEP_2)
	v_fma_f32 v135, 0x3fb8aa3b, v87, -v93
	v_rndne_f32_e32 v136, v93
	v_fmac_f32_e32 v135, 0x32a5705f, v87
	s_delay_alu instid0(VALU_DEP_2) | instskip(SKIP_4) | instid1(VALU_DEP_2)
	v_sub_f32_e32 v93, v93, v136
	v_cvt_i32_f32_e32 v133, v136
	s_waitcnt_depctr 0xfff
	v_ldexp_f32 v85, v85, v132
	v_add_f32_e32 v93, v93, v135
	v_cndmask_b32_e32 v85, 0, v85, vcc_lo
	v_cmp_ngt_f32_e32 vcc_lo, 0xc2ce8ed0, v87
	s_delay_alu instid0(VALU_DEP_3) | instskip(SKIP_2) | instid1(VALU_DEP_1)
	v_exp_f32_e32 v93, v93
	s_waitcnt_depctr 0xfff
	v_ldexp_f32 v93, v93, v133
	v_cndmask_b32_e32 v93, 0, v93, vcc_lo
	v_cmp_ngt_f32_e32 vcc_lo, 0xc2ce8ed0, v92
	v_cndmask_b32_e32 v96, 0, v96, vcc_lo
	v_cmp_nlt_f32_e32 vcc_lo, 0x42b17218, v84
	v_cndmask_b32_e32 v84, 0x7f800000, v79, vcc_lo
	v_cmp_nlt_f32_e32 vcc_lo, 0x42b17218, v52
	v_cndmask_b32_e32 v85, 0x7f800000, v85, vcc_lo
	v_cmp_nlt_f32_e32 vcc_lo, 0x42b17218, v87
	v_cndmask_b32_e32 v79, 0x7f800000, v93, vcc_lo
	v_fmac_f32_e32 v139, 0x32a5705f, v95
	v_cmp_nlt_f32_e32 vcc_lo, 0x42b17218, v92
	v_cvt_f16_f32_e32 v92, v84
	v_cvt_f16_f32_e32 v93, v85
	s_delay_alu instid0(VALU_DEP_4)
	v_add_f32_e32 v130, v130, v139
	v_cndmask_b32_e32 v52, 0x7f800000, v96, vcc_lo
	v_cvt_f16_f32_e32 v96, v79
	v_pack_b32_f16 v89, v89, v92
	v_pack_b32_f16 v80, v80, v93
	v_exp_f32_e32 v87, v130
	v_cvt_f16_f32_e64 v130, v52
	v_cmp_ngt_f32_e32 vcc_lo, 0xc2ce8ed0, v95
	v_pack_b32_f16 v86, v86, v96
	v_ldexp_f32 v96, v91, v94
	s_delay_alu instid0(VALU_DEP_4)
	v_pack_b32_f16 v88, v88, v130
	ds_store_2addr_b32 v90, v89, v80 offset1:32
	ds_store_2addr_b32 v90, v86, v88 offset0:64 offset1:96
	s_waitcnt vmcnt(7)
	ds_store_b128 v59, v[97:100]
	s_waitcnt vmcnt(6)
	ds_store_b128 v67, v[101:104]
	;; [unrolled: 2-line block ×8, first 2 shown]
	v_ldexp_f32 v130, v87, v131
	s_waitcnt lgkmcnt(0)
	s_barrier
	buffer_gl0_inv
	ds_load_2addr_b64 v[87:90], v42 offset1:32
	ds_load_b128 v[91:94], v57
	v_cndmask_b32_e32 v80, 0, v130, vcc_lo
	v_cmp_ngt_f32_e32 vcc_lo, 0xc2ce8ed0, v129
	v_add_nc_u32_e32 v115, 0x800, v42
	v_add_nc_u32_e32 v116, 0x1000, v42
	;; [unrolled: 1-line block ×4, first 2 shown]
	v_cndmask_b32_e32 v86, 0, v96, vcc_lo
	v_cmp_nlt_f32_e32 vcc_lo, 0x42b17218, v95
	ds_load_2addr_b64 v[95:98], v42 offset0:64 offset1:96
	ds_load_2addr_b64 v[99:102], v42 offset0:128 offset1:160
	ds_load_b128 v[103:106], v57 offset:16
	ds_load_b128 v[111:114], v57 offset:48
	v_cndmask_b32_e32 v80, 0x7f800000, v80, vcc_lo
	v_cmp_nlt_f32_e32 vcc_lo, 0x42b17218, v129
	s_delay_alu instid0(VALU_DEP_2)
	v_cvt_f16_f32_e32 v107, v80
	v_cndmask_b32_e32 v86, 0x7f800000, v86, vcc_lo
	s_waitcnt lgkmcnt(4)
	v_pk_mul_f16 v109, v87, v91 op_sel_hi:[1,0]
	v_pk_mul_f16 v87, v87, v91 op_sel:[0,1]
	v_pk_mul_f16 v110, v88, v91 op_sel_hi:[1,0]
	v_pk_mul_f16 v44, v107, v44 op_sel_hi:[0,1]
	v_cvt_f16_f32_e32 v108, v86
	v_fmac_f32_e32 v51, v78, v86
	v_pk_fma_f16 v46, v107, v46, v87 op_sel_hi:[0,1,1]
	v_add_f32_e32 v78, v84, v85
	v_pk_fma_f16 v44, v88, v91, v44 op_sel:[0,1,0]
	v_pk_fma_f16 v48, v108, v48, v109 op_sel_hi:[0,1,1]
	v_pk_fma_f16 v49, v108, v49, v110 op_sel_hi:[0,1,1]
	v_pk_fma_f16 v46, v89, v92, v46 op_sel:[0,1,0]
	v_add_f32_e32 v78, v79, v78
	v_pk_fma_f16 v44, v90, v92, v44 op_sel:[0,1,0]
	v_pk_fma_f16 v48, v89, v92, v48 op_sel_hi:[1,0,1]
	v_pk_fma_f16 v49, v90, v92, v49 op_sel_hi:[1,0,1]
	ds_load_2addr_b64 v[87:90], v42 offset0:192 offset1:224
	s_waitcnt lgkmcnt(4)
	v_pk_fma_f16 v46, v95, v93, v46 op_sel:[0,1,0]
	v_pk_fma_f16 v44, v96, v93, v44 op_sel:[0,1,0]
	v_pk_fma_f16 v48, v95, v93, v48 op_sel_hi:[1,0,1]
	v_pk_fma_f16 v49, v96, v93, v49 op_sel_hi:[1,0,1]
	ds_load_2addr_b64 v[107:110], v115 offset1:32
	v_pk_fma_f16 v46, v97, v94, v46 op_sel:[0,1,0]
	v_pk_fma_f16 v44, v98, v94, v44 op_sel:[0,1,0]
	v_pk_fma_f16 v48, v97, v94, v48 op_sel_hi:[1,0,1]
	v_pk_fma_f16 v49, v98, v94, v49 op_sel_hi:[1,0,1]
	ds_load_b128 v[91:94], v57 offset:32
	s_waitcnt lgkmcnt(4)
	v_pk_fma_f16 v46, v99, v103, v46 op_sel:[0,1,0]
	v_pk_fma_f16 v44, v100, v103, v44 op_sel:[0,1,0]
	v_pk_fma_f16 v48, v99, v103, v48 op_sel_hi:[1,0,1]
	v_pk_fma_f16 v49, v100, v103, v49 op_sel_hi:[1,0,1]
	ds_load_2addr_b64 v[95:98], v115 offset0:64 offset1:96
	v_pk_fma_f16 v46, v101, v104, v46 op_sel:[0,1,0]
	v_pk_fma_f16 v44, v102, v104, v44 op_sel:[0,1,0]
	v_pk_fma_f16 v48, v101, v104, v48 op_sel_hi:[1,0,1]
	v_pk_fma_f16 v49, v102, v104, v49 op_sel_hi:[1,0,1]
	ds_load_2addr_b64 v[99:102], v115 offset0:128 offset1:160
	s_waitcnt lgkmcnt(4)
	v_pk_fma_f16 v46, v87, v105, v46 op_sel:[0,1,0]
	v_pk_fma_f16 v44, v88, v105, v44 op_sel:[0,1,0]
	v_pk_fma_f16 v48, v87, v105, v48 op_sel_hi:[1,0,1]
	v_pk_fma_f16 v49, v88, v105, v49 op_sel_hi:[1,0,1]
	ds_load_2addr_b64 v[81:84], v117 offset0:192 offset1:224
	v_pk_fma_f16 v46, v89, v106, v46 op_sel:[0,1,0]
	v_pk_fma_f16 v44, v90, v106, v44 op_sel:[0,1,0]
	v_pk_fma_f16 v48, v89, v106, v48 op_sel_hi:[1,0,1]
	v_pk_fma_f16 v49, v90, v106, v49 op_sel_hi:[1,0,1]
	ds_load_2addr_b64 v[87:90], v115 offset0:192 offset1:224
	s_waitcnt lgkmcnt(4)
	v_pk_fma_f16 v46, v107, v91, v46 op_sel:[0,1,0]
	v_pk_fma_f16 v44, v108, v91, v44 op_sel:[0,1,0]
	v_pk_fma_f16 v48, v107, v91, v48 op_sel_hi:[1,0,1]
	v_pk_fma_f16 v49, v108, v91, v49 op_sel_hi:[1,0,1]
	ds_load_2addr_b64 v[103:106], v116 offset1:32
	v_pk_fma_f16 v46, v109, v92, v46 op_sel:[0,1,0]
	v_pk_fma_f16 v44, v110, v92, v44 op_sel:[0,1,0]
	v_pk_fma_f16 v48, v109, v92, v48 op_sel_hi:[1,0,1]
	v_pk_fma_f16 v49, v110, v92, v49 op_sel_hi:[1,0,1]
	ds_load_b128 v[107:110], v57 offset:80
	s_waitcnt lgkmcnt(5)
	v_pk_fma_f16 v46, v95, v93, v46 op_sel:[0,1,0]
	v_pk_fma_f16 v44, v96, v93, v44 op_sel:[0,1,0]
	v_pk_fma_f16 v48, v95, v93, v48 op_sel_hi:[1,0,1]
	v_pk_fma_f16 v49, v96, v93, v49 op_sel_hi:[1,0,1]
	v_add_nc_u32_e32 v115, 0x1800, v42
	v_pk_fma_f16 v46, v97, v94, v46 op_sel:[0,1,0]
	v_pk_fma_f16 v44, v98, v94, v44 op_sel:[0,1,0]
	v_pk_fma_f16 v48, v97, v94, v48 op_sel_hi:[1,0,1]
	v_pk_fma_f16 v49, v98, v94, v49 op_sel_hi:[1,0,1]
	ds_load_b128 v[91:94], v57 offset:64
	s_waitcnt lgkmcnt(5)
	v_pk_fma_f16 v46, v99, v111, v46 op_sel:[0,1,0]
	v_pk_fma_f16 v44, v100, v111, v44 op_sel:[0,1,0]
	v_pk_fma_f16 v48, v99, v111, v48 op_sel_hi:[1,0,1]
	v_pk_fma_f16 v49, v100, v111, v49 op_sel_hi:[1,0,1]
	ds_load_2addr_b64 v[95:98], v116 offset0:64 offset1:96
	v_pk_fma_f16 v46, v101, v112, v46 op_sel:[0,1,0]
	v_pk_fma_f16 v44, v102, v112, v44 op_sel:[0,1,0]
	v_pk_fma_f16 v48, v101, v112, v48 op_sel_hi:[1,0,1]
	v_pk_fma_f16 v49, v102, v112, v49 op_sel_hi:[1,0,1]
	ds_load_2addr_b64 v[99:102], v116 offset0:128 offset1:160
	s_waitcnt lgkmcnt(5)
	v_pk_fma_f16 v46, v87, v113, v46 op_sel:[0,1,0]
	v_pk_fma_f16 v44, v88, v113, v44 op_sel:[0,1,0]
	v_pk_fma_f16 v48, v87, v113, v48 op_sel_hi:[1,0,1]
	v_pk_fma_f16 v49, v88, v113, v49 op_sel_hi:[1,0,1]
	v_add_f32_e32 v52, v52, v78
	v_pk_fma_f16 v46, v89, v114, v46 op_sel:[0,1,0]
	v_pk_fma_f16 v44, v90, v114, v44 op_sel:[0,1,0]
	v_pk_fma_f16 v48, v89, v114, v48 op_sel_hi:[1,0,1]
	v_pk_fma_f16 v49, v90, v114, v49 op_sel_hi:[1,0,1]
	ds_load_2addr_b64 v[87:90], v116 offset0:192 offset1:224
	s_waitcnt lgkmcnt(3)
	v_pk_fma_f16 v46, v103, v91, v46 op_sel:[0,1,0]
	v_pk_fma_f16 v44, v104, v91, v44 op_sel:[0,1,0]
	v_pk_fma_f16 v48, v103, v91, v48 op_sel_hi:[1,0,1]
	v_pk_fma_f16 v49, v104, v91, v49 op_sel_hi:[1,0,1]
	ds_load_b128 v[111:114], v57 offset:112
	v_pk_fma_f16 v46, v105, v92, v46 op_sel:[0,1,0]
	v_pk_fma_f16 v44, v106, v92, v44 op_sel:[0,1,0]
	v_pk_fma_f16 v48, v105, v92, v48 op_sel_hi:[1,0,1]
	v_pk_fma_f16 v49, v106, v92, v49 op_sel_hi:[1,0,1]
	ds_load_2addr_b64 v[103:106], v115 offset1:32
	s_waitcnt lgkmcnt(4)
	v_pk_fma_f16 v46, v95, v93, v46 op_sel:[0,1,0]
	v_pk_fma_f16 v44, v96, v93, v44 op_sel:[0,1,0]
	v_pk_fma_f16 v48, v95, v93, v48 op_sel_hi:[1,0,1]
	v_pk_fma_f16 v49, v96, v93, v49 op_sel_hi:[1,0,1]
	v_add_nc_u32_e32 v116, 0x2000, v42
	v_pk_fma_f16 v46, v97, v94, v46 op_sel:[0,1,0]
	v_pk_fma_f16 v44, v98, v94, v44 op_sel:[0,1,0]
	v_pk_fma_f16 v48, v97, v94, v48 op_sel_hi:[1,0,1]
	v_pk_fma_f16 v49, v98, v94, v49 op_sel_hi:[1,0,1]
	ds_load_b128 v[91:94], v57 offset:96
	s_waitcnt lgkmcnt(4)
	v_pk_fma_f16 v46, v99, v107, v46 op_sel:[0,1,0]
	v_pk_fma_f16 v44, v100, v107, v44 op_sel:[0,1,0]
	v_pk_fma_f16 v48, v99, v107, v48 op_sel_hi:[1,0,1]
	v_pk_fma_f16 v49, v100, v107, v49 op_sel_hi:[1,0,1]
	ds_load_2addr_b64 v[95:98], v115 offset0:64 offset1:96
	v_pk_fma_f16 v46, v101, v108, v46 op_sel:[0,1,0]
	v_pk_fma_f16 v44, v102, v108, v44 op_sel:[0,1,0]
	v_pk_fma_f16 v48, v101, v108, v48 op_sel_hi:[1,0,1]
	v_pk_fma_f16 v49, v102, v108, v49 op_sel_hi:[1,0,1]
	ds_load_2addr_b64 v[99:102], v115 offset0:128 offset1:160
	s_waitcnt lgkmcnt(5)
	v_pk_fma_f16 v46, v87, v109, v46 op_sel:[0,1,0]
	v_pk_fma_f16 v44, v88, v109, v44 op_sel:[0,1,0]
	v_pk_fma_f16 v48, v87, v109, v48 op_sel_hi:[1,0,1]
	v_pk_fma_f16 v49, v88, v109, v49 op_sel_hi:[1,0,1]
	v_fmac_f32_e32 v52, v77, v80
	v_pk_fma_f16 v46, v89, v110, v46 op_sel:[0,1,0]
	v_pk_fma_f16 v44, v90, v110, v44 op_sel:[0,1,0]
	v_pk_fma_f16 v48, v89, v110, v48 op_sel_hi:[1,0,1]
	v_pk_fma_f16 v49, v90, v110, v49 op_sel_hi:[1,0,1]
	ds_load_2addr_b64 v[87:90], v115 offset0:192 offset1:224
	s_waitcnt lgkmcnt(3)
	v_pk_fma_f16 v46, v103, v91, v46 op_sel:[0,1,0]
	v_pk_fma_f16 v44, v104, v91, v44 op_sel:[0,1,0]
	v_pk_fma_f16 v48, v103, v91, v48 op_sel_hi:[1,0,1]
	v_pk_fma_f16 v49, v104, v91, v49 op_sel_hi:[1,0,1]
	ds_load_b128 v[107:110], v57 offset:144
	v_pk_fma_f16 v46, v105, v92, v46 op_sel:[0,1,0]
	v_pk_fma_f16 v44, v106, v92, v44 op_sel:[0,1,0]
	v_pk_fma_f16 v48, v105, v92, v48 op_sel_hi:[1,0,1]
	v_pk_fma_f16 v49, v106, v92, v49 op_sel_hi:[1,0,1]
	ds_load_2addr_b64 v[103:106], v116 offset1:32
	s_waitcnt lgkmcnt(4)
	v_pk_fma_f16 v46, v95, v93, v46 op_sel:[0,1,0]
	v_pk_fma_f16 v44, v96, v93, v44 op_sel:[0,1,0]
	v_pk_fma_f16 v48, v95, v93, v48 op_sel_hi:[1,0,1]
	v_pk_fma_f16 v49, v96, v93, v49 op_sel_hi:[1,0,1]
	v_add_nc_u32_e32 v115, 0x2800, v42
	v_pk_fma_f16 v46, v97, v94, v46 op_sel:[0,1,0]
	v_pk_fma_f16 v44, v98, v94, v44 op_sel:[0,1,0]
	v_pk_fma_f16 v48, v97, v94, v48 op_sel_hi:[1,0,1]
	v_pk_fma_f16 v49, v98, v94, v49 op_sel_hi:[1,0,1]
	ds_load_b128 v[91:94], v57 offset:128
	s_waitcnt lgkmcnt(4)
	v_pk_fma_f16 v46, v99, v111, v46 op_sel:[0,1,0]
	v_pk_fma_f16 v44, v100, v111, v44 op_sel:[0,1,0]
	v_pk_fma_f16 v48, v99, v111, v48 op_sel_hi:[1,0,1]
	v_pk_fma_f16 v49, v100, v111, v49 op_sel_hi:[1,0,1]
	ds_load_2addr_b64 v[95:98], v116 offset0:64 offset1:96
	v_pk_fma_f16 v46, v101, v112, v46 op_sel:[0,1,0]
	v_pk_fma_f16 v44, v102, v112, v44 op_sel:[0,1,0]
	v_pk_fma_f16 v48, v101, v112, v48 op_sel_hi:[1,0,1]
	v_pk_fma_f16 v49, v102, v112, v49 op_sel_hi:[1,0,1]
	ds_load_2addr_b64 v[99:102], v116 offset0:128 offset1:160
	s_waitcnt lgkmcnt(5)
	v_pk_fma_f16 v46, v87, v113, v46 op_sel:[0,1,0]
	v_pk_fma_f16 v44, v88, v113, v44 op_sel:[0,1,0]
	v_pk_fma_f16 v48, v87, v113, v48 op_sel_hi:[1,0,1]
	v_pk_fma_f16 v49, v88, v113, v49 op_sel_hi:[1,0,1]
	s_delay_alu instid0(VALU_DEP_4) | instskip(NEXT) | instid1(VALU_DEP_4)
	v_pk_fma_f16 v46, v89, v114, v46 op_sel:[0,1,0]
	v_pk_fma_f16 v44, v90, v114, v44 op_sel:[0,1,0]
	s_delay_alu instid0(VALU_DEP_4) | instskip(NEXT) | instid1(VALU_DEP_4)
	v_pk_fma_f16 v48, v89, v114, v48 op_sel_hi:[1,0,1]
	v_pk_fma_f16 v49, v90, v114, v49 op_sel_hi:[1,0,1]
	ds_load_2addr_b64 v[87:90], v116 offset0:192 offset1:224
	s_waitcnt lgkmcnt(3)
	v_pk_fma_f16 v46, v103, v91, v46 op_sel:[0,1,0]
	v_pk_fma_f16 v44, v104, v91, v44 op_sel:[0,1,0]
	v_pk_fma_f16 v48, v103, v91, v48 op_sel_hi:[1,0,1]
	v_pk_fma_f16 v49, v104, v91, v49 op_sel_hi:[1,0,1]
	ds_load_b128 v[111:114], v57 offset:176
	v_pk_fma_f16 v46, v105, v92, v46 op_sel:[0,1,0]
	v_pk_fma_f16 v44, v106, v92, v44 op_sel:[0,1,0]
	v_pk_fma_f16 v48, v105, v92, v48 op_sel_hi:[1,0,1]
	v_pk_fma_f16 v49, v106, v92, v49 op_sel_hi:[1,0,1]
	ds_load_2addr_b64 v[103:106], v115 offset1:32
	s_waitcnt lgkmcnt(4)
	v_pk_fma_f16 v46, v95, v93, v46 op_sel:[0,1,0]
	v_pk_fma_f16 v44, v96, v93, v44 op_sel:[0,1,0]
	v_pk_fma_f16 v48, v95, v93, v48 op_sel_hi:[1,0,1]
	v_pk_fma_f16 v49, v96, v93, v49 op_sel_hi:[1,0,1]
	v_add_nc_u32_e32 v116, 0x3000, v42
	v_pk_fma_f16 v46, v97, v94, v46 op_sel:[0,1,0]
	v_pk_fma_f16 v44, v98, v94, v44 op_sel:[0,1,0]
	v_pk_fma_f16 v48, v97, v94, v48 op_sel_hi:[1,0,1]
	v_pk_fma_f16 v49, v98, v94, v49 op_sel_hi:[1,0,1]
	ds_load_b128 v[91:94], v57 offset:160
	s_waitcnt lgkmcnt(4)
	v_pk_fma_f16 v46, v99, v107, v46 op_sel:[0,1,0]
	v_pk_fma_f16 v44, v100, v107, v44 op_sel:[0,1,0]
	v_pk_fma_f16 v48, v99, v107, v48 op_sel_hi:[1,0,1]
	v_pk_fma_f16 v49, v100, v107, v49 op_sel_hi:[1,0,1]
	ds_load_2addr_b64 v[95:98], v115 offset0:64 offset1:96
	v_pk_fma_f16 v46, v101, v108, v46 op_sel:[0,1,0]
	v_pk_fma_f16 v44, v102, v108, v44 op_sel:[0,1,0]
	v_pk_fma_f16 v48, v101, v108, v48 op_sel_hi:[1,0,1]
	v_pk_fma_f16 v49, v102, v108, v49 op_sel_hi:[1,0,1]
	ds_load_2addr_b64 v[99:102], v115 offset0:128 offset1:160
	s_waitcnt lgkmcnt(5)
	v_pk_fma_f16 v46, v87, v109, v46 op_sel:[0,1,0]
	v_pk_fma_f16 v44, v88, v109, v44 op_sel:[0,1,0]
	v_pk_fma_f16 v48, v87, v109, v48 op_sel_hi:[1,0,1]
	v_pk_fma_f16 v49, v88, v109, v49 op_sel_hi:[1,0,1]
	s_delay_alu instid0(VALU_DEP_4) | instskip(NEXT) | instid1(VALU_DEP_4)
	v_pk_fma_f16 v46, v89, v110, v46 op_sel:[0,1,0]
	v_pk_fma_f16 v44, v90, v110, v44 op_sel:[0,1,0]
	s_delay_alu instid0(VALU_DEP_4) | instskip(NEXT) | instid1(VALU_DEP_4)
	;; [unrolled: 45-line block ×9, first 2 shown]
	v_pk_fma_f16 v48, v89, v114, v48 op_sel_hi:[1,0,1]
	v_pk_fma_f16 v49, v90, v114, v49 op_sel_hi:[1,0,1]
	ds_load_2addr_b64 v[87:90], v116 offset0:192 offset1:224
	s_waitcnt lgkmcnt(3)
	v_pk_fma_f16 v46, v103, v91, v46 op_sel:[0,1,0]
	v_pk_fma_f16 v44, v104, v91, v44 op_sel:[0,1,0]
	v_pk_fma_f16 v48, v103, v91, v48 op_sel_hi:[1,0,1]
	v_pk_fma_f16 v49, v104, v91, v49 op_sel_hi:[1,0,1]
	ds_load_b128 v[111:114], v57 offset:432
	v_pk_fma_f16 v46, v105, v92, v46 op_sel:[0,1,0]
	v_pk_fma_f16 v44, v106, v92, v44 op_sel:[0,1,0]
	v_pk_fma_f16 v48, v105, v92, v48 op_sel_hi:[1,0,1]
	v_pk_fma_f16 v49, v106, v92, v49 op_sel_hi:[1,0,1]
	ds_load_2addr_b64 v[103:106], v115 offset1:32
	s_waitcnt lgkmcnt(4)
	v_pk_fma_f16 v46, v95, v93, v46 op_sel:[0,1,0]
	v_pk_fma_f16 v44, v96, v93, v44 op_sel:[0,1,0]
	v_pk_fma_f16 v48, v95, v93, v48 op_sel_hi:[1,0,1]
	v_pk_fma_f16 v49, v96, v93, v49 op_sel_hi:[1,0,1]
	s_delay_alu instid0(VALU_DEP_4) | instskip(NEXT) | instid1(VALU_DEP_4)
	v_pk_fma_f16 v46, v97, v94, v46 op_sel:[0,1,0]
	v_pk_fma_f16 v44, v98, v94, v44 op_sel:[0,1,0]
	s_delay_alu instid0(VALU_DEP_4) | instskip(NEXT) | instid1(VALU_DEP_4)
	v_pk_fma_f16 v48, v97, v94, v48 op_sel_hi:[1,0,1]
	v_pk_fma_f16 v49, v98, v94, v49 op_sel_hi:[1,0,1]
	ds_load_b128 v[91:94], v57 offset:416
	s_waitcnt lgkmcnt(4)
	v_pk_fma_f16 v46, v99, v107, v46 op_sel:[0,1,0]
	v_pk_fma_f16 v44, v100, v107, v44 op_sel:[0,1,0]
	v_pk_fma_f16 v48, v99, v107, v48 op_sel_hi:[1,0,1]
	v_pk_fma_f16 v49, v100, v107, v49 op_sel_hi:[1,0,1]
	ds_load_2addr_b64 v[95:98], v115 offset0:64 offset1:96
	v_pk_fma_f16 v46, v101, v108, v46 op_sel:[0,1,0]
	v_pk_fma_f16 v44, v102, v108, v44 op_sel:[0,1,0]
	v_pk_fma_f16 v48, v101, v108, v48 op_sel_hi:[1,0,1]
	v_pk_fma_f16 v49, v102, v108, v49 op_sel_hi:[1,0,1]
	ds_load_2addr_b64 v[99:102], v115 offset0:128 offset1:160
	s_waitcnt lgkmcnt(5)
	v_pk_fma_f16 v46, v87, v109, v46 op_sel:[0,1,0]
	v_pk_fma_f16 v44, v88, v109, v44 op_sel:[0,1,0]
	v_pk_fma_f16 v48, v87, v109, v48 op_sel_hi:[1,0,1]
	v_pk_fma_f16 v49, v88, v109, v49 op_sel_hi:[1,0,1]
	s_delay_alu instid0(VALU_DEP_4) | instskip(NEXT) | instid1(VALU_DEP_4)
	v_pk_fma_f16 v46, v89, v110, v46 op_sel:[0,1,0]
	v_pk_fma_f16 v44, v90, v110, v44 op_sel:[0,1,0]
	s_delay_alu instid0(VALU_DEP_4) | instskip(NEXT) | instid1(VALU_DEP_4)
	v_pk_fma_f16 v48, v89, v110, v48 op_sel_hi:[1,0,1]
	v_pk_fma_f16 v49, v90, v110, v49 op_sel_hi:[1,0,1]
	ds_load_2addr_b64 v[87:90], v115 offset0:192 offset1:224
	s_waitcnt lgkmcnt(3)
	v_pk_fma_f16 v46, v103, v91, v46 op_sel:[0,1,0]
	v_pk_fma_f16 v44, v104, v91, v44 op_sel:[0,1,0]
	v_pk_fma_f16 v48, v103, v91, v48 op_sel_hi:[1,0,1]
	v_pk_fma_f16 v49, v104, v91, v49 op_sel_hi:[1,0,1]
	ds_load_b128 v[107:110], v57 offset:464
	v_pk_fma_f16 v46, v105, v92, v46 op_sel:[0,1,0]
	v_pk_fma_f16 v44, v106, v92, v44 op_sel:[0,1,0]
	v_pk_fma_f16 v48, v105, v92, v48 op_sel_hi:[1,0,1]
	v_pk_fma_f16 v49, v106, v92, v49 op_sel_hi:[1,0,1]
	ds_load_2addr_b64 v[103:106], v117 offset1:32
	s_waitcnt lgkmcnt(4)
	v_pk_fma_f16 v46, v95, v93, v46 op_sel:[0,1,0]
	v_pk_fma_f16 v44, v96, v93, v44 op_sel:[0,1,0]
	v_pk_fma_f16 v48, v95, v93, v48 op_sel_hi:[1,0,1]
	v_pk_fma_f16 v49, v96, v93, v49 op_sel_hi:[1,0,1]
	s_delay_alu instid0(VALU_DEP_4) | instskip(NEXT) | instid1(VALU_DEP_4)
	v_pk_fma_f16 v46, v97, v94, v46 op_sel:[0,1,0]
	v_pk_fma_f16 v44, v98, v94, v44 op_sel:[0,1,0]
	s_delay_alu instid0(VALU_DEP_4) | instskip(NEXT) | instid1(VALU_DEP_4)
	v_pk_fma_f16 v48, v97, v94, v48 op_sel_hi:[1,0,1]
	v_pk_fma_f16 v49, v98, v94, v49 op_sel_hi:[1,0,1]
	ds_load_b128 v[91:94], v57 offset:448
	s_waitcnt lgkmcnt(4)
	v_pk_fma_f16 v46, v99, v111, v46 op_sel:[0,1,0]
	v_pk_fma_f16 v44, v100, v111, v44 op_sel:[0,1,0]
	v_pk_fma_f16 v48, v99, v111, v48 op_sel_hi:[1,0,1]
	v_pk_fma_f16 v49, v100, v111, v49 op_sel_hi:[1,0,1]
	ds_load_2addr_b64 v[95:98], v117 offset0:64 offset1:96
	v_pk_fma_f16 v46, v101, v112, v46 op_sel:[0,1,0]
	v_pk_fma_f16 v44, v102, v112, v44 op_sel:[0,1,0]
	v_pk_fma_f16 v48, v101, v112, v48 op_sel_hi:[1,0,1]
	v_pk_fma_f16 v49, v102, v112, v49 op_sel_hi:[1,0,1]
	ds_load_2addr_b64 v[99:102], v117 offset0:128 offset1:160
	s_waitcnt lgkmcnt(5)
	v_pk_fma_f16 v46, v87, v113, v46 op_sel:[0,1,0]
	v_pk_fma_f16 v44, v88, v113, v44 op_sel:[0,1,0]
	v_pk_fma_f16 v48, v87, v113, v48 op_sel_hi:[1,0,1]
	v_pk_fma_f16 v49, v88, v113, v49 op_sel_hi:[1,0,1]
	ds_load_2addr_b64 v[85:88], v118 offset1:32
	v_pk_fma_f16 v46, v89, v114, v46 op_sel:[0,1,0]
	v_pk_fma_f16 v44, v90, v114, v44 op_sel:[0,1,0]
	v_pk_fma_f16 v48, v89, v114, v48 op_sel_hi:[1,0,1]
	v_pk_fma_f16 v49, v90, v114, v49 op_sel_hi:[1,0,1]
	s_waitcnt lgkmcnt(3)
	v_pk_fma_f16 v46, v103, v91, v46 op_sel:[0,1,0]
	v_pk_fma_f16 v44, v104, v91, v44 op_sel:[0,1,0]
	v_pk_fma_f16 v48, v103, v91, v48 op_sel_hi:[1,0,1]
	v_pk_fma_f16 v49, v104, v91, v49 op_sel_hi:[1,0,1]
	s_delay_alu instid0(VALU_DEP_4) | instskip(NEXT) | instid1(VALU_DEP_4)
	v_pk_fma_f16 v46, v105, v92, v46 op_sel:[0,1,0]
	v_pk_fma_f16 v44, v106, v92, v44 op_sel:[0,1,0]
	s_delay_alu instid0(VALU_DEP_4) | instskip(NEXT) | instid1(VALU_DEP_4)
	v_pk_fma_f16 v48, v105, v92, v48 op_sel_hi:[1,0,1]
	v_pk_fma_f16 v49, v106, v92, v49 op_sel_hi:[1,0,1]
	ds_load_2addr_b64 v[89:92], v118 offset0:64 offset1:96
	s_waitcnt lgkmcnt(3)
	v_pk_fma_f16 v46, v95, v93, v46 op_sel:[0,1,0]
	v_pk_fma_f16 v44, v96, v93, v44 op_sel:[0,1,0]
	v_pk_fma_f16 v48, v95, v93, v48 op_sel_hi:[1,0,1]
	v_pk_fma_f16 v49, v96, v93, v49 op_sel_hi:[1,0,1]
	s_delay_alu instid0(VALU_DEP_4) | instskip(NEXT) | instid1(VALU_DEP_4)
	v_pk_fma_f16 v46, v97, v94, v46 op_sel:[0,1,0]
	v_pk_fma_f16 v44, v98, v94, v44 op_sel:[0,1,0]
	s_delay_alu instid0(VALU_DEP_4) | instskip(NEXT) | instid1(VALU_DEP_4)
	v_pk_fma_f16 v48, v97, v94, v48 op_sel_hi:[1,0,1]
	v_pk_fma_f16 v49, v98, v94, v49 op_sel_hi:[1,0,1]
	ds_load_b128 v[93:96], v57 offset:480
	s_waitcnt lgkmcnt(3)
	v_pk_fma_f16 v46, v99, v107, v46 op_sel:[0,1,0]
	v_pk_fma_f16 v44, v100, v107, v44 op_sel:[0,1,0]
	v_pk_fma_f16 v48, v99, v107, v48 op_sel_hi:[1,0,1]
	v_pk_fma_f16 v49, v100, v107, v49 op_sel_hi:[1,0,1]
	ds_load_2addr_b64 v[97:100], v118 offset0:128 offset1:160
	v_pk_fma_f16 v46, v101, v108, v46 op_sel:[0,1,0]
	v_pk_fma_f16 v44, v102, v108, v44 op_sel:[0,1,0]
	v_pk_fma_f16 v48, v101, v108, v48 op_sel_hi:[1,0,1]
	v_pk_fma_f16 v49, v102, v108, v49 op_sel_hi:[1,0,1]
	ds_load_b128 v[101:104], v57 offset:496
	v_pk_fma_f16 v46, v81, v109, v46 op_sel:[0,1,0]
	v_pk_fma_f16 v44, v82, v109, v44 op_sel:[0,1,0]
	v_pk_fma_f16 v48, v81, v109, v48 op_sel_hi:[1,0,1]
	v_pk_fma_f16 v49, v82, v109, v49 op_sel_hi:[1,0,1]
	ds_load_2addr_b64 v[105:108], v118 offset0:192 offset1:224
	v_pk_fma_f16 v46, v83, v110, v46 op_sel:[0,1,0]
	v_pk_fma_f16 v44, v84, v110, v44 op_sel:[0,1,0]
	v_pk_fma_f16 v48, v83, v110, v48 op_sel_hi:[1,0,1]
	v_pk_fma_f16 v49, v84, v110, v49 op_sel_hi:[1,0,1]
	s_waitcnt lgkmcnt(0)
	v_pk_fma_f16 v46, v85, v93, v46 op_sel:[0,1,0]
	v_pk_fma_f16 v44, v86, v93, v44 op_sel:[0,1,0]
	v_pk_fma_f16 v48, v85, v93, v48 op_sel_hi:[1,0,1]
	v_pk_fma_f16 v49, v86, v93, v49 op_sel_hi:[1,0,1]
	s_barrier
	v_pk_fma_f16 v46, v87, v94, v46 op_sel:[0,1,0]
	v_pk_fma_f16 v44, v88, v94, v44 op_sel:[0,1,0]
	v_pk_fma_f16 v48, v87, v94, v48 op_sel_hi:[1,0,1]
	v_pk_fma_f16 v49, v88, v94, v49 op_sel_hi:[1,0,1]
	buffer_gl0_inv
	v_pk_fma_f16 v46, v89, v95, v46 op_sel:[0,1,0]
	v_pk_fma_f16 v44, v90, v95, v44 op_sel:[0,1,0]
	v_pk_fma_f16 v48, v89, v95, v48 op_sel_hi:[1,0,1]
	v_pk_fma_f16 v49, v90, v95, v49 op_sel_hi:[1,0,1]
	s_load_b32 s21, s[2:3], 0x4
	v_pk_fma_f16 v46, v91, v96, v46 op_sel:[0,1,0]
	v_pk_fma_f16 v44, v92, v96, v44 op_sel:[0,1,0]
	v_pk_fma_f16 v48, v91, v96, v48 op_sel_hi:[1,0,1]
	v_pk_fma_f16 v49, v92, v96, v49 op_sel_hi:[1,0,1]
	s_delay_alu instid0(VALU_DEP_4) | instskip(NEXT) | instid1(VALU_DEP_4)
	v_pk_fma_f16 v46, v97, v101, v46 op_sel:[0,1,0]
	v_pk_fma_f16 v44, v98, v101, v44 op_sel:[0,1,0]
	s_delay_alu instid0(VALU_DEP_4) | instskip(NEXT) | instid1(VALU_DEP_4)
	v_pk_fma_f16 v48, v97, v101, v48 op_sel_hi:[1,0,1]
	v_pk_fma_f16 v49, v98, v101, v49 op_sel_hi:[1,0,1]
	s_delay_alu instid0(VALU_DEP_4) | instskip(NEXT) | instid1(VALU_DEP_4)
	v_pk_fma_f16 v46, v99, v102, v46 op_sel:[0,1,0]
	v_pk_fma_f16 v44, v100, v102, v44 op_sel:[0,1,0]
	s_delay_alu instid0(VALU_DEP_4) | instskip(NEXT) | instid1(VALU_DEP_4)
	;; [unrolled: 6-line block ×3, first 2 shown]
	v_pk_fma_f16 v48, v105, v103, v48 op_sel_hi:[1,0,1]
	v_pk_fma_f16 v49, v106, v103, v49 op_sel_hi:[1,0,1]
	s_waitcnt lgkmcnt(0)
	s_lshl_b32 s21, s21, 7
	v_pk_fma_f16 v46, v107, v104, v46 op_sel:[0,1,0]
	v_pk_fma_f16 v44, v108, v104, v44 op_sel:[0,1,0]
	v_pk_fma_f16 v48, v107, v104, v48 op_sel_hi:[1,0,1]
	v_pk_fma_f16 v49, v108, v104, v49 op_sel_hi:[1,0,1]
	s_add_i32 s16, s21, s16
	s_delay_alu instid0(SALU_CYCLE_1)
	s_cmp_lt_i32 s16, s6
	s_cbranch_scc0 .LBB59_28
; %bb.26:                               ;   in Loop: Header=BB59_8 Depth=1
	v_dual_mov_b32 v80, v0 :: v_dual_mov_b32 v79, v1
	v_dual_mov_b32 v78, v51 :: v_dual_mov_b32 v77, v52
	s_branch .LBB59_8
.LBB59_27:
	s_mov_b32 s45, s44
	s_delay_alu instid0(SALU_CYCLE_1)
	v_dual_mov_b32 v0, s44 :: v_dual_mov_b32 v1, s45
	v_dual_mov_b32 v51, 0 :: v_dual_mov_b32 v46, 0
	;; [unrolled: 1-line block ×3, first 2 shown]
.LBB59_28:
	s_cmp_gt_i32 s42, s16
	s_cbranch_scc1 .LBB59_30
; %bb.29:
	v_mbcnt_lo_u32_b32 v2, -1, 0
	v_mov_b32_e32 v5, 32
	s_delay_alu instid0(VALU_DEP_2)
	v_xor_b32_e32 v24, 16, v2
	v_xor_b32_e32 v23, 8, v2
	v_xor_b32_e32 v25, 4, v2
	v_xor_b32_e32 v26, 2, v2
	v_xor_b32_e32 v27, 1, v2
	s_cbranch_execz .LBB59_31
	s_branch .LBB59_72
.LBB59_30:
                                        ; implicit-def: $vgpr2
                                        ; implicit-def: $vgpr5
                                        ; implicit-def: $vgpr24
                                        ; implicit-def: $vgpr23
                                        ; implicit-def: $vgpr25
                                        ; implicit-def: $vgpr26
                                        ; implicit-def: $vgpr27
.LBB59_31:
	s_mov_b32 s44, 0
	s_mul_hi_i32 s3, s16, s8
	s_mov_b32 s45, s44
	s_mov_b32 s46, s44
	v_dual_mov_b32 v16, s44 :: v_dual_add_nc_u32 v7, v53, v36
	s_mul_i32 s2, s16, s8
	s_sub_i32 s20, s42, s16
	s_lshl_b64 s[2:3], s[2:3], 2
	s_delay_alu instid0(VALU_DEP_1)
	v_mul_lo_u32 v8, s8, v7
	s_add_u32 s9, s4, s2
	s_mov_b64 s[10:11], src_private_base
	v_dual_mov_b32 v15, 0 :: v_dual_lshlrev_b32 v6, 2, v54
	s_addc_u32 s10, s5, s3
	v_cmp_gt_i32_e64 s2, s20, v7
	v_dual_mov_b32 v17, s45 :: v_dual_mov_b32 v18, s46
	s_delay_alu instid0(VALU_DEP_4)
	v_ashrrev_i32_e32 v9, 31, v8
	s_clause 0x1
	scratch_store_b32 off, v15, off
	scratch_store_b96 off, v[16:18], off offset:4
	s_lshl_b32 s12, s8, 4
	v_lshlrev_b64 v[2:3], 2, v[8:9]
	v_add_nc_u32_e32 v8, s12, v8
	v_mad_u32_u24 v22, 0x110, v7, v6
	s_cmp_lg_u64 s[40:41], 0
	s_delay_alu instid0(VALU_DEP_3) | instskip(NEXT) | instid1(VALU_DEP_4)
	v_add_co_u32 v2, vcc_lo, s9, v2
	v_add_co_ci_u32_e32 v3, vcc_lo, s10, v3, vcc_lo
	v_ashrrev_i32_e32 v9, 31, v8
	s_delay_alu instid0(VALU_DEP_3) | instskip(NEXT) | instid1(VALU_DEP_3)
	v_add_co_u32 v2, vcc_lo, v2, v6
	v_add_co_ci_u32_e32 v3, vcc_lo, 0, v3, vcc_lo
	s_delay_alu instid0(VALU_DEP_3) | instskip(NEXT) | instid1(VALU_DEP_3)
	v_lshlrev_b64 v[9:10], 2, v[8:9]
	v_cndmask_b32_e64 v2, 0, v2, s2
	s_delay_alu instid0(VALU_DEP_3) | instskip(NEXT) | instid1(VALU_DEP_3)
	v_cndmask_b32_e64 v3, s11, v3, s2
	v_add_co_u32 v11, vcc_lo, s9, v9
	flat_load_b128 v[2:5], v[2:3]
	v_add_co_ci_u32_e32 v10, vcc_lo, s10, v10, vcc_lo
	v_add_nc_u32_e32 v9, 16, v7
	v_add_co_u32 v12, vcc_lo, v11, v6
	s_delay_alu instid0(VALU_DEP_3) | instskip(NEXT) | instid1(VALU_DEP_3)
	v_add_co_ci_u32_e32 v10, vcc_lo, 0, v10, vcc_lo
	v_cmp_gt_i32_e64 s3, s20, v9
	s_clause 0x1
	scratch_store_b32 off, v15, off
	scratch_store_b96 off, v[16:18], off offset:4
	v_cndmask_b32_e64 v11, s11, v10, s3
	v_cndmask_b32_e64 v10, 0, v12, s3
	s_waitcnt vmcnt(0) lgkmcnt(0)
	ds_store_b128 v22, v[2:5]
	flat_load_b128 v[2:5], v[10:11]
	v_add_nc_u32_e32 v11, s12, v8
	v_add_nc_u32_e32 v10, 32, v7
	s_clause 0x1
	scratch_store_b32 off, v15, off
	scratch_store_b96 off, v[16:18], off offset:4
	v_ashrrev_i32_e32 v12, 31, v11
	v_cmp_gt_i32_e64 s4, s20, v10
	s_delay_alu instid0(VALU_DEP_2) | instskip(NEXT) | instid1(VALU_DEP_1)
	v_lshlrev_b64 v[12:13], 2, v[11:12]
	v_add_co_u32 v8, vcc_lo, s9, v12
	s_delay_alu instid0(VALU_DEP_2) | instskip(NEXT) | instid1(VALU_DEP_2)
	v_add_co_ci_u32_e32 v12, vcc_lo, s10, v13, vcc_lo
	v_add_co_u32 v8, vcc_lo, v8, v6
	s_delay_alu instid0(VALU_DEP_2) | instskip(NEXT) | instid1(VALU_DEP_1)
	v_add_co_ci_u32_e32 v12, vcc_lo, 0, v12, vcc_lo
	v_cndmask_b32_e64 v13, s11, v12, s4
	s_delay_alu instid0(VALU_DEP_3)
	v_cndmask_b32_e64 v12, 0, v8, s4
	s_waitcnt vmcnt(0) lgkmcnt(0)
	ds_store_b128 v22, v[2:5] offset:4352
	flat_load_b128 v[2:5], v[12:13]
	v_add_nc_u32_e32 v12, s12, v11
	v_add_nc_u32_e32 v11, 48, v7
	s_clause 0x1
	scratch_store_b32 off, v15, off
	scratch_store_b96 off, v[16:18], off offset:4
	v_ashrrev_i32_e32 v13, 31, v12
	v_cmp_gt_i32_e64 s5, s20, v11
	s_delay_alu instid0(VALU_DEP_2) | instskip(NEXT) | instid1(VALU_DEP_1)
	v_lshlrev_b64 v[13:14], 2, v[12:13]
	v_add_co_u32 v8, vcc_lo, s9, v13
	s_delay_alu instid0(VALU_DEP_2) | instskip(NEXT) | instid1(VALU_DEP_2)
	v_add_co_ci_u32_e32 v13, vcc_lo, s10, v14, vcc_lo
	v_add_co_u32 v8, vcc_lo, v8, v6
	s_delay_alu instid0(VALU_DEP_2) | instskip(NEXT) | instid1(VALU_DEP_1)
	v_add_co_ci_u32_e32 v13, vcc_lo, 0, v13, vcc_lo
	v_cndmask_b32_e64 v14, s11, v13, s5
	s_delay_alu instid0(VALU_DEP_3)
	v_cndmask_b32_e64 v13, 0, v8, s5
	s_waitcnt vmcnt(0) lgkmcnt(0)
	ds_store_b128 v22, v[2:5] offset:8704
	flat_load_b128 v[2:5], v[13:14]
	v_add_nc_u32_e32 v13, s12, v12
	v_add_nc_u32_e32 v12, 64, v7
	s_clause 0x1
	scratch_store_b32 off, v15, off
	scratch_store_b96 off, v[16:18], off offset:4
	v_ashrrev_i32_e32 v14, 31, v13
	v_cmp_gt_i32_e64 s6, s20, v12
	s_delay_alu instid0(VALU_DEP_2) | instskip(NEXT) | instid1(VALU_DEP_1)
	v_lshlrev_b64 v[19:20], 2, v[13:14]
	v_add_co_u32 v8, vcc_lo, s9, v19
	s_delay_alu instid0(VALU_DEP_2) | instskip(NEXT) | instid1(VALU_DEP_2)
	v_add_co_ci_u32_e32 v14, vcc_lo, s10, v20, vcc_lo
	v_add_co_u32 v8, vcc_lo, v8, v6
	s_delay_alu instid0(VALU_DEP_2) | instskip(NEXT) | instid1(VALU_DEP_2)
	v_add_co_ci_u32_e32 v14, vcc_lo, 0, v14, vcc_lo
	v_cndmask_b32_e64 v19, 0, v8, s6
	s_delay_alu instid0(VALU_DEP_2)
	v_cndmask_b32_e64 v20, s11, v14, s6
	s_waitcnt vmcnt(0) lgkmcnt(0)
	ds_store_b128 v22, v[2:5] offset:13056
	flat_load_b128 v[2:5], v[19:20]
	v_add_nc_u32_e32 v19, s12, v13
	s_clause 0x1
	scratch_store_b32 off, v15, off
	scratch_store_b96 off, v[16:18], off offset:4
	v_ashrrev_i32_e32 v20, 31, v19
	s_delay_alu instid0(VALU_DEP_1) | instskip(SKIP_1) | instid1(VALU_DEP_2)
	v_lshlrev_b64 v[13:14], 2, v[19:20]
	v_add_nc_u32_e32 v19, s12, v19
	v_add_co_u32 v8, vcc_lo, s9, v13
	s_delay_alu instid0(VALU_DEP_3) | instskip(SKIP_1) | instid1(VALU_DEP_3)
	v_add_co_ci_u32_e32 v14, vcc_lo, s10, v14, vcc_lo
	v_add_nc_u32_e32 v13, 0x50, v7
	v_add_co_u32 v8, vcc_lo, v8, v6
	s_delay_alu instid0(VALU_DEP_3) | instskip(NEXT) | instid1(VALU_DEP_3)
	v_add_co_ci_u32_e32 v14, vcc_lo, 0, v14, vcc_lo
	v_cmp_gt_i32_e64 s7, s20, v13
	s_delay_alu instid0(VALU_DEP_1) | instskip(NEXT) | instid1(VALU_DEP_4)
	v_cndmask_b32_e64 v21, s11, v14, s7
	v_cndmask_b32_e64 v20, 0, v8, s7
	v_add_nc_u32_e32 v14, 0x60, v7
	s_delay_alu instid0(VALU_DEP_1)
	v_cmp_gt_i32_e64 s8, s20, v14
	s_waitcnt vmcnt(0) lgkmcnt(0)
	ds_store_b128 v22, v[2:5] offset:17408
	flat_load_b128 v[2:5], v[20:21]
	v_ashrrev_i32_e32 v20, 31, v19
	s_clause 0x1
	scratch_store_b32 off, v15, off
	scratch_store_b96 off, v[16:18], off offset:4
	v_lshlrev_b64 v[20:21], 2, v[19:20]
	v_add_nc_u32_e32 v19, s12, v19
	s_cselect_b32 s12, -1, 0
	s_delay_alu instid0(SALU_CYCLE_1) | instskip(NEXT) | instid1(VALU_DEP_3)
	v_cndmask_b32_e64 v33, 0, 1, s12
	v_add_co_u32 v8, vcc_lo, s9, v20
	s_delay_alu instid0(VALU_DEP_4) | instskip(NEXT) | instid1(VALU_DEP_2)
	v_add_co_ci_u32_e32 v20, vcc_lo, s10, v21, vcc_lo
	v_add_co_u32 v8, vcc_lo, v8, v6
	s_delay_alu instid0(VALU_DEP_2) | instskip(NEXT) | instid1(VALU_DEP_1)
	v_add_co_ci_u32_e32 v20, vcc_lo, 0, v20, vcc_lo
	v_cndmask_b32_e64 v21, s11, v20, s8
	s_delay_alu instid0(VALU_DEP_3)
	v_cndmask_b32_e64 v20, 0, v8, s8
	v_add_nc_u32_e32 v8, 0x70, v7
	s_waitcnt vmcnt(0) lgkmcnt(0)
	ds_store_b128 v22, v[2:5] offset:21760
	flat_load_b128 v[2:5], v[20:21]
	v_ashrrev_i32_e32 v20, 31, v19
	s_clause 0x1
	scratch_store_b32 off, v15, off
	scratch_store_b96 off, v[16:18], off offset:4
	v_dual_mov_b32 v16, 0 :: v_dual_mov_b32 v17, 0
	v_mov_b32_e32 v21, 0
	v_lshlrev_b64 v[19:20], 2, v[19:20]
	v_mov_b32_e32 v18, 0
	s_delay_alu instid0(VALU_DEP_2) | instskip(NEXT) | instid1(VALU_DEP_3)
	v_add_co_u32 v19, vcc_lo, s9, v19
	v_add_co_ci_u32_e32 v20, vcc_lo, s10, v20, vcc_lo
	v_cmp_gt_i32_e64 s9, s20, v8
	s_delay_alu instid0(VALU_DEP_3) | instskip(NEXT) | instid1(VALU_DEP_3)
	v_add_co_u32 v19, vcc_lo, v19, v6
	v_add_co_ci_u32_e32 v20, vcc_lo, 0, v20, vcc_lo
	v_cmp_gt_i32_e64 s10, s20, v38
	s_delay_alu instid0(VALU_DEP_3) | instskip(NEXT) | instid1(VALU_DEP_3)
	v_cndmask_b32_e64 v19, 0, v19, s9
	v_cndmask_b32_e64 v20, s11, v20, s9
	s_waitcnt vmcnt(0) lgkmcnt(0)
	ds_store_b128 v22, v[2:5] offset:26112
	flat_load_b128 v[2:5], v[19:20]
	v_dual_mov_b32 v19, 0 :: v_dual_mov_b32 v20, 0
	s_waitcnt vmcnt(0) lgkmcnt(0)
	ds_store_b128 v22, v[2:5] offset:30464
	s_waitcnt lgkmcnt(0)
	s_waitcnt_vscnt null, 0x0
	s_barrier
	buffer_gl0_inv
	ds_load_b128 v[2:5], v50
	ds_load_b128 v[23:26], v41 offset:38912
	ds_load_b128 v[27:30], v41 offset:39168
	ds_load_b128 v[53:56], v50 offset:8704
	ds_load_b128 v[57:60], v50 offset:17408
	ds_load_b128 v[61:64], v50 offset:26112
	v_mov_b32_e32 v22, 0
	s_waitcnt lgkmcnt(4)
	;;#ASMSTART
	v_dot2_f32_f16 v19, v2, v23, v19
	;;#ASMEND
	;;#ASMSTART
	v_dot2_f32_f16 v19, v3, v24, v19
	;;#ASMEND
	;;#ASMSTART
	v_dot2_f32_f16 v19, v4, v25, v19
	;;#ASMEND
	;;#ASMSTART
	v_dot2_f32_f16 v19, v5, v26, v19
	;;#ASMEND
	s_waitcnt lgkmcnt(3)
	;;#ASMSTART
	v_dot2_f32_f16 v16, v2, v27, v16
	;;#ASMEND
	;;#ASMSTART
	v_dot2_f32_f16 v16, v3, v28, v16
	;;#ASMEND
	;;#ASMSTART
	v_dot2_f32_f16 v16, v4, v29, v16
	;;#ASMEND
	;;#ASMSTART
	v_dot2_f32_f16 v16, v5, v30, v16
	;;#ASMEND
	;; [unrolled: 13-line block ×3, first 2 shown]
	;;#ASMSTART
	v_dot2_f32_f16 v17, v53, v27, v17
	;;#ASMEND
	;;#ASMSTART
	v_dot2_f32_f16 v17, v54, v28, v17
	;;#ASMEND
	;; [unrolled: 3-line block ×4, first 2 shown]
	s_waitcnt lgkmcnt(1)
	;;#ASMSTART
	v_dot2_f32_f16 v21, v57, v23, v21
	;;#ASMEND
	;;#ASMSTART
	v_dot2_f32_f16 v21, v58, v24, v21
	;;#ASMEND
	;; [unrolled: 3-line block ×8, first 2 shown]
	s_waitcnt lgkmcnt(0)
	;;#ASMSTART
	v_dot2_f32_f16 v22, v61, v23, v22
	;;#ASMEND
	;;#ASMSTART
	v_dot2_f32_f16 v22, v62, v24, v22
	;;#ASMEND
	;;#ASMSTART
	v_dot2_f32_f16 v22, v63, v25, v22
	;;#ASMEND
	;;#ASMSTART
	v_dot2_f32_f16 v22, v64, v26, v22
	;;#ASMEND
	;;#ASMSTART
	v_dot2_f32_f16 v15, v61, v27, v15
	;;#ASMEND
	;;#ASMSTART
	v_dot2_f32_f16 v15, v62, v28, v15
	;;#ASMEND
	;;#ASMSTART
	v_dot2_f32_f16 v15, v63, v29, v15
	;;#ASMEND
	;;#ASMSTART
	v_dot2_f32_f16 v15, v64, v30, v15
	;;#ASMEND
	ds_load_b128 v[2:5], v50 offset:16
	ds_load_b128 v[23:26], v41 offset:38928
	;; [unrolled: 1-line block ×6, first 2 shown]
	s_waitcnt lgkmcnt(4)
	;;#ASMSTART
	v_dot2_f32_f16 v19, v2, v23, v19
	;;#ASMEND
	;;#ASMSTART
	v_dot2_f32_f16 v19, v3, v24, v19
	;;#ASMEND
	;;#ASMSTART
	v_dot2_f32_f16 v19, v4, v25, v19
	;;#ASMEND
	;;#ASMSTART
	v_dot2_f32_f16 v19, v5, v26, v19
	;;#ASMEND
	s_waitcnt lgkmcnt(3)
	;;#ASMSTART
	v_dot2_f32_f16 v16, v2, v27, v16
	;;#ASMEND
	;;#ASMSTART
	v_dot2_f32_f16 v16, v3, v28, v16
	;;#ASMEND
	;;#ASMSTART
	v_dot2_f32_f16 v16, v4, v29, v16
	;;#ASMEND
	;;#ASMSTART
	v_dot2_f32_f16 v16, v5, v30, v16
	;;#ASMEND
	;; [unrolled: 13-line block ×3, first 2 shown]
	;;#ASMSTART
	v_dot2_f32_f16 v17, v53, v27, v17
	;;#ASMEND
	;;#ASMSTART
	v_dot2_f32_f16 v17, v54, v28, v17
	;;#ASMEND
	;; [unrolled: 3-line block ×4, first 2 shown]
	s_waitcnt lgkmcnt(1)
	;;#ASMSTART
	v_dot2_f32_f16 v21, v57, v23, v21
	;;#ASMEND
	;;#ASMSTART
	v_dot2_f32_f16 v21, v58, v24, v21
	;;#ASMEND
	;; [unrolled: 3-line block ×8, first 2 shown]
	s_waitcnt lgkmcnt(0)
	;;#ASMSTART
	v_dot2_f32_f16 v22, v61, v23, v22
	;;#ASMEND
	;;#ASMSTART
	v_dot2_f32_f16 v22, v62, v24, v22
	;;#ASMEND
	;; [unrolled: 3-line block ×8, first 2 shown]
	ds_load_b128 v[2:5], v50 offset:32
	ds_load_b128 v[23:26], v41 offset:38944
	;; [unrolled: 1-line block ×6, first 2 shown]
	s_waitcnt lgkmcnt(4)
	;;#ASMSTART
	v_dot2_f32_f16 v19, v2, v23, v19
	;;#ASMEND
	;;#ASMSTART
	v_dot2_f32_f16 v19, v3, v24, v19
	;;#ASMEND
	;;#ASMSTART
	v_dot2_f32_f16 v19, v4, v25, v19
	;;#ASMEND
	;;#ASMSTART
	v_dot2_f32_f16 v19, v5, v26, v19
	;;#ASMEND
	s_waitcnt lgkmcnt(3)
	;;#ASMSTART
	v_dot2_f32_f16 v16, v2, v27, v16
	;;#ASMEND
	;;#ASMSTART
	v_dot2_f32_f16 v16, v3, v28, v16
	;;#ASMEND
	;;#ASMSTART
	v_dot2_f32_f16 v16, v4, v29, v16
	;;#ASMEND
	;;#ASMSTART
	v_dot2_f32_f16 v16, v5, v30, v16
	;;#ASMEND
	;; [unrolled: 13-line block ×3, first 2 shown]
	;;#ASMSTART
	v_dot2_f32_f16 v17, v53, v27, v17
	;;#ASMEND
	;;#ASMSTART
	v_dot2_f32_f16 v17, v54, v28, v17
	;;#ASMEND
	;;#ASMSTART
	v_dot2_f32_f16 v17, v55, v29, v17
	;;#ASMEND
	;;#ASMSTART
	v_dot2_f32_f16 v17, v56, v30, v17
	;;#ASMEND
	s_waitcnt lgkmcnt(1)
	;;#ASMSTART
	v_dot2_f32_f16 v21, v57, v23, v21
	;;#ASMEND
	;;#ASMSTART
	v_dot2_f32_f16 v21, v58, v24, v21
	;;#ASMEND
	;; [unrolled: 3-line block ×8, first 2 shown]
	s_waitcnt lgkmcnt(0)
	;;#ASMSTART
	v_dot2_f32_f16 v22, v61, v23, v22
	;;#ASMEND
	;;#ASMSTART
	v_dot2_f32_f16 v22, v62, v24, v22
	;;#ASMEND
	;; [unrolled: 3-line block ×8, first 2 shown]
	ds_load_b128 v[2:5], v50 offset:48
	ds_load_b128 v[23:26], v41 offset:38960
	;; [unrolled: 1-line block ×6, first 2 shown]
	s_waitcnt lgkmcnt(4)
	;;#ASMSTART
	v_dot2_f32_f16 v19, v2, v23, v19
	;;#ASMEND
	;;#ASMSTART
	v_dot2_f32_f16 v19, v3, v24, v19
	;;#ASMEND
	;;#ASMSTART
	v_dot2_f32_f16 v19, v4, v25, v19
	;;#ASMEND
	;;#ASMSTART
	v_dot2_f32_f16 v19, v5, v26, v19
	;;#ASMEND
	s_waitcnt lgkmcnt(3)
	;;#ASMSTART
	v_dot2_f32_f16 v16, v2, v27, v16
	;;#ASMEND
	;;#ASMSTART
	v_dot2_f32_f16 v16, v3, v28, v16
	;;#ASMEND
	;;#ASMSTART
	v_dot2_f32_f16 v16, v4, v29, v16
	;;#ASMEND
	;;#ASMSTART
	v_dot2_f32_f16 v16, v5, v30, v16
	;;#ASMEND
	;; [unrolled: 13-line block ×3, first 2 shown]
	;;#ASMSTART
	v_dot2_f32_f16 v17, v53, v27, v17
	;;#ASMEND
	;;#ASMSTART
	v_dot2_f32_f16 v17, v54, v28, v17
	;;#ASMEND
	;; [unrolled: 3-line block ×4, first 2 shown]
	s_waitcnt lgkmcnt(1)
	;;#ASMSTART
	v_dot2_f32_f16 v21, v57, v23, v21
	;;#ASMEND
	;;#ASMSTART
	v_dot2_f32_f16 v21, v58, v24, v21
	;;#ASMEND
	;; [unrolled: 3-line block ×8, first 2 shown]
	s_waitcnt lgkmcnt(0)
	;;#ASMSTART
	v_dot2_f32_f16 v22, v61, v23, v22
	;;#ASMEND
	;;#ASMSTART
	v_dot2_f32_f16 v22, v62, v24, v22
	;;#ASMEND
	;;#ASMSTART
	v_dot2_f32_f16 v22, v63, v25, v22
	;;#ASMEND
	;;#ASMSTART
	v_dot2_f32_f16 v22, v64, v26, v22
	;;#ASMEND
	;;#ASMSTART
	v_dot2_f32_f16 v15, v61, v27, v15
	;;#ASMEND
	;;#ASMSTART
	v_dot2_f32_f16 v15, v62, v28, v15
	;;#ASMEND
	;;#ASMSTART
	v_dot2_f32_f16 v15, v63, v29, v15
	;;#ASMEND
	;;#ASMSTART
	v_dot2_f32_f16 v15, v64, v30, v15
	;;#ASMEND
	ds_load_b128 v[2:5], v50 offset:64
	ds_load_b128 v[23:26], v41 offset:38976
	ds_load_b128 v[27:30], v41 offset:39232
	ds_load_b128 v[53:56], v50 offset:8768
	ds_load_b128 v[57:60], v50 offset:17472
	ds_load_b128 v[61:64], v50 offset:26176
	s_waitcnt lgkmcnt(4)
	;;#ASMSTART
	v_dot2_f32_f16 v19, v2, v23, v19
	;;#ASMEND
	;;#ASMSTART
	v_dot2_f32_f16 v19, v3, v24, v19
	;;#ASMEND
	;;#ASMSTART
	v_dot2_f32_f16 v19, v4, v25, v19
	;;#ASMEND
	;;#ASMSTART
	v_dot2_f32_f16 v19, v5, v26, v19
	;;#ASMEND
	s_waitcnt lgkmcnt(3)
	;;#ASMSTART
	v_dot2_f32_f16 v16, v2, v27, v16
	;;#ASMEND
	;;#ASMSTART
	v_dot2_f32_f16 v16, v3, v28, v16
	;;#ASMEND
	;;#ASMSTART
	v_dot2_f32_f16 v16, v4, v29, v16
	;;#ASMEND
	;;#ASMSTART
	v_dot2_f32_f16 v16, v5, v30, v16
	;;#ASMEND
	;; [unrolled: 13-line block ×3, first 2 shown]
	;;#ASMSTART
	v_dot2_f32_f16 v17, v53, v27, v17
	;;#ASMEND
	;;#ASMSTART
	v_dot2_f32_f16 v17, v54, v28, v17
	;;#ASMEND
	;; [unrolled: 3-line block ×4, first 2 shown]
	s_waitcnt lgkmcnt(1)
	;;#ASMSTART
	v_dot2_f32_f16 v21, v57, v23, v21
	;;#ASMEND
	;;#ASMSTART
	v_dot2_f32_f16 v21, v58, v24, v21
	;;#ASMEND
	;; [unrolled: 3-line block ×8, first 2 shown]
	s_waitcnt lgkmcnt(0)
	;;#ASMSTART
	v_dot2_f32_f16 v22, v61, v23, v22
	;;#ASMEND
	;;#ASMSTART
	v_dot2_f32_f16 v22, v62, v24, v22
	;;#ASMEND
	;; [unrolled: 3-line block ×8, first 2 shown]
	ds_load_b128 v[2:5], v50 offset:80
	ds_load_b128 v[23:26], v41 offset:38992
	;; [unrolled: 1-line block ×6, first 2 shown]
	s_waitcnt lgkmcnt(4)
	;;#ASMSTART
	v_dot2_f32_f16 v19, v2, v23, v19
	;;#ASMEND
	;;#ASMSTART
	v_dot2_f32_f16 v19, v3, v24, v19
	;;#ASMEND
	;;#ASMSTART
	v_dot2_f32_f16 v19, v4, v25, v19
	;;#ASMEND
	;;#ASMSTART
	v_dot2_f32_f16 v19, v5, v26, v19
	;;#ASMEND
	s_waitcnt lgkmcnt(3)
	;;#ASMSTART
	v_dot2_f32_f16 v16, v2, v27, v16
	;;#ASMEND
	;;#ASMSTART
	v_dot2_f32_f16 v16, v3, v28, v16
	;;#ASMEND
	;;#ASMSTART
	v_dot2_f32_f16 v16, v4, v29, v16
	;;#ASMEND
	;;#ASMSTART
	v_dot2_f32_f16 v16, v5, v30, v16
	;;#ASMEND
	;; [unrolled: 13-line block ×3, first 2 shown]
	;;#ASMSTART
	v_dot2_f32_f16 v17, v53, v27, v17
	;;#ASMEND
	;;#ASMSTART
	v_dot2_f32_f16 v17, v54, v28, v17
	;;#ASMEND
	;; [unrolled: 3-line block ×4, first 2 shown]
	s_waitcnt lgkmcnt(1)
	;;#ASMSTART
	v_dot2_f32_f16 v21, v57, v23, v21
	;;#ASMEND
	;;#ASMSTART
	v_dot2_f32_f16 v21, v58, v24, v21
	;;#ASMEND
	;;#ASMSTART
	v_dot2_f32_f16 v21, v59, v25, v21
	;;#ASMEND
	;;#ASMSTART
	v_dot2_f32_f16 v21, v60, v26, v21
	;;#ASMEND
	;;#ASMSTART
	v_dot2_f32_f16 v18, v57, v27, v18
	;;#ASMEND
	;;#ASMSTART
	v_dot2_f32_f16 v18, v58, v28, v18
	;;#ASMEND
	;;#ASMSTART
	v_dot2_f32_f16 v18, v59, v29, v18
	;;#ASMEND
	;;#ASMSTART
	v_dot2_f32_f16 v18, v60, v30, v18
	;;#ASMEND
	s_waitcnt lgkmcnt(0)
	;;#ASMSTART
	v_dot2_f32_f16 v22, v61, v23, v22
	;;#ASMEND
	;;#ASMSTART
	v_dot2_f32_f16 v22, v62, v24, v22
	;;#ASMEND
	;; [unrolled: 3-line block ×8, first 2 shown]
	ds_load_b128 v[2:5], v50 offset:96
	ds_load_b128 v[23:26], v41 offset:39008
	;; [unrolled: 1-line block ×6, first 2 shown]
	s_waitcnt lgkmcnt(4)
	;;#ASMSTART
	v_dot2_f32_f16 v19, v2, v23, v19
	;;#ASMEND
	;;#ASMSTART
	v_dot2_f32_f16 v19, v3, v24, v19
	;;#ASMEND
	;;#ASMSTART
	v_dot2_f32_f16 v19, v4, v25, v19
	;;#ASMEND
	;;#ASMSTART
	v_dot2_f32_f16 v19, v5, v26, v19
	;;#ASMEND
	s_waitcnt lgkmcnt(3)
	;;#ASMSTART
	v_dot2_f32_f16 v16, v2, v27, v16
	;;#ASMEND
	;;#ASMSTART
	v_dot2_f32_f16 v16, v3, v28, v16
	;;#ASMEND
	;;#ASMSTART
	v_dot2_f32_f16 v16, v4, v29, v16
	;;#ASMEND
	;;#ASMSTART
	v_dot2_f32_f16 v16, v5, v30, v16
	;;#ASMEND
	;; [unrolled: 13-line block ×3, first 2 shown]
	;;#ASMSTART
	v_dot2_f32_f16 v17, v53, v27, v17
	;;#ASMEND
	;;#ASMSTART
	v_dot2_f32_f16 v17, v54, v28, v17
	;;#ASMEND
	;;#ASMSTART
	v_dot2_f32_f16 v17, v55, v29, v17
	;;#ASMEND
	;;#ASMSTART
	v_dot2_f32_f16 v17, v56, v30, v17
	;;#ASMEND
	s_waitcnt lgkmcnt(1)
	;;#ASMSTART
	v_dot2_f32_f16 v21, v57, v23, v21
	;;#ASMEND
	;;#ASMSTART
	v_dot2_f32_f16 v21, v58, v24, v21
	;;#ASMEND
	;; [unrolled: 3-line block ×8, first 2 shown]
	s_waitcnt lgkmcnt(0)
	;;#ASMSTART
	v_dot2_f32_f16 v22, v61, v23, v22
	;;#ASMEND
	;;#ASMSTART
	v_dot2_f32_f16 v22, v62, v24, v22
	;;#ASMEND
	;; [unrolled: 3-line block ×8, first 2 shown]
	ds_load_b128 v[2:5], v50 offset:112
	ds_load_b128 v[23:26], v41 offset:39024
	ds_load_b128 v[27:30], v41 offset:39280
	ds_load_b128 v[53:56], v50 offset:8816
	ds_load_b128 v[57:60], v50 offset:17520
	ds_load_b128 v[61:64], v50 offset:26224
	s_waitcnt lgkmcnt(4)
	;;#ASMSTART
	v_dot2_f32_f16 v19, v2, v23, v19
	;;#ASMEND
	;;#ASMSTART
	v_dot2_f32_f16 v19, v3, v24, v19
	;;#ASMEND
	;;#ASMSTART
	v_dot2_f32_f16 v19, v4, v25, v19
	;;#ASMEND
	;;#ASMSTART
	v_dot2_f32_f16 v19, v5, v26, v19
	;;#ASMEND
	s_waitcnt lgkmcnt(3)
	;;#ASMSTART
	v_dot2_f32_f16 v16, v2, v27, v16
	;;#ASMEND
	;;#ASMSTART
	v_dot2_f32_f16 v16, v3, v28, v16
	;;#ASMEND
	;;#ASMSTART
	v_dot2_f32_f16 v16, v4, v29, v16
	;;#ASMEND
	;;#ASMSTART
	v_dot2_f32_f16 v16, v5, v30, v16
	;;#ASMEND
	;; [unrolled: 13-line block ×3, first 2 shown]
	;;#ASMSTART
	v_dot2_f32_f16 v17, v53, v27, v17
	;;#ASMEND
	;;#ASMSTART
	v_dot2_f32_f16 v17, v54, v28, v17
	;;#ASMEND
	;; [unrolled: 3-line block ×4, first 2 shown]
	s_waitcnt lgkmcnt(1)
	;;#ASMSTART
	v_dot2_f32_f16 v21, v57, v23, v21
	;;#ASMEND
	;;#ASMSTART
	v_dot2_f32_f16 v21, v58, v24, v21
	;;#ASMEND
	;; [unrolled: 3-line block ×8, first 2 shown]
	s_waitcnt lgkmcnt(0)
	;;#ASMSTART
	v_dot2_f32_f16 v22, v61, v23, v22
	;;#ASMEND
	;;#ASMSTART
	v_dot2_f32_f16 v22, v62, v24, v22
	;;#ASMEND
	;; [unrolled: 3-line block ×8, first 2 shown]
	ds_load_b128 v[2:5], v50 offset:128
	ds_load_b128 v[23:26], v41 offset:39040
	;; [unrolled: 1-line block ×6, first 2 shown]
	s_waitcnt lgkmcnt(4)
	;;#ASMSTART
	v_dot2_f32_f16 v19, v2, v23, v19
	;;#ASMEND
	;;#ASMSTART
	v_dot2_f32_f16 v19, v3, v24, v19
	;;#ASMEND
	;;#ASMSTART
	v_dot2_f32_f16 v19, v4, v25, v19
	;;#ASMEND
	;;#ASMSTART
	v_dot2_f32_f16 v19, v5, v26, v19
	;;#ASMEND
	s_waitcnt lgkmcnt(3)
	;;#ASMSTART
	v_dot2_f32_f16 v16, v2, v27, v16
	;;#ASMEND
	;;#ASMSTART
	v_dot2_f32_f16 v16, v3, v28, v16
	;;#ASMEND
	;;#ASMSTART
	v_dot2_f32_f16 v16, v4, v29, v16
	;;#ASMEND
	;;#ASMSTART
	v_dot2_f32_f16 v16, v5, v30, v16
	;;#ASMEND
	;; [unrolled: 13-line block ×3, first 2 shown]
	;;#ASMSTART
	v_dot2_f32_f16 v17, v53, v27, v17
	;;#ASMEND
	;;#ASMSTART
	v_dot2_f32_f16 v17, v54, v28, v17
	;;#ASMEND
	;; [unrolled: 3-line block ×4, first 2 shown]
	s_waitcnt lgkmcnt(1)
	;;#ASMSTART
	v_dot2_f32_f16 v21, v57, v23, v21
	;;#ASMEND
	;;#ASMSTART
	v_dot2_f32_f16 v21, v58, v24, v21
	;;#ASMEND
	;; [unrolled: 3-line block ×8, first 2 shown]
	s_waitcnt lgkmcnt(0)
	;;#ASMSTART
	v_dot2_f32_f16 v22, v61, v23, v22
	;;#ASMEND
	;;#ASMSTART
	v_dot2_f32_f16 v22, v62, v24, v22
	;;#ASMEND
	;; [unrolled: 3-line block ×8, first 2 shown]
	ds_load_b128 v[2:5], v50 offset:144
	ds_load_b128 v[23:26], v41 offset:39056
	;; [unrolled: 1-line block ×6, first 2 shown]
	s_waitcnt lgkmcnt(4)
	;;#ASMSTART
	v_dot2_f32_f16 v19, v2, v23, v19
	;;#ASMEND
	;;#ASMSTART
	v_dot2_f32_f16 v19, v3, v24, v19
	;;#ASMEND
	;;#ASMSTART
	v_dot2_f32_f16 v19, v4, v25, v19
	;;#ASMEND
	;;#ASMSTART
	v_dot2_f32_f16 v19, v5, v26, v19
	;;#ASMEND
	s_waitcnt lgkmcnt(3)
	;;#ASMSTART
	v_dot2_f32_f16 v16, v2, v27, v16
	;;#ASMEND
	;;#ASMSTART
	v_dot2_f32_f16 v16, v3, v28, v16
	;;#ASMEND
	;;#ASMSTART
	v_dot2_f32_f16 v16, v4, v29, v16
	;;#ASMEND
	;;#ASMSTART
	v_dot2_f32_f16 v16, v5, v30, v16
	;;#ASMEND
	;; [unrolled: 13-line block ×3, first 2 shown]
	;;#ASMSTART
	v_dot2_f32_f16 v17, v53, v27, v17
	;;#ASMEND
	;;#ASMSTART
	v_dot2_f32_f16 v17, v54, v28, v17
	;;#ASMEND
	;; [unrolled: 3-line block ×4, first 2 shown]
	s_waitcnt lgkmcnt(1)
	;;#ASMSTART
	v_dot2_f32_f16 v21, v57, v23, v21
	;;#ASMEND
	;;#ASMSTART
	v_dot2_f32_f16 v21, v58, v24, v21
	;;#ASMEND
	;; [unrolled: 3-line block ×8, first 2 shown]
	s_waitcnt lgkmcnt(0)
	;;#ASMSTART
	v_dot2_f32_f16 v22, v61, v23, v22
	;;#ASMEND
	;;#ASMSTART
	v_dot2_f32_f16 v22, v62, v24, v22
	;;#ASMEND
	;;#ASMSTART
	v_dot2_f32_f16 v22, v63, v25, v22
	;;#ASMEND
	;;#ASMSTART
	v_dot2_f32_f16 v22, v64, v26, v22
	;;#ASMEND
	;;#ASMSTART
	v_dot2_f32_f16 v15, v61, v27, v15
	;;#ASMEND
	;;#ASMSTART
	v_dot2_f32_f16 v15, v62, v28, v15
	;;#ASMEND
	;;#ASMSTART
	v_dot2_f32_f16 v15, v63, v29, v15
	;;#ASMEND
	;;#ASMSTART
	v_dot2_f32_f16 v15, v64, v30, v15
	;;#ASMEND
	ds_load_b128 v[2:5], v50 offset:160
	ds_load_b128 v[23:26], v41 offset:39072
	;; [unrolled: 1-line block ×6, first 2 shown]
	s_waitcnt lgkmcnt(4)
	;;#ASMSTART
	v_dot2_f32_f16 v19, v2, v23, v19
	;;#ASMEND
	;;#ASMSTART
	v_dot2_f32_f16 v19, v3, v24, v19
	;;#ASMEND
	;;#ASMSTART
	v_dot2_f32_f16 v19, v4, v25, v19
	;;#ASMEND
	;;#ASMSTART
	v_dot2_f32_f16 v19, v5, v26, v19
	;;#ASMEND
	s_waitcnt lgkmcnt(3)
	;;#ASMSTART
	v_dot2_f32_f16 v16, v2, v27, v16
	;;#ASMEND
	;;#ASMSTART
	v_dot2_f32_f16 v16, v3, v28, v16
	;;#ASMEND
	;;#ASMSTART
	v_dot2_f32_f16 v16, v4, v29, v16
	;;#ASMEND
	;;#ASMSTART
	v_dot2_f32_f16 v16, v5, v30, v16
	;;#ASMEND
	;; [unrolled: 13-line block ×3, first 2 shown]
	;;#ASMSTART
	v_dot2_f32_f16 v17, v53, v27, v17
	;;#ASMEND
	;;#ASMSTART
	v_dot2_f32_f16 v17, v54, v28, v17
	;;#ASMEND
	;; [unrolled: 3-line block ×4, first 2 shown]
	s_waitcnt lgkmcnt(1)
	;;#ASMSTART
	v_dot2_f32_f16 v21, v57, v23, v21
	;;#ASMEND
	;;#ASMSTART
	v_dot2_f32_f16 v21, v58, v24, v21
	;;#ASMEND
	;; [unrolled: 3-line block ×8, first 2 shown]
	s_waitcnt lgkmcnt(0)
	;;#ASMSTART
	v_dot2_f32_f16 v22, v61, v23, v22
	;;#ASMEND
	;;#ASMSTART
	v_dot2_f32_f16 v22, v62, v24, v22
	;;#ASMEND
	;; [unrolled: 3-line block ×8, first 2 shown]
	ds_load_b128 v[2:5], v50 offset:176
	ds_load_b128 v[23:26], v41 offset:39088
	;; [unrolled: 1-line block ×6, first 2 shown]
	s_waitcnt lgkmcnt(4)
	;;#ASMSTART
	v_dot2_f32_f16 v19, v2, v23, v19
	;;#ASMEND
	;;#ASMSTART
	v_dot2_f32_f16 v19, v3, v24, v19
	;;#ASMEND
	;;#ASMSTART
	v_dot2_f32_f16 v19, v4, v25, v19
	;;#ASMEND
	;;#ASMSTART
	v_dot2_f32_f16 v19, v5, v26, v19
	;;#ASMEND
	s_waitcnt lgkmcnt(3)
	;;#ASMSTART
	v_dot2_f32_f16 v16, v2, v27, v16
	;;#ASMEND
	;;#ASMSTART
	v_dot2_f32_f16 v16, v3, v28, v16
	;;#ASMEND
	;;#ASMSTART
	v_dot2_f32_f16 v16, v4, v29, v16
	;;#ASMEND
	;;#ASMSTART
	v_dot2_f32_f16 v16, v5, v30, v16
	;;#ASMEND
	;; [unrolled: 13-line block ×3, first 2 shown]
	;;#ASMSTART
	v_dot2_f32_f16 v17, v53, v27, v17
	;;#ASMEND
	;;#ASMSTART
	v_dot2_f32_f16 v17, v54, v28, v17
	;;#ASMEND
	;; [unrolled: 3-line block ×4, first 2 shown]
	s_waitcnt lgkmcnt(1)
	;;#ASMSTART
	v_dot2_f32_f16 v21, v57, v23, v21
	;;#ASMEND
	;;#ASMSTART
	v_dot2_f32_f16 v21, v58, v24, v21
	;;#ASMEND
	;; [unrolled: 3-line block ×8, first 2 shown]
	s_waitcnt lgkmcnt(0)
	;;#ASMSTART
	v_dot2_f32_f16 v22, v61, v23, v22
	;;#ASMEND
	;;#ASMSTART
	v_dot2_f32_f16 v22, v62, v24, v22
	;;#ASMEND
	;; [unrolled: 3-line block ×8, first 2 shown]
	ds_load_b128 v[2:5], v50 offset:192
	ds_load_b128 v[23:26], v41 offset:39104
	;; [unrolled: 1-line block ×6, first 2 shown]
	s_waitcnt lgkmcnt(4)
	;;#ASMSTART
	v_dot2_f32_f16 v19, v2, v23, v19
	;;#ASMEND
	;;#ASMSTART
	v_dot2_f32_f16 v19, v3, v24, v19
	;;#ASMEND
	;;#ASMSTART
	v_dot2_f32_f16 v19, v4, v25, v19
	;;#ASMEND
	;;#ASMSTART
	v_dot2_f32_f16 v19, v5, v26, v19
	;;#ASMEND
	s_waitcnt lgkmcnt(3)
	;;#ASMSTART
	v_dot2_f32_f16 v16, v2, v27, v16
	;;#ASMEND
	;;#ASMSTART
	v_dot2_f32_f16 v16, v3, v28, v16
	;;#ASMEND
	;;#ASMSTART
	v_dot2_f32_f16 v16, v4, v29, v16
	;;#ASMEND
	;;#ASMSTART
	v_dot2_f32_f16 v16, v5, v30, v16
	;;#ASMEND
	;; [unrolled: 13-line block ×3, first 2 shown]
	;;#ASMSTART
	v_dot2_f32_f16 v17, v53, v27, v17
	;;#ASMEND
	;;#ASMSTART
	v_dot2_f32_f16 v17, v54, v28, v17
	;;#ASMEND
	;; [unrolled: 3-line block ×4, first 2 shown]
	s_waitcnt lgkmcnt(1)
	;;#ASMSTART
	v_dot2_f32_f16 v21, v57, v23, v21
	;;#ASMEND
	;;#ASMSTART
	v_dot2_f32_f16 v21, v58, v24, v21
	;;#ASMEND
	;; [unrolled: 3-line block ×8, first 2 shown]
	s_waitcnt lgkmcnt(0)
	;;#ASMSTART
	v_dot2_f32_f16 v22, v61, v23, v22
	;;#ASMEND
	;;#ASMSTART
	v_dot2_f32_f16 v22, v62, v24, v22
	;;#ASMEND
	;; [unrolled: 3-line block ×8, first 2 shown]
	ds_load_b128 v[2:5], v50 offset:208
	ds_load_b128 v[23:26], v41 offset:39120
	;; [unrolled: 1-line block ×6, first 2 shown]
	s_waitcnt lgkmcnt(4)
	;;#ASMSTART
	v_dot2_f32_f16 v19, v2, v23, v19
	;;#ASMEND
	;;#ASMSTART
	v_dot2_f32_f16 v19, v3, v24, v19
	;;#ASMEND
	;;#ASMSTART
	v_dot2_f32_f16 v19, v4, v25, v19
	;;#ASMEND
	;;#ASMSTART
	v_dot2_f32_f16 v19, v5, v26, v19
	;;#ASMEND
	s_waitcnt lgkmcnt(3)
	;;#ASMSTART
	v_dot2_f32_f16 v16, v2, v27, v16
	;;#ASMEND
	;;#ASMSTART
	v_dot2_f32_f16 v16, v3, v28, v16
	;;#ASMEND
	;;#ASMSTART
	v_dot2_f32_f16 v16, v4, v29, v16
	;;#ASMEND
	;;#ASMSTART
	v_dot2_f32_f16 v16, v5, v30, v16
	;;#ASMEND
	;; [unrolled: 13-line block ×3, first 2 shown]
	;;#ASMSTART
	v_dot2_f32_f16 v17, v53, v27, v17
	;;#ASMEND
	;;#ASMSTART
	v_dot2_f32_f16 v17, v54, v28, v17
	;;#ASMEND
	;; [unrolled: 3-line block ×4, first 2 shown]
	s_waitcnt lgkmcnt(1)
	;;#ASMSTART
	v_dot2_f32_f16 v21, v57, v23, v21
	;;#ASMEND
	;;#ASMSTART
	v_dot2_f32_f16 v21, v58, v24, v21
	;;#ASMEND
	;; [unrolled: 3-line block ×8, first 2 shown]
	s_waitcnt lgkmcnt(0)
	;;#ASMSTART
	v_dot2_f32_f16 v22, v61, v23, v22
	;;#ASMEND
	;;#ASMSTART
	v_dot2_f32_f16 v22, v62, v24, v22
	;;#ASMEND
	;; [unrolled: 3-line block ×8, first 2 shown]
	ds_load_b128 v[2:5], v50 offset:224
	ds_load_b128 v[23:26], v41 offset:39136
	ds_load_b128 v[27:30], v41 offset:39392
	ds_load_b128 v[53:56], v50 offset:8928
	ds_load_b128 v[57:60], v50 offset:17632
	ds_load_b128 v[61:64], v50 offset:26336
	s_waitcnt lgkmcnt(4)
	;;#ASMSTART
	v_dot2_f32_f16 v19, v2, v23, v19
	;;#ASMEND
	;;#ASMSTART
	v_dot2_f32_f16 v19, v3, v24, v19
	;;#ASMEND
	;;#ASMSTART
	v_dot2_f32_f16 v19, v4, v25, v19
	;;#ASMEND
	;;#ASMSTART
	v_dot2_f32_f16 v19, v5, v26, v19
	;;#ASMEND
	s_waitcnt lgkmcnt(3)
	;;#ASMSTART
	v_dot2_f32_f16 v16, v2, v27, v16
	;;#ASMEND
	;;#ASMSTART
	v_dot2_f32_f16 v16, v3, v28, v16
	;;#ASMEND
	;;#ASMSTART
	v_dot2_f32_f16 v16, v4, v29, v16
	;;#ASMEND
	;;#ASMSTART
	v_dot2_f32_f16 v16, v5, v30, v16
	;;#ASMEND
	;; [unrolled: 13-line block ×3, first 2 shown]
	;;#ASMSTART
	v_dot2_f32_f16 v17, v53, v27, v17
	;;#ASMEND
	;;#ASMSTART
	v_dot2_f32_f16 v17, v54, v28, v17
	;;#ASMEND
	;; [unrolled: 3-line block ×4, first 2 shown]
	s_waitcnt lgkmcnt(1)
	;;#ASMSTART
	v_dot2_f32_f16 v21, v57, v23, v21
	;;#ASMEND
	;;#ASMSTART
	v_dot2_f32_f16 v21, v58, v24, v21
	;;#ASMEND
	;; [unrolled: 3-line block ×8, first 2 shown]
	s_waitcnt lgkmcnt(0)
	;;#ASMSTART
	v_dot2_f32_f16 v22, v61, v23, v22
	;;#ASMEND
	;;#ASMSTART
	v_dot2_f32_f16 v22, v62, v24, v22
	;;#ASMEND
	;;#ASMSTART
	v_dot2_f32_f16 v22, v63, v25, v22
	;;#ASMEND
	;;#ASMSTART
	v_dot2_f32_f16 v22, v64, v26, v22
	;;#ASMEND
	;;#ASMSTART
	v_dot2_f32_f16 v15, v61, v27, v15
	;;#ASMEND
	;;#ASMSTART
	v_dot2_f32_f16 v15, v62, v28, v15
	;;#ASMEND
	;;#ASMSTART
	v_dot2_f32_f16 v15, v63, v29, v15
	;;#ASMEND
	;;#ASMSTART
	v_dot2_f32_f16 v15, v64, v30, v15
	;;#ASMEND
	ds_load_b128 v[23:26], v50 offset:240
	ds_load_b128 v[27:30], v41 offset:39152
	;; [unrolled: 1-line block ×6, first 2 shown]
	s_waitcnt lgkmcnt(4)
	;;#ASMSTART
	v_dot2_f32_f16 v19, v23, v27, v19
	;;#ASMEND
	;;#ASMSTART
	v_dot2_f32_f16 v19, v24, v28, v19
	;;#ASMEND
	;;#ASMSTART
	v_dot2_f32_f16 v19, v25, v29, v19
	;;#ASMEND
	;;#ASMSTART
	v_dot2_f32_f16 v19, v26, v30, v19
	;;#ASMEND
	s_waitcnt lgkmcnt(3)
	;;#ASMSTART
	v_dot2_f32_f16 v16, v23, v53, v16
	;;#ASMEND
	;;#ASMSTART
	v_dot2_f32_f16 v16, v24, v54, v16
	;;#ASMEND
	;;#ASMSTART
	v_dot2_f32_f16 v16, v25, v55, v16
	;;#ASMEND
	;;#ASMSTART
	v_dot2_f32_f16 v16, v26, v56, v16
	;;#ASMEND
	;; [unrolled: 13-line block ×3, first 2 shown]
	;;#ASMSTART
	v_dot2_f32_f16 v17, v57, v53, v17
	;;#ASMEND
	;;#ASMSTART
	v_dot2_f32_f16 v17, v58, v54, v17
	;;#ASMEND
	;; [unrolled: 3-line block ×4, first 2 shown]
	s_waitcnt lgkmcnt(1)
	;;#ASMSTART
	v_dot2_f32_f16 v21, v61, v27, v21
	;;#ASMEND
	;;#ASMSTART
	v_dot2_f32_f16 v21, v62, v28, v21
	;;#ASMEND
	;; [unrolled: 3-line block ×5, first 2 shown]
	v_mad_u64_u32 v[4:5], null, v47, s17, s[16:17]
	;;#ASMSTART
	v_dot2_f32_f16 v18, v62, v54, v18
	;;#ASMEND
	;;#ASMSTART
	v_dot2_f32_f16 v18, v63, v55, v18
	;;#ASMEND
	v_mov_b32_e32 v3, v1
	;;#ASMSTART
	v_dot2_f32_f16 v18, v64, v56, v18
	;;#ASMEND
	s_waitcnt lgkmcnt(0)
	;;#ASMSTART
	v_dot2_f32_f16 v22, v65, v27, v22
	;;#ASMEND
	v_mov_b32_e32 v2, v0
	;;#ASMSTART
	v_dot2_f32_f16 v22, v66, v28, v22
	;;#ASMEND
	;;#ASMSTART
	v_dot2_f32_f16 v22, v67, v29, v22
	;;#ASMEND
	;; [unrolled: 3-line block ×7, first 2 shown]
	s_and_saveexec_b32 s11, s10
	s_cbranch_execz .LBB59_36
; %bb.32:
	s_and_not1_b32 vcc_lo, exec_lo, s12
	s_cbranch_vccnz .LBB59_34
; %bb.33:
	v_add_nc_u32_e32 v2, v4, v38
	s_delay_alu instid0(VALU_DEP_1) | instskip(NEXT) | instid1(VALU_DEP_1)
	v_ashrrev_i32_e32 v3, 31, v2
	v_lshlrev_b64 v[2:3], 1, v[2:3]
	s_delay_alu instid0(VALU_DEP_1) | instskip(NEXT) | instid1(VALU_DEP_2)
	v_add_co_u32 v2, vcc_lo, s40, v2
	v_add_co_ci_u32_e32 v3, vcc_lo, s41, v3, vcc_lo
	flat_load_u16 v2, v[2:3]
	s_waitcnt vmcnt(0) lgkmcnt(0)
	v_cvt_f32_f16_e32 v2, v2
	s_delay_alu instid0(VALU_DEP_1)
	v_mul_f32_e32 v2, v43, v2
	s_branch .LBB59_35
.LBB59_34:
	v_mov_b32_e32 v2, 0
.LBB59_35:
	s_delay_alu instid0(VALU_DEP_1) | instskip(NEXT) | instid1(VALU_DEP_1)
	v_dual_add_f32 v19, v19, v2 :: v_dual_max_f32 v2, v0, v0
	v_add_f32_e32 v3, 0x40051340, v19
	s_delay_alu instid0(VALU_DEP_1)
	v_dual_max_f32 v2, v2, v3 :: v_dual_mov_b32 v3, v1
.LBB59_36:
	s_or_b32 exec_lo, exec_lo, s11
	v_add_nc_u32_e32 v28, 32, v38
	s_delay_alu instid0(VALU_DEP_1) | instskip(NEXT) | instid1(VALU_DEP_1)
	v_cmp_gt_i32_e64 s11, s20, v28
	s_and_saveexec_b32 s12, s11
	s_cbranch_execz .LBB59_41
; %bb.37:
	v_cmp_ne_u32_e32 vcc_lo, 1, v33
	s_cbranch_vccnz .LBB59_39
; %bb.38:
	v_ashrrev_i32_e32 v5, 31, v4
	v_add_co_u32 v23, vcc_lo, v4, v38
	s_delay_alu instid0(VALU_DEP_2) | instskip(NEXT) | instid1(VALU_DEP_1)
	v_add_co_ci_u32_e32 v24, vcc_lo, 0, v5, vcc_lo
	v_lshlrev_b64 v[23:24], 1, v[23:24]
	s_delay_alu instid0(VALU_DEP_1) | instskip(NEXT) | instid1(VALU_DEP_2)
	v_add_co_u32 v23, vcc_lo, s40, v23
	v_add_co_ci_u32_e32 v24, vcc_lo, s41, v24, vcc_lo
	flat_load_u16 v5, v[23:24] offset:64
	s_waitcnt vmcnt(0) lgkmcnt(0)
	v_cvt_f32_f16_e32 v5, v5
	s_delay_alu instid0(VALU_DEP_1)
	v_mul_f32_e32 v5, v43, v5
	s_branch .LBB59_40
.LBB59_39:
	v_mov_b32_e32 v5, 0
.LBB59_40:
	s_delay_alu instid0(VALU_DEP_1) | instskip(NEXT) | instid1(VALU_DEP_1)
	v_add_f32_e32 v20, v20, v5
	v_dual_max_f32 v2, v2, v2 :: v_dual_add_f32 v5, 0x40051340, v20
	s_delay_alu instid0(VALU_DEP_1)
	v_max_f32_e32 v2, v2, v5
.LBB59_41:
	s_or_b32 exec_lo, exec_lo, s12
	v_add_nc_u32_e32 v29, 64, v38
	s_delay_alu instid0(VALU_DEP_1) | instskip(NEXT) | instid1(VALU_DEP_1)
	v_cmp_gt_i32_e64 s12, s20, v29
	s_and_saveexec_b32 s13, s12
	s_cbranch_execz .LBB59_46
; %bb.42:
	v_cmp_ne_u32_e32 vcc_lo, 1, v33
	s_cbranch_vccnz .LBB59_44
; %bb.43:
	v_ashrrev_i32_e32 v5, 31, v4
	v_add_co_u32 v23, vcc_lo, v4, v38
	s_delay_alu instid0(VALU_DEP_2) | instskip(NEXT) | instid1(VALU_DEP_1)
	v_add_co_ci_u32_e32 v24, vcc_lo, 0, v5, vcc_lo
	v_lshlrev_b64 v[23:24], 1, v[23:24]
	s_delay_alu instid0(VALU_DEP_1) | instskip(NEXT) | instid1(VALU_DEP_2)
	v_add_co_u32 v23, vcc_lo, s40, v23
	v_add_co_ci_u32_e32 v24, vcc_lo, s41, v24, vcc_lo
	flat_load_u16 v5, v[23:24] offset:128
	s_waitcnt vmcnt(0) lgkmcnt(0)
	v_cvt_f32_f16_e32 v5, v5
	s_delay_alu instid0(VALU_DEP_1)
	v_mul_f32_e32 v5, v43, v5
	s_branch .LBB59_45
.LBB59_44:
	v_mov_b32_e32 v5, 0
.LBB59_45:
	s_delay_alu instid0(VALU_DEP_1) | instskip(NEXT) | instid1(VALU_DEP_1)
	v_dual_add_f32 v21, v21, v5 :: v_dual_max_f32 v2, v2, v2
	v_add_f32_e32 v5, 0x40051340, v21
	s_delay_alu instid0(VALU_DEP_1)
	v_max_f32_e32 v2, v2, v5
.LBB59_46:
	s_or_b32 exec_lo, exec_lo, s13
	v_add_nc_u32_e32 v30, 0x60, v38
	s_delay_alu instid0(VALU_DEP_1) | instskip(NEXT) | instid1(VALU_DEP_1)
	v_cmp_gt_i32_e64 s13, s20, v30
	s_and_saveexec_b32 s21, s13
	s_cbranch_execz .LBB59_51
; %bb.47:
	v_cmp_ne_u32_e32 vcc_lo, 1, v33
	s_cbranch_vccnz .LBB59_49
; %bb.48:
	v_ashrrev_i32_e32 v5, 31, v4
	v_add_co_u32 v4, vcc_lo, v4, v38
	s_delay_alu instid0(VALU_DEP_2) | instskip(NEXT) | instid1(VALU_DEP_1)
	v_add_co_ci_u32_e32 v5, vcc_lo, 0, v5, vcc_lo
	v_lshlrev_b64 v[4:5], 1, v[4:5]
	s_delay_alu instid0(VALU_DEP_1) | instskip(NEXT) | instid1(VALU_DEP_2)
	v_add_co_u32 v4, vcc_lo, s40, v4
	v_add_co_ci_u32_e32 v5, vcc_lo, s41, v5, vcc_lo
	flat_load_u16 v4, v[4:5] offset:192
	s_waitcnt vmcnt(0) lgkmcnt(0)
	v_cvt_f32_f16_e32 v4, v4
	s_delay_alu instid0(VALU_DEP_1)
	v_mul_f32_e32 v4, v43, v4
	s_branch .LBB59_50
.LBB59_49:
	v_mov_b32_e32 v4, 0
.LBB59_50:
	s_delay_alu instid0(VALU_DEP_1) | instskip(SKIP_1) | instid1(VALU_DEP_2)
	v_add_f32_e32 v22, v22, v4
	v_max_f32_e32 v2, v2, v2
	v_add_f32_e32 v4, 0x40051340, v22
	s_delay_alu instid0(VALU_DEP_1)
	v_max_f32_e32 v2, v2, v4
.LBB59_51:
	s_or_b32 exec_lo, exec_lo, s21
	v_xor_b32_e32 v24, 16, v40
	v_xor_b32_e32 v23, 8, v40
	;; [unrolled: 1-line block ×5, first 2 shown]
	v_cmp_gt_i32_e32 vcc_lo, 32, v24
	v_mul_hi_u32 v54, s36, v45
	v_cndmask_b32_e32 v4, v40, v24, vcc_lo
	v_cmp_gt_i32_e32 vcc_lo, 32, v23
	v_cndmask_b32_e32 v5, v40, v23, vcc_lo
	v_cmp_gt_i32_e32 vcc_lo, 32, v25
	s_delay_alu instid0(VALU_DEP_2)
	v_lshlrev_b32_e32 v53, 2, v5
	v_dual_cndmask_b32 v5, v40, v25 :: v_dual_lshlrev_b32 v50, 2, v4
	v_cmp_gt_i32_e32 vcc_lo, 32, v26
	ds_bpermute_b32 v4, v50, v2
	v_dual_max_f32 v2, v2, v2 :: v_dual_lshlrev_b32 v47, 2, v5
	v_cndmask_b32_e32 v5, v40, v26, vcc_lo
	v_cmp_gt_i32_e32 vcc_lo, 32, v27
	s_delay_alu instid0(VALU_DEP_2) | instskip(SKIP_1) | instid1(VALU_DEP_1)
	v_dual_cndmask_b32 v5, v40, v27 :: v_dual_lshlrev_b32 v32, 2, v5
	s_waitcnt lgkmcnt(0)
	v_dual_max_f32 v4, v4, v4 :: v_dual_lshlrev_b32 v31, 2, v5
	s_delay_alu instid0(VALU_DEP_1) | instskip(SKIP_3) | instid1(VALU_DEP_1)
	v_max_f32_e32 v2, v2, v4
	ds_bpermute_b32 v4, v53, v2
	s_waitcnt lgkmcnt(0)
	v_max_f32_e32 v4, v4, v4
	v_max_f32_e32 v2, v2, v4
	ds_bpermute_b32 v4, v47, v2
	s_waitcnt lgkmcnt(0)
	v_max_f32_e32 v4, v4, v4
	s_delay_alu instid0(VALU_DEP_1) | instskip(SKIP_3) | instid1(VALU_DEP_1)
	v_max_f32_e32 v2, v2, v4
	ds_bpermute_b32 v4, v32, v2
	s_waitcnt lgkmcnt(0)
	v_max_f32_e32 v4, v4, v4
	v_max_f32_e32 v2, v2, v4
	v_add_nc_u32_e32 v4, v45, v54
	ds_bpermute_b32 v5, v31, v2
	v_lshrrev_b32_e32 v4, s37, v4
	s_delay_alu instid0(VALU_DEP_1) | instskip(NEXT) | instid1(VALU_DEP_1)
	v_mul_lo_u32 v4, v4, s38
	v_sub_nc_u32_e32 v45, v45, v4
	s_waitcnt lgkmcnt(0)
	v_max_f32_e32 v54, v5, v5
	s_delay_alu instid0(VALU_DEP_2) | instskip(NEXT) | instid1(VALU_DEP_2)
	v_mad_u64_u32 v[4:5], null, v45, s17, s[16:17]
	v_dual_mov_b32 v5, 32 :: v_dual_max_f32 v2, v2, v54
	s_and_saveexec_b32 s17, s10
	s_cbranch_execnz .LBB59_55
; %bb.52:
	s_or_b32 exec_lo, exec_lo, s17
	s_and_saveexec_b32 s10, s11
	s_cbranch_execnz .LBB59_59
.LBB59_53:
	s_or_b32 exec_lo, exec_lo, s10
	s_and_saveexec_b32 s10, s12
	s_cbranch_execnz .LBB59_63
.LBB59_54:
	s_or_b32 exec_lo, exec_lo, s10
	s_and_saveexec_b32 s10, s13
	s_cbranch_execnz .LBB59_67
	s_branch .LBB59_71
.LBB59_55:
	v_cmp_ne_u32_e32 vcc_lo, 1, v33
	s_cbranch_vccnz .LBB59_57
; %bb.56:
	s_delay_alu instid0(VALU_DEP_3) | instskip(NEXT) | instid1(VALU_DEP_1)
	v_add_nc_u32_e32 v54, v4, v38
	v_ashrrev_i32_e32 v55, 31, v54
	s_delay_alu instid0(VALU_DEP_1) | instskip(NEXT) | instid1(VALU_DEP_1)
	v_lshlrev_b64 v[54:55], 1, v[54:55]
	v_add_co_u32 v54, vcc_lo, s40, v54
	s_delay_alu instid0(VALU_DEP_2) | instskip(SKIP_3) | instid1(VALU_DEP_1)
	v_add_co_ci_u32_e32 v55, vcc_lo, s41, v55, vcc_lo
	flat_load_u16 v45, v[54:55]
	s_waitcnt vmcnt(0) lgkmcnt(0)
	v_cvt_f32_f16_e32 v45, v45
	v_mul_f32_e32 v45, v43, v45
	s_branch .LBB59_58
.LBB59_57:
	v_mov_b32_e32 v45, 0
.LBB59_58:
	s_delay_alu instid0(VALU_DEP_1) | instskip(NEXT) | instid1(VALU_DEP_1)
	v_dual_add_f32 v16, v16, v45 :: v_dual_max_f32 v3, v3, v3
	v_add_f32_e32 v45, 0x40051340, v16
	s_delay_alu instid0(VALU_DEP_1)
	v_max_f32_e32 v3, v3, v45
	s_or_b32 exec_lo, exec_lo, s17
	s_and_saveexec_b32 s10, s11
	s_cbranch_execz .LBB59_53
.LBB59_59:
	v_cmp_ne_u32_e32 vcc_lo, 1, v33
	s_cbranch_vccnz .LBB59_61
; %bb.60:
	v_ashrrev_i32_e32 v45, 31, v4
	v_add_co_u32 v54, vcc_lo, v4, v38
	s_delay_alu instid0(VALU_DEP_2) | instskip(NEXT) | instid1(VALU_DEP_1)
	v_add_co_ci_u32_e32 v55, vcc_lo, 0, v45, vcc_lo
	v_lshlrev_b64 v[54:55], 1, v[54:55]
	s_delay_alu instid0(VALU_DEP_1) | instskip(NEXT) | instid1(VALU_DEP_2)
	v_add_co_u32 v54, vcc_lo, s40, v54
	v_add_co_ci_u32_e32 v55, vcc_lo, s41, v55, vcc_lo
	flat_load_u16 v45, v[54:55] offset:64
	s_waitcnt vmcnt(0) lgkmcnt(0)
	v_cvt_f32_f16_e32 v45, v45
	s_delay_alu instid0(VALU_DEP_1)
	v_mul_f32_e32 v45, v43, v45
	s_branch .LBB59_62
.LBB59_61:
	v_mov_b32_e32 v45, 0
.LBB59_62:
	s_delay_alu instid0(VALU_DEP_1) | instskip(SKIP_1) | instid1(VALU_DEP_2)
	v_add_f32_e32 v17, v17, v45
	v_max_f32_e32 v3, v3, v3
	v_add_f32_e32 v45, 0x40051340, v17
	s_delay_alu instid0(VALU_DEP_1)
	v_max_f32_e32 v3, v3, v45
	s_or_b32 exec_lo, exec_lo, s10
	s_and_saveexec_b32 s10, s12
	s_cbranch_execz .LBB59_54
.LBB59_63:
	v_cmp_ne_u32_e32 vcc_lo, 1, v33
	s_cbranch_vccnz .LBB59_65
; %bb.64:
	v_ashrrev_i32_e32 v45, 31, v4
	v_add_co_u32 v54, vcc_lo, v4, v38
	s_delay_alu instid0(VALU_DEP_2) | instskip(NEXT) | instid1(VALU_DEP_1)
	v_add_co_ci_u32_e32 v55, vcc_lo, 0, v45, vcc_lo
	v_lshlrev_b64 v[54:55], 1, v[54:55]
	s_delay_alu instid0(VALU_DEP_1) | instskip(NEXT) | instid1(VALU_DEP_2)
	v_add_co_u32 v54, vcc_lo, s40, v54
	v_add_co_ci_u32_e32 v55, vcc_lo, s41, v55, vcc_lo
	flat_load_u16 v45, v[54:55] offset:128
	s_waitcnt vmcnt(0) lgkmcnt(0)
	v_cvt_f32_f16_e32 v45, v45
	s_delay_alu instid0(VALU_DEP_1)
	v_mul_f32_e32 v45, v43, v45
	s_branch .LBB59_66
.LBB59_65:
	v_mov_b32_e32 v45, 0
.LBB59_66:
	s_delay_alu instid0(VALU_DEP_1) | instskip(NEXT) | instid1(VALU_DEP_1)
	v_dual_add_f32 v18, v18, v45 :: v_dual_max_f32 v3, v3, v3
	v_add_f32_e32 v45, 0x40051340, v18
	s_delay_alu instid0(VALU_DEP_1)
	v_max_f32_e32 v3, v3, v45
	s_or_b32 exec_lo, exec_lo, s10
	s_and_saveexec_b32 s10, s13
	s_cbranch_execz .LBB59_71
.LBB59_67:
	v_cmp_ne_u32_e32 vcc_lo, 1, v33
	s_cbranch_vccnz .LBB59_69
; %bb.68:
	v_ashrrev_i32_e32 v33, 31, v4
	v_add_co_u32 v54, vcc_lo, v4, v38
	s_delay_alu instid0(VALU_DEP_2) | instskip(NEXT) | instid1(VALU_DEP_1)
	v_add_co_ci_u32_e32 v55, vcc_lo, 0, v33, vcc_lo
	v_lshlrev_b64 v[54:55], 1, v[54:55]
	s_delay_alu instid0(VALU_DEP_1) | instskip(NEXT) | instid1(VALU_DEP_2)
	v_add_co_u32 v54, vcc_lo, s40, v54
	v_add_co_ci_u32_e32 v55, vcc_lo, s41, v55, vcc_lo
	flat_load_u16 v4, v[54:55] offset:192
	s_waitcnt vmcnt(0) lgkmcnt(0)
	v_cvt_f32_f16_e32 v4, v4
	s_delay_alu instid0(VALU_DEP_1)
	v_mul_f32_e32 v4, v43, v4
	s_branch .LBB59_70
.LBB59_69:
	v_mov_b32_e32 v4, 0
.LBB59_70:
	s_delay_alu instid0(VALU_DEP_1) | instskip(SKIP_1) | instid1(VALU_DEP_2)
	v_add_f32_e32 v15, v15, v4
	v_max_f32_e32 v3, v3, v3
	v_add_f32_e32 v4, 0x40051340, v15
	s_delay_alu instid0(VALU_DEP_1)
	v_max_f32_e32 v3, v3, v4
.LBB59_71:
	s_or_b32 exec_lo, exec_lo, s10
	ds_bpermute_b32 v4, v50, v3
	v_max_f32_e32 v3, v3, v3
	s_mov_b32 s40, 0
	v_mul_lo_u32 v56, s22, v7
	s_mov_b32 s42, s40
	s_mov_b32 s41, s40
	v_sub_f32_e32 v21, v21, v2
	s_mul_hi_i32 s11, s16, s22
	s_mul_i32 s10, s16, s22
	s_mov_b64 s[16:17], src_private_base
	s_lshl_b64 s[10:11], s[10:11], 2
	v_ashrrev_i32_e32 v57, 31, v56
	s_add_u32 s16, s19, s10
	s_addc_u32 s18, s18, s11
	v_sub_f32_e32 v0, v0, v2
	v_cmp_gt_u32_e64 s10, s20, v28
	v_cmp_gt_u32_e64 s11, s20, v29
	;; [unrolled: 1-line block ×3, first 2 shown]
	s_waitcnt lgkmcnt(0)
	s_barrier
	v_max_f32_e32 v4, v4, v4
	buffer_gl0_inv
	v_lshl_or_b32 v7, v7, 8, v6
	v_lshl_or_b32 v9, v9, 8, v6
	;; [unrolled: 1-line block ×3, first 2 shown]
	v_dual_max_f32 v3, v3, v4 :: v_dual_sub_f32 v20, v20, v2
	v_sub_f32_e32 v19, v19, v2
	v_sub_f32_e32 v22, v22, v2
	ds_bpermute_b32 v4, v53, v3
	v_dual_mov_b32 v55, s42 :: v_dual_mov_b32 v54, s41
	v_dual_mul_f32 v58, 0x3fb8aa3b, v22 :: v_dual_mov_b32 v43, 0
	v_mul_f32_e32 v50, 0x3fb8aa3b, v21
	s_delay_alu instid0(VALU_DEP_2) | instskip(SKIP_1) | instid1(VALU_DEP_3)
	v_fma_f32 v69, 0x3fb8aa3b, v22, -v58
	v_rndne_f32_e32 v70, v58
	v_rndne_f32_e32 v68, v50
	v_mul_f32_e32 v45, 0x3fb8aa3b, v19
	v_fma_f32 v67, 0x3fb8aa3b, v21, -v50
	v_fmac_f32_e32 v69, 0x32a5705f, v22
	v_sub_f32_e32 v58, v58, v70
	v_sub_f32_e32 v50, v50, v68
	v_fma_f32 v63, 0x3fb8aa3b, v19, -v45
	v_rndne_f32_e32 v64, v45
	v_fmac_f32_e32 v67, 0x32a5705f, v21
	v_add_f32_e32 v58, v58, v69
	s_waitcnt lgkmcnt(0)
	v_dual_max_f32 v4, v4, v4 :: v_dual_fmac_f32 v63, 0x32a5705f, v19
	s_delay_alu instid0(VALU_DEP_3) | instskip(NEXT) | instid1(VALU_DEP_3)
	v_dual_sub_f32 v45, v45, v64 :: v_dual_add_f32 v50, v50, v67
	v_exp_f32_e32 v58, v58
	s_delay_alu instid0(VALU_DEP_2) | instskip(NEXT) | instid1(VALU_DEP_2)
	v_max_f32_e32 v3, v3, v4
	v_add_f32_e32 v45, v45, v63
	s_delay_alu instid0(VALU_DEP_3) | instskip(SKIP_4) | instid1(VALU_DEP_1)
	v_exp_f32_e32 v50, v50
	ds_bpermute_b32 v4, v47, v3
	v_add_nc_u32_e32 v33, 0x8800, v41
	v_mul_f32_e32 v47, 0x3fb8aa3b, v20
	v_exp_f32_e32 v45, v45
	v_fma_f32 v65, 0x3fb8aa3b, v20, -v47
	v_rndne_f32_e32 v66, v47
	s_delay_alu instid0(VALU_DEP_2) | instskip(SKIP_4) | instid1(VALU_DEP_3)
	v_fmac_f32_e32 v65, 0x32a5705f, v20
	s_waitcnt lgkmcnt(0)
	v_dual_max_f32 v4, v4, v4 :: v_dual_mov_b32 v53, s40
	v_lshl_add_u32 v60, v28, 2, v33
	v_lshl_add_u32 v61, v29, 2, v33
	v_max_f32_e32 v62, v3, v4
	v_lshlrev_b64 v[3:4], 2, v[56:57]
	v_cvt_i32_f32_e32 v57, v64
	v_cvt_i32_f32_e32 v64, v66
	s_clause 0x1
	scratch_store_b32 off, v43, off
	scratch_store_b96 off, v[53:55], off offset:4
	ds_bpermute_b32 v32, v32, v62
	v_add_nc_u32_e32 v59, v33, v37
	v_add_co_u32 v3, vcc_lo, s16, v3
	v_add_co_ci_u32_e32 v4, vcc_lo, s18, v4, vcc_lo
	v_lshl_add_u32 v33, v30, 2, v33
	s_delay_alu instid0(VALU_DEP_3) | instskip(SKIP_4) | instid1(VALU_DEP_2)
	v_add_co_u32 v63, vcc_lo, v3, v6
	v_ldexp_f32 v3, v45, v57
	s_waitcnt lgkmcnt(0)
	v_dual_max_f32 v32, v32, v32 :: v_dual_sub_f32 v47, v47, v66
	v_cvt_i32_f32_e32 v66, v68
	v_dual_max_f32 v32, v62, v32 :: v_dual_add_f32 v47, v47, v65
	v_add_co_ci_u32_e32 v65, vcc_lo, 0, v4, vcc_lo
	v_cmp_ngt_f32_e32 vcc_lo, 0xc2ce8ed0, v19
	ds_bpermute_b32 v31, v31, v32
	v_exp_f32_e32 v47, v47
	v_cvt_i32_f32_e32 v62, v70
	v_ldexp_f32 v45, v50, v66
	v_cndmask_b32_e32 v3, 0, v3, vcc_lo
	v_cmp_ngt_f32_e32 vcc_lo, 0xc2ce8ed0, v20
	s_waitcnt_depctr 0xfff
	v_ldexp_f32 v4, v47, v64
	v_ldexp_f32 v47, v58, v62
	s_delay_alu instid0(VALU_DEP_2)
	v_cndmask_b32_e32 v4, 0, v4, vcc_lo
	v_cmp_ngt_f32_e32 vcc_lo, 0xc2ce8ed0, v21
	s_waitcnt lgkmcnt(0)
	v_max_f32_e32 v31, v31, v31
	v_cndmask_b32_e32 v45, 0, v45, vcc_lo
	v_cmp_ngt_f32_e32 vcc_lo, 0xc2ce8ed0, v22
	v_cndmask_b32_e32 v47, 0, v47, vcc_lo
	v_cmp_nlt_f32_e32 vcc_lo, 0x42b17218, v19
	v_cndmask_b32_e32 v19, 0x7f800000, v3, vcc_lo
	v_max_f32_e32 v3, v32, v31
	v_cmp_nlt_f32_e32 vcc_lo, 0x42b17218, v20
	s_delay_alu instid0(VALU_DEP_2) | instskip(SKIP_2) | instid1(VALU_DEP_3)
	v_dual_sub_f32 v15, v15, v3 :: v_dual_cndmask_b32 v4, 0x7f800000, v4
	v_cmp_nlt_f32_e32 vcc_lo, 0x42b17218, v21
	v_sub_f32_e32 v16, v16, v3
	v_mul_f32_e32 v32, 0x3fb8aa3b, v15
	s_delay_alu instid0(VALU_DEP_4) | instskip(NEXT) | instid1(VALU_DEP_3)
	v_cndmask_b32_e64 v20, 0, v4, s10
	v_cmp_ngt_f32_e64 s13, 0xc2ce8ed0, v16
	s_delay_alu instid0(VALU_DEP_3) | instskip(SKIP_1) | instid1(VALU_DEP_2)
	v_fma_f32 v64, 0x3fb8aa3b, v15, -v32
	v_rndne_f32_e32 v66, v32
	v_fmac_f32_e32 v64, 0x32a5705f, v15
	v_dual_sub_f32 v31, v18, v3 :: v_dual_mul_f32 v18, 0x3fb8aa3b, v16
	s_delay_alu instid0(VALU_DEP_3) | instskip(NEXT) | instid1(VALU_DEP_2)
	v_sub_f32_e32 v32, v32, v66
	v_mul_f32_e32 v28, 0x3fb8aa3b, v31
	v_cndmask_b32_e32 v21, 0x7f800000, v45, vcc_lo
	s_delay_alu instid0(VALU_DEP_4) | instskip(NEXT) | instid1(VALU_DEP_4)
	v_fma_f32 v45, 0x3fb8aa3b, v16, -v18
	v_add_f32_e32 v32, v32, v64
	v_cmp_nlt_f32_e32 vcc_lo, 0x42b17218, v22
	v_fma_f32 v58, 0x3fb8aa3b, v31, -v28
	v_rndne_f32_e32 v62, v28
	v_fmac_f32_e32 v45, 0x32a5705f, v16
	v_cndmask_b32_e64 v21, 0, v21, s11
	s_delay_alu instid0(VALU_DEP_4) | instskip(NEXT) | instid1(VALU_DEP_4)
	v_fmac_f32_e32 v58, 0x32a5705f, v31
	v_dual_sub_f32 v28, v28, v62 :: v_dual_sub_f32 v17, v17, v3
	s_delay_alu instid0(VALU_DEP_1) | instskip(NEXT) | instid1(VALU_DEP_2)
	v_add_f32_e32 v28, v28, v58
	v_mul_f32_e32 v4, 0x3fb8aa3b, v17
	s_delay_alu instid0(VALU_DEP_2) | instskip(NEXT) | instid1(VALU_DEP_1)
	v_exp_f32_e32 v28, v28
	v_fma_f32 v50, 0x3fb8aa3b, v17, -v4
	v_rndne_f32_e32 v57, v4
	s_delay_alu instid0(VALU_DEP_2) | instskip(SKIP_4) | instid1(VALU_DEP_3)
	v_fmac_f32_e32 v50, 0x32a5705f, v17
	v_cndmask_b32_e32 v22, 0x7f800000, v47, vcc_lo
	v_rndne_f32_e32 v47, v18
	v_cmp_gt_u32_e32 vcc_lo, s20, v38
	v_sub_f32_e32 v4, v4, v57
	v_sub_f32_e32 v18, v18, v47
	s_delay_alu instid0(VALU_DEP_2) | instskip(SKIP_1) | instid1(VALU_DEP_3)
	v_dual_cndmask_b32 v19, 0, v19 :: v_dual_add_f32 v4, v4, v50
	v_cvt_i32_f32_e32 v50, v66
	v_add_f32_e32 v29, v18, v45
	v_cndmask_b32_e64 v18, 0, v22, s12
	s_delay_alu instid0(VALU_DEP_4)
	v_exp_f32_e32 v4, v4
	v_cvt_i32_f32_e32 v45, v57
	v_cvt_f16_f32_e32 v30, v19
	v_exp_f32_e32 v22, v29
	v_exp_f32_e32 v29, v32
	v_cvt_i32_f32_e32 v32, v47
	v_cvt_i32_f32_e32 v47, v62
	v_cvt_f16_f32_e32 v57, v20
	v_add_f32_e32 v19, v19, v20
	s_delay_alu instid0(TRANS32_DEP_3) | instskip(NEXT) | instid1(VALU_DEP_4)
	v_ldexp_f32 v4, v4, v45
	v_ldexp_f32 v28, v28, v47
	s_delay_alu instid0(TRANS32_DEP_2) | instskip(NEXT) | instid1(TRANS32_DEP_1)
	v_ldexp_f32 v22, v22, v32
	v_ldexp_f32 v29, v29, v50
	s_delay_alu instid0(VALU_DEP_2) | instskip(SKIP_1) | instid1(VALU_DEP_1)
	v_cndmask_b32_e64 v22, 0, v22, s13
	v_cmp_ngt_f32_e64 s13, 0xc2ce8ed0, v17
	v_cndmask_b32_e64 v4, 0, v4, s13
	v_cmp_ngt_f32_e64 s13, 0xc2ce8ed0, v31
	s_delay_alu instid0(VALU_DEP_1) | instskip(SKIP_1) | instid1(VALU_DEP_1)
	v_cndmask_b32_e64 v28, 0, v28, s13
	v_cmp_ngt_f32_e64 s13, 0xc2ce8ed0, v15
	v_cndmask_b32_e64 v29, 0, v29, s13
	v_cmp_nlt_f32_e64 s13, 0x42b17218, v16
	s_delay_alu instid0(VALU_DEP_1) | instskip(SKIP_1) | instid1(VALU_DEP_2)
	v_cndmask_b32_e64 v16, 0x7f800000, v22, s13
	v_cmp_nlt_f32_e64 s13, 0x42b17218, v17
	v_cndmask_b32_e32 v16, 0, v16, vcc_lo
	s_delay_alu instid0(VALU_DEP_2) | instskip(SKIP_3) | instid1(VALU_DEP_4)
	v_cndmask_b32_e64 v4, 0x7f800000, v4, s13
	v_cmp_nlt_f32_e64 s13, 0x42b17218, v31
	v_cvt_f16_f32_e32 v31, v21
	v_sub_f32_e32 v1, v1, v3
	v_cndmask_b32_e64 v17, 0, v4, s10
	s_delay_alu instid0(VALU_DEP_4) | instskip(SKIP_1) | instid1(VALU_DEP_3)
	v_cndmask_b32_e64 v22, 0x7f800000, v28, s13
	v_cmp_nlt_f32_e64 s13, 0x42b17218, v15
	v_cvt_f16_f32_e32 v32, v17
	s_delay_alu instid0(VALU_DEP_3) | instskip(NEXT) | instid1(VALU_DEP_3)
	v_cndmask_b32_e64 v15, 0, v22, s11
	v_cndmask_b32_e64 v28, 0x7f800000, v29, s13
	v_cvt_f16_f32_e32 v22, v18
	v_cndmask_b32_e64 v29, s17, v65, s2
	v_pack_b32_f16 v32, v57, v32
	v_cvt_f16_f32_e32 v45, v15
	v_cndmask_b32_e64 v4, 0, v28, s12
	v_cvt_f16_f32_e32 v28, v16
	s_delay_alu instid0(VALU_DEP_3) | instskip(NEXT) | instid1(VALU_DEP_3)
	v_pack_b32_f16 v31, v31, v45
	v_cvt_f16_f32_e32 v47, v4
	s_delay_alu instid0(VALU_DEP_3) | instskip(SKIP_2) | instid1(VALU_DEP_3)
	v_pack_b32_f16 v30, v30, v28
	v_cndmask_b32_e64 v28, 0, v63, s2
	s_lshl_b32 s2, s22, 4
	v_pack_b32_f16 v22, v22, v47
	ds_store_b32 v59, v30
	ds_store_b32 v60, v32
	;; [unrolled: 1-line block ×4, first 2 shown]
	flat_load_b128 v[28:31], v[28:29]
	v_add_nc_u32_e32 v32, s2, v56
	s_clause 0x1
	scratch_store_b32 off, v43, off
	scratch_store_b96 off, v[53:55], off offset:4
	v_ashrrev_i32_e32 v33, 31, v32
	s_delay_alu instid0(VALU_DEP_1) | instskip(SKIP_1) | instid1(VALU_DEP_2)
	v_lshlrev_b64 v[56:57], 2, v[32:33]
	v_add_nc_u32_e32 v32, s2, v32
	v_add_co_u32 v22, vcc_lo, s16, v56
	s_delay_alu instid0(VALU_DEP_3) | instskip(NEXT) | instid1(VALU_DEP_2)
	v_add_co_ci_u32_e32 v33, vcc_lo, s18, v57, vcc_lo
	v_add_co_u32 v22, vcc_lo, v22, v6
	s_delay_alu instid0(VALU_DEP_2) | instskip(NEXT) | instid1(VALU_DEP_2)
	v_add_co_ci_u32_e32 v33, vcc_lo, 0, v33, vcc_lo
	v_cndmask_b32_e64 v56, 0, v22, s3
	s_delay_alu instid0(VALU_DEP_2)
	v_cndmask_b32_e64 v57, s17, v33, s3
	v_ashrrev_i32_e32 v33, 31, v32
	s_waitcnt vmcnt(0) lgkmcnt(0)
	ds_store_b128 v7, v[28:31]
	flat_load_b128 v[28:31], v[56:57]
	v_lshlrev_b64 v[56:57], 2, v[32:33]
	s_clause 0x1
	scratch_store_b32 off, v43, off
	scratch_store_b96 off, v[53:55], off offset:4
	v_add_nc_u32_e32 v32, s2, v32
	v_add_co_u32 v7, vcc_lo, s16, v56
	v_add_co_ci_u32_e32 v22, vcc_lo, s18, v57, vcc_lo
	s_delay_alu instid0(VALU_DEP_3) | instskip(NEXT) | instid1(VALU_DEP_3)
	v_ashrrev_i32_e32 v33, 31, v32
	v_add_co_u32 v7, vcc_lo, v7, v6
	s_delay_alu instid0(VALU_DEP_3) | instskip(NEXT) | instid1(VALU_DEP_2)
	v_add_co_ci_u32_e32 v22, vcc_lo, 0, v22, vcc_lo
	v_cndmask_b32_e64 v56, 0, v7, s4
	s_delay_alu instid0(VALU_DEP_2)
	v_cndmask_b32_e64 v57, s17, v22, s4
	v_lshl_or_b32 v22, v10, 8, v6
	s_waitcnt vmcnt(0) lgkmcnt(0)
	ds_store_b128 v9, v[28:31]
	flat_load_b128 v[28:31], v[56:57]
	v_lshlrev_b64 v[56:57], 2, v[32:33]
	s_clause 0x1
	scratch_store_b32 off, v43, off
	scratch_store_b96 off, v[53:55], off offset:4
	v_add_co_u32 v7, vcc_lo, s16, v56
	v_add_co_ci_u32_e32 v9, vcc_lo, s18, v57, vcc_lo
	s_delay_alu instid0(VALU_DEP_2) | instskip(NEXT) | instid1(VALU_DEP_2)
	v_add_co_u32 v7, vcc_lo, v7, v6
	v_add_co_ci_u32_e32 v9, vcc_lo, 0, v9, vcc_lo
	s_delay_alu instid0(VALU_DEP_1) | instskip(NEXT) | instid1(VALU_DEP_3)
	v_cndmask_b32_e64 v10, s17, v9, s5
	v_cndmask_b32_e64 v9, 0, v7, s5
	s_waitcnt vmcnt(0) lgkmcnt(0)
	ds_store_b128 v22, v[28:31]
	flat_load_b128 v[28:31], v[9:10]
	v_add_nc_u32_e32 v9, s2, v32
	v_lshl_or_b32 v22, v11, 8, v6
	s_clause 0x1
	scratch_store_b32 off, v43, off
	scratch_store_b96 off, v[53:55], off offset:4
	v_ashrrev_i32_e32 v10, 31, v9
	s_delay_alu instid0(VALU_DEP_1) | instskip(NEXT) | instid1(VALU_DEP_1)
	v_lshlrev_b64 v[32:33], 2, v[9:10]
	v_add_co_u32 v7, vcc_lo, s16, v32
	s_delay_alu instid0(VALU_DEP_2) | instskip(SKIP_1) | instid1(VALU_DEP_3)
	v_add_co_ci_u32_e32 v10, vcc_lo, s18, v33, vcc_lo
	v_add_nc_u32_e32 v32, s2, v9
	v_add_co_u32 v7, vcc_lo, v7, v6
	s_delay_alu instid0(VALU_DEP_3) | instskip(NEXT) | instid1(VALU_DEP_3)
	v_add_co_ci_u32_e32 v10, vcc_lo, 0, v10, vcc_lo
	v_ashrrev_i32_e32 v33, 31, v32
	s_delay_alu instid0(VALU_DEP_2) | instskip(NEXT) | instid1(VALU_DEP_4)
	v_cndmask_b32_e64 v11, s17, v10, s6
	v_cndmask_b32_e64 v10, 0, v7, s6
	s_waitcnt vmcnt(0) lgkmcnt(0)
	ds_store_b128 v22, v[28:31]
	flat_load_b128 v[28:31], v[10:11]
	v_lshlrev_b64 v[9:10], 2, v[32:33]
	v_lshl_or_b32 v11, v12, 8, v6
	s_clause 0x1
	scratch_store_b32 off, v43, off
	scratch_store_b96 off, v[53:55], off offset:4
	v_add_co_u32 v7, vcc_lo, s16, v9
	v_add_co_ci_u32_e32 v9, vcc_lo, s18, v10, vcc_lo
	s_delay_alu instid0(VALU_DEP_2) | instskip(NEXT) | instid1(VALU_DEP_2)
	v_add_co_u32 v7, vcc_lo, v7, v6
	v_add_co_ci_u32_e32 v9, vcc_lo, 0, v9, vcc_lo
	s_delay_alu instid0(VALU_DEP_1) | instskip(NEXT) | instid1(VALU_DEP_3)
	v_cndmask_b32_e64 v10, s17, v9, s7
	v_cndmask_b32_e64 v9, 0, v7, s7
	s_waitcnt vmcnt(0) lgkmcnt(0)
	ds_store_b128 v11, v[28:31]
	flat_load_b128 v[9:12], v[9:10]
	v_add_nc_u32_e32 v28, s2, v32
	s_clause 0x1
	scratch_store_b32 off, v43, off
	scratch_store_b96 off, v[53:55], off offset:4
	v_ashrrev_i32_e32 v29, 31, v28
	s_delay_alu instid0(VALU_DEP_1) | instskip(SKIP_1) | instid1(VALU_DEP_2)
	v_lshlrev_b64 v[29:30], 2, v[28:29]
	v_add_nc_u32_e32 v28, s2, v28
	v_add_co_u32 v7, vcc_lo, s16, v29
	s_delay_alu instid0(VALU_DEP_3) | instskip(NEXT) | instid1(VALU_DEP_2)
	v_add_co_ci_u32_e32 v22, vcc_lo, s18, v30, vcc_lo
	v_add_co_u32 v7, vcc_lo, v7, v6
	s_delay_alu instid0(VALU_DEP_2) | instskip(NEXT) | instid1(VALU_DEP_2)
	v_add_co_ci_u32_e32 v22, vcc_lo, 0, v22, vcc_lo
	v_cndmask_b32_e64 v29, 0, v7, s8
	s_delay_alu instid0(VALU_DEP_2)
	v_cndmask_b32_e64 v30, s17, v22, s8
	v_lshl_or_b32 v22, v14, 8, v6
	s_waitcnt vmcnt(0) lgkmcnt(0)
	ds_store_b128 v13, v[9:12]
	flat_load_b128 v[9:12], v[29:30]
	v_ashrrev_i32_e32 v29, 31, v28
	s_clause 0x1
	scratch_store_b32 off, v43, off
	scratch_store_b96 off, v[53:55], off offset:4
	v_lshlrev_b64 v[28:29], 2, v[28:29]
	s_delay_alu instid0(VALU_DEP_1) | instskip(NEXT) | instid1(VALU_DEP_2)
	v_add_co_u32 v7, vcc_lo, s16, v28
	v_add_co_ci_u32_e32 v13, vcc_lo, s18, v29, vcc_lo
	s_delay_alu instid0(VALU_DEP_2) | instskip(NEXT) | instid1(VALU_DEP_2)
	v_add_co_u32 v7, vcc_lo, v7, v6
	v_add_co_ci_u32_e32 v13, vcc_lo, 0, v13, vcc_lo
	v_lshl_or_b32 v6, v8, 8, v6
	v_cmp_ngt_f32_e32 vcc_lo, 0xc2ce8ed0, v1
	s_delay_alu instid0(VALU_DEP_3)
	v_cndmask_b32_e64 v14, s17, v13, s9
	v_cndmask_b32_e64 v13, 0, v7, s9
	s_waitcnt vmcnt(0) lgkmcnt(0)
	ds_store_b128 v22, v[9:12]
	flat_load_b128 v[9:12], v[13:14]
	v_mul_f32_e32 v13, 0x3fb8aa3b, v1
	s_delay_alu instid0(VALU_DEP_1) | instskip(SKIP_1) | instid1(VALU_DEP_2)
	v_fma_f32 v28, 0x3fb8aa3b, v1, -v13
	v_rndne_f32_e32 v29, v13
	v_fmac_f32_e32 v28, 0x32a5705f, v1
	s_delay_alu instid0(VALU_DEP_2) | instskip(NEXT) | instid1(VALU_DEP_1)
	v_sub_f32_e32 v13, v13, v29
	v_add_f32_e32 v13, v13, v28
	v_mul_f32_e32 v7, 0x3fb8aa3b, v0
	s_delay_alu instid0(VALU_DEP_2) | instskip(NEXT) | instid1(VALU_DEP_1)
	v_exp_f32_e32 v13, v13
	v_fma_f32 v14, 0x3fb8aa3b, v0, -v7
	v_rndne_f32_e32 v22, v7
	s_delay_alu instid0(VALU_DEP_1) | instskip(NEXT) | instid1(VALU_DEP_1)
	v_dual_fmac_f32 v14, 0x32a5705f, v0 :: v_dual_sub_f32 v7, v7, v22
	v_add_f32_e32 v7, v7, v14
	v_cvt_i32_f32_e32 v14, v22
	v_cvt_i32_f32_e32 v22, v29
	s_delay_alu instid0(VALU_DEP_3)
	v_exp_f32_e32 v7, v7
	s_delay_alu instid0(TRANS32_DEP_2) | instid1(VALU_DEP_1)
	v_ldexp_f32 v22, v13, v22
	s_waitcnt_depctr 0xfff
	v_ldexp_f32 v28, v7, v14
	s_waitcnt vmcnt(0) lgkmcnt(0)
	ds_store_b128 v6, v[9:12]
	s_waitcnt lgkmcnt(0)
	s_waitcnt_vscnt null, 0x0
	s_barrier
	buffer_gl0_inv
	ds_load_2addr_b64 v[7:10], v42 offset1:32
	ds_load_b128 v[11:14], v41 offset:34816
	v_cndmask_b32_e32 v6, 0, v22, vcc_lo
	v_cmp_ngt_f32_e32 vcc_lo, 0xc2ce8ed0, v0
	v_cndmask_b32_e32 v22, 0, v28, vcc_lo
	v_cmp_nlt_f32_e32 vcc_lo, 0x42b17218, v1
	ds_load_2addr_b64 v[28:31], v42 offset0:64 offset1:96
	ds_load_2addr_b64 v[53:56], v42 offset0:128 offset1:160
	ds_load_b128 v[57:60], v41 offset:34832
	v_cndmask_b32_e32 v6, 0x7f800000, v6, vcc_lo
	v_cmp_nlt_f32_e32 vcc_lo, 0x42b17218, v0
	s_delay_alu instid0(VALU_DEP_2)
	v_cvt_f16_f32_e32 v1, v6
	v_cndmask_b32_e32 v0, 0x7f800000, v22, vcc_lo
	s_waitcnt lgkmcnt(3)
	v_pk_mul_f16 v33, v7, v11 op_sel_hi:[1,0]
	v_pk_mul_f16 v7, v7, v11 op_sel:[0,1]
	v_pk_mul_f16 v43, v8, v11 op_sel_hi:[1,0]
	v_pk_mul_f16 v32, v1, v44 op_sel_hi:[0,1]
	v_cvt_f16_f32_e32 v22, v0
	s_delay_alu instid0(VALU_DEP_4) | instskip(NEXT) | instid1(VALU_DEP_3)
	v_pk_fma_f16 v1, v1, v46, v7 op_sel_hi:[0,1,1]
	v_pk_fma_f16 v8, v8, v11, v32 op_sel:[0,1,0]
	s_delay_alu instid0(VALU_DEP_3) | instskip(SKIP_1) | instid1(VALU_DEP_4)
	v_pk_fma_f16 v11, v22, v48, v33 op_sel_hi:[0,1,1]
	v_pk_fma_f16 v7, v22, v49, v43 op_sel_hi:[0,1,1]
	v_pk_fma_f16 v1, v9, v12, v1 op_sel:[0,1,0]
	v_add_nc_u32_e32 v22, 0x800, v42
	v_pk_fma_f16 v8, v10, v12, v8 op_sel:[0,1,0]
	v_pk_fma_f16 v11, v9, v12, v11 op_sel_hi:[1,0,1]
	v_pk_fma_f16 v12, v10, v12, v7 op_sel_hi:[1,0,1]
	s_waitcnt lgkmcnt(2)
	v_pk_fma_f16 v1, v28, v13, v1 op_sel:[0,1,0]
	ds_load_2addr_b64 v[43:46], v22 offset1:32
	v_pk_fma_f16 v32, v29, v13, v8 op_sel:[0,1,0]
	ds_load_2addr_b64 v[7:10], v42 offset0:192 offset1:224
	v_pk_fma_f16 v11, v28, v13, v11 op_sel_hi:[1,0,1]
	v_pk_fma_f16 v12, v29, v13, v12 op_sel_hi:[1,0,1]
	v_pk_fma_f16 v1, v30, v14, v1 op_sel:[0,1,0]
	v_pk_fma_f16 v13, v31, v14, v32 op_sel:[0,1,0]
	s_delay_alu instid0(VALU_DEP_4) | instskip(NEXT) | instid1(VALU_DEP_4)
	v_pk_fma_f16 v28, v30, v14, v11 op_sel_hi:[1,0,1]
	v_pk_fma_f16 v29, v31, v14, v12 op_sel_hi:[1,0,1]
	s_waitcnt lgkmcnt(2)
	v_pk_fma_f16 v1, v53, v57, v1 op_sel:[0,1,0]
	v_pk_fma_f16 v30, v54, v57, v13 op_sel:[0,1,0]
	ds_load_b128 v[11:14], v41 offset:34848
	v_pk_fma_f16 v32, v53, v57, v28 op_sel_hi:[1,0,1]
	v_pk_fma_f16 v33, v54, v57, v29 op_sel_hi:[1,0,1]
	v_pk_fma_f16 v1, v55, v58, v1 op_sel:[0,1,0]
	v_pk_fma_f16 v47, v56, v58, v30 op_sel:[0,1,0]
	ds_load_2addr_b64 v[28:31], v22 offset0:64 offset1:96
	v_pk_fma_f16 v32, v55, v58, v32 op_sel_hi:[1,0,1]
	v_pk_fma_f16 v33, v56, v58, v33 op_sel_hi:[1,0,1]
	s_waitcnt lgkmcnt(2)
	v_pk_fma_f16 v53, v8, v59, v47 op_sel:[0,1,0]
	s_delay_alu instid0(VALU_DEP_3)
	v_pk_fma_f16 v32, v7, v59, v32 op_sel_hi:[1,0,1]
	v_pk_fma_f16 v1, v7, v59, v1 op_sel:[0,1,0]
	v_pk_fma_f16 v7, v8, v59, v33 op_sel_hi:[1,0,1]
	ds_load_2addr_b64 v[47:50], v22 offset0:128 offset1:160
	v_pk_fma_f16 v8, v10, v60, v53 op_sel:[0,1,0]
	ds_load_b128 v[53:56], v41 offset:34864
	v_pk_fma_f16 v32, v9, v60, v32 op_sel_hi:[1,0,1]
	v_pk_fma_f16 v1, v9, v60, v1 op_sel:[0,1,0]
	v_pk_fma_f16 v7, v10, v60, v7 op_sel_hi:[1,0,1]
	s_waitcnt lgkmcnt(3)
	v_pk_fma_f16 v8, v44, v11, v8 op_sel:[0,1,0]
	ds_load_b128 v[57:60], v41 offset:34896
	v_pk_fma_f16 v9, v43, v11, v32 op_sel_hi:[1,0,1]
	v_pk_fma_f16 v1, v43, v11, v1 op_sel:[0,1,0]
	v_pk_fma_f16 v7, v44, v11, v7 op_sel_hi:[1,0,1]
	v_pk_fma_f16 v8, v46, v12, v8 op_sel:[0,1,0]
	v_add_nc_u32_e32 v32, 0x1000, v42
	v_pk_fma_f16 v11, v45, v12, v9 op_sel_hi:[1,0,1]
	v_pk_fma_f16 v1, v45, v12, v1 op_sel:[0,1,0]
	v_pk_fma_f16 v12, v46, v12, v7 op_sel_hi:[1,0,1]
	s_waitcnt lgkmcnt(3)
	v_pk_fma_f16 v33, v29, v13, v8 op_sel:[0,1,0]
	ds_load_2addr_b64 v[7:10], v22 offset0:192 offset1:224
	v_pk_fma_f16 v11, v28, v13, v11 op_sel_hi:[1,0,1]
	v_pk_fma_f16 v1, v28, v13, v1 op_sel:[0,1,0]
	v_pk_fma_f16 v12, v29, v13, v12 op_sel_hi:[1,0,1]
	v_pk_fma_f16 v13, v31, v14, v33 op_sel:[0,1,0]
	ds_load_2addr_b64 v[43:46], v32 offset1:32
	v_pk_fma_f16 v22, v30, v14, v11 op_sel_hi:[1,0,1]
	v_pk_fma_f16 v1, v30, v14, v1 op_sel:[0,1,0]
	v_pk_fma_f16 v28, v31, v14, v12 op_sel_hi:[1,0,1]
	s_waitcnt lgkmcnt(3)
	v_pk_fma_f16 v29, v48, v53, v13 op_sel:[0,1,0]
	ds_load_b128 v[11:14], v41 offset:34880
	v_pk_fma_f16 v22, v47, v53, v22 op_sel_hi:[1,0,1]
	v_pk_fma_f16 v1, v47, v53, v1 op_sel:[0,1,0]
	v_pk_fma_f16 v33, v48, v53, v28 op_sel_hi:[1,0,1]
	v_pk_fma_f16 v47, v50, v54, v29 op_sel:[0,1,0]
	ds_load_2addr_b64 v[28:31], v32 offset0:64 offset1:96
	v_pk_fma_f16 v22, v49, v54, v22 op_sel_hi:[1,0,1]
	v_pk_fma_f16 v1, v49, v54, v1 op_sel:[0,1,0]
	v_pk_fma_f16 v33, v50, v54, v33 op_sel_hi:[1,0,1]
	s_waitcnt lgkmcnt(3)
	v_pk_fma_f16 v53, v8, v55, v47 op_sel:[0,1,0]
	v_pk_fma_f16 v22, v7, v55, v22 op_sel_hi:[1,0,1]
	v_pk_fma_f16 v1, v7, v55, v1 op_sel:[0,1,0]
	v_pk_fma_f16 v7, v8, v55, v33 op_sel_hi:[1,0,1]
	ds_load_2addr_b64 v[47:50], v32 offset0:128 offset1:160
	v_pk_fma_f16 v8, v10, v56, v53 op_sel:[0,1,0]
	v_pk_fma_f16 v22, v9, v56, v22 op_sel_hi:[1,0,1]
	v_pk_fma_f16 v1, v9, v56, v1 op_sel:[0,1,0]
	v_pk_fma_f16 v7, v10, v56, v7 op_sel_hi:[1,0,1]
	s_waitcnt lgkmcnt(2)
	v_pk_fma_f16 v8, v44, v11, v8 op_sel:[0,1,0]
	v_pk_fma_f16 v9, v43, v11, v22 op_sel_hi:[1,0,1]
	v_pk_fma_f16 v1, v43, v11, v1 op_sel:[0,1,0]
	v_pk_fma_f16 v7, v44, v11, v7 op_sel_hi:[1,0,1]
	v_add_nc_u32_e32 v22, 0x1800, v42
	v_pk_fma_f16 v8, v46, v12, v8 op_sel:[0,1,0]
	v_pk_fma_f16 v11, v45, v12, v9 op_sel_hi:[1,0,1]
	v_pk_fma_f16 v1, v45, v12, v1 op_sel:[0,1,0]
	v_pk_fma_f16 v12, v46, v12, v7 op_sel_hi:[1,0,1]
	ds_load_2addr_b64 v[43:46], v22 offset1:32
	s_waitcnt lgkmcnt(2)
	v_pk_fma_f16 v33, v29, v13, v8 op_sel:[0,1,0]
	ds_load_2addr_b64 v[7:10], v32 offset0:192 offset1:224
	v_pk_fma_f16 v11, v28, v13, v11 op_sel_hi:[1,0,1]
	v_pk_fma_f16 v1, v28, v13, v1 op_sel:[0,1,0]
	v_pk_fma_f16 v12, v29, v13, v12 op_sel_hi:[1,0,1]
	v_pk_fma_f16 v13, v31, v14, v33 op_sel:[0,1,0]
	s_delay_alu instid0(VALU_DEP_4) | instskip(NEXT) | instid1(VALU_DEP_4)
	v_pk_fma_f16 v28, v30, v14, v11 op_sel_hi:[1,0,1]
	v_pk_fma_f16 v1, v30, v14, v1 op_sel:[0,1,0]
	s_delay_alu instid0(VALU_DEP_4)
	v_pk_fma_f16 v29, v31, v14, v12 op_sel_hi:[1,0,1]
	s_waitcnt lgkmcnt(2)
	v_pk_fma_f16 v30, v48, v57, v13 op_sel:[0,1,0]
	ds_load_b128 v[11:14], v41 offset:34912
	v_pk_fma_f16 v32, v47, v57, v28 op_sel_hi:[1,0,1]
	v_pk_fma_f16 v1, v47, v57, v1 op_sel:[0,1,0]
	v_pk_fma_f16 v33, v48, v57, v29 op_sel_hi:[1,0,1]
	v_pk_fma_f16 v47, v50, v58, v30 op_sel:[0,1,0]
	ds_load_2addr_b64 v[28:31], v22 offset0:64 offset1:96
	v_pk_fma_f16 v32, v49, v58, v32 op_sel_hi:[1,0,1]
	v_pk_fma_f16 v1, v49, v58, v1 op_sel:[0,1,0]
	v_pk_fma_f16 v33, v50, v58, v33 op_sel_hi:[1,0,1]
	s_waitcnt lgkmcnt(2)
	v_pk_fma_f16 v53, v8, v59, v47 op_sel:[0,1,0]
	v_pk_fma_f16 v32, v7, v59, v32 op_sel_hi:[1,0,1]
	v_pk_fma_f16 v1, v7, v59, v1 op_sel:[0,1,0]
	v_pk_fma_f16 v7, v8, v59, v33 op_sel_hi:[1,0,1]
	ds_load_2addr_b64 v[47:50], v22 offset0:128 offset1:160
	v_pk_fma_f16 v8, v10, v60, v53 op_sel:[0,1,0]
	ds_load_b128 v[53:56], v41 offset:34928
	v_pk_fma_f16 v32, v9, v60, v32 op_sel_hi:[1,0,1]
	v_pk_fma_f16 v1, v9, v60, v1 op_sel:[0,1,0]
	v_pk_fma_f16 v7, v10, v60, v7 op_sel_hi:[1,0,1]
	s_waitcnt lgkmcnt(3)
	v_pk_fma_f16 v8, v44, v11, v8 op_sel:[0,1,0]
	ds_load_b128 v[57:60], v41 offset:34960
	v_pk_fma_f16 v9, v43, v11, v32 op_sel_hi:[1,0,1]
	v_pk_fma_f16 v1, v43, v11, v1 op_sel:[0,1,0]
	v_pk_fma_f16 v7, v44, v11, v7 op_sel_hi:[1,0,1]
	v_pk_fma_f16 v8, v46, v12, v8 op_sel:[0,1,0]
	v_add_nc_u32_e32 v32, 0x2000, v42
	v_pk_fma_f16 v11, v45, v12, v9 op_sel_hi:[1,0,1]
	v_pk_fma_f16 v1, v45, v12, v1 op_sel:[0,1,0]
	v_pk_fma_f16 v12, v46, v12, v7 op_sel_hi:[1,0,1]
	s_waitcnt lgkmcnt(3)
	v_pk_fma_f16 v33, v29, v13, v8 op_sel:[0,1,0]
	ds_load_2addr_b64 v[7:10], v22 offset0:192 offset1:224
	v_pk_fma_f16 v11, v28, v13, v11 op_sel_hi:[1,0,1]
	v_pk_fma_f16 v1, v28, v13, v1 op_sel:[0,1,0]
	v_pk_fma_f16 v12, v29, v13, v12 op_sel_hi:[1,0,1]
	v_pk_fma_f16 v13, v31, v14, v33 op_sel:[0,1,0]
	ds_load_2addr_b64 v[43:46], v32 offset1:32
	v_pk_fma_f16 v22, v30, v14, v11 op_sel_hi:[1,0,1]
	v_pk_fma_f16 v1, v30, v14, v1 op_sel:[0,1,0]
	v_pk_fma_f16 v28, v31, v14, v12 op_sel_hi:[1,0,1]
	s_waitcnt lgkmcnt(3)
	v_pk_fma_f16 v29, v48, v53, v13 op_sel:[0,1,0]
	ds_load_b128 v[11:14], v41 offset:34944
	v_pk_fma_f16 v22, v47, v53, v22 op_sel_hi:[1,0,1]
	v_pk_fma_f16 v1, v47, v53, v1 op_sel:[0,1,0]
	v_pk_fma_f16 v33, v48, v53, v28 op_sel_hi:[1,0,1]
	v_pk_fma_f16 v47, v50, v54, v29 op_sel:[0,1,0]
	ds_load_2addr_b64 v[28:31], v32 offset0:64 offset1:96
	v_pk_fma_f16 v22, v49, v54, v22 op_sel_hi:[1,0,1]
	v_pk_fma_f16 v1, v49, v54, v1 op_sel:[0,1,0]
	v_pk_fma_f16 v33, v50, v54, v33 op_sel_hi:[1,0,1]
	s_waitcnt lgkmcnt(3)
	v_pk_fma_f16 v53, v8, v55, v47 op_sel:[0,1,0]
	v_pk_fma_f16 v22, v7, v55, v22 op_sel_hi:[1,0,1]
	v_pk_fma_f16 v1, v7, v55, v1 op_sel:[0,1,0]
	v_pk_fma_f16 v7, v8, v55, v33 op_sel_hi:[1,0,1]
	ds_load_2addr_b64 v[47:50], v32 offset0:128 offset1:160
	v_pk_fma_f16 v8, v10, v56, v53 op_sel:[0,1,0]
	v_pk_fma_f16 v22, v9, v56, v22 op_sel_hi:[1,0,1]
	v_pk_fma_f16 v1, v9, v56, v1 op_sel:[0,1,0]
	v_pk_fma_f16 v7, v10, v56, v7 op_sel_hi:[1,0,1]
	s_waitcnt lgkmcnt(2)
	v_pk_fma_f16 v8, v44, v11, v8 op_sel:[0,1,0]
	v_pk_fma_f16 v9, v43, v11, v22 op_sel_hi:[1,0,1]
	v_pk_fma_f16 v1, v43, v11, v1 op_sel:[0,1,0]
	v_pk_fma_f16 v7, v44, v11, v7 op_sel_hi:[1,0,1]
	v_add_nc_u32_e32 v22, 0x2800, v42
	v_pk_fma_f16 v8, v46, v12, v8 op_sel:[0,1,0]
	v_pk_fma_f16 v11, v45, v12, v9 op_sel_hi:[1,0,1]
	v_pk_fma_f16 v1, v45, v12, v1 op_sel:[0,1,0]
	v_pk_fma_f16 v12, v46, v12, v7 op_sel_hi:[1,0,1]
	ds_load_2addr_b64 v[43:46], v22 offset1:32
	s_waitcnt lgkmcnt(2)
	v_pk_fma_f16 v33, v29, v13, v8 op_sel:[0,1,0]
	ds_load_2addr_b64 v[7:10], v32 offset0:192 offset1:224
	v_pk_fma_f16 v11, v28, v13, v11 op_sel_hi:[1,0,1]
	v_pk_fma_f16 v1, v28, v13, v1 op_sel:[0,1,0]
	v_pk_fma_f16 v12, v29, v13, v12 op_sel_hi:[1,0,1]
	v_pk_fma_f16 v13, v31, v14, v33 op_sel:[0,1,0]
	s_delay_alu instid0(VALU_DEP_4) | instskip(NEXT) | instid1(VALU_DEP_4)
	v_pk_fma_f16 v28, v30, v14, v11 op_sel_hi:[1,0,1]
	v_pk_fma_f16 v1, v30, v14, v1 op_sel:[0,1,0]
	s_delay_alu instid0(VALU_DEP_4)
	v_pk_fma_f16 v29, v31, v14, v12 op_sel_hi:[1,0,1]
	s_waitcnt lgkmcnt(2)
	v_pk_fma_f16 v30, v48, v57, v13 op_sel:[0,1,0]
	ds_load_b128 v[11:14], v41 offset:34976
	v_pk_fma_f16 v32, v47, v57, v28 op_sel_hi:[1,0,1]
	v_pk_fma_f16 v1, v47, v57, v1 op_sel:[0,1,0]
	v_pk_fma_f16 v33, v48, v57, v29 op_sel_hi:[1,0,1]
	v_pk_fma_f16 v47, v50, v58, v30 op_sel:[0,1,0]
	ds_load_2addr_b64 v[28:31], v22 offset0:64 offset1:96
	v_pk_fma_f16 v32, v49, v58, v32 op_sel_hi:[1,0,1]
	v_pk_fma_f16 v1, v49, v58, v1 op_sel:[0,1,0]
	v_pk_fma_f16 v33, v50, v58, v33 op_sel_hi:[1,0,1]
	s_waitcnt lgkmcnt(2)
	v_pk_fma_f16 v53, v8, v59, v47 op_sel:[0,1,0]
	v_pk_fma_f16 v32, v7, v59, v32 op_sel_hi:[1,0,1]
	v_pk_fma_f16 v1, v7, v59, v1 op_sel:[0,1,0]
	v_pk_fma_f16 v7, v8, v59, v33 op_sel_hi:[1,0,1]
	ds_load_2addr_b64 v[47:50], v22 offset0:128 offset1:160
	v_pk_fma_f16 v8, v10, v60, v53 op_sel:[0,1,0]
	ds_load_b128 v[53:56], v41 offset:34992
	v_pk_fma_f16 v32, v9, v60, v32 op_sel_hi:[1,0,1]
	v_pk_fma_f16 v1, v9, v60, v1 op_sel:[0,1,0]
	v_pk_fma_f16 v7, v10, v60, v7 op_sel_hi:[1,0,1]
	s_waitcnt lgkmcnt(3)
	v_pk_fma_f16 v8, v44, v11, v8 op_sel:[0,1,0]
	ds_load_b128 v[57:60], v41 offset:35024
	v_pk_fma_f16 v9, v43, v11, v32 op_sel_hi:[1,0,1]
	v_pk_fma_f16 v1, v43, v11, v1 op_sel:[0,1,0]
	v_pk_fma_f16 v7, v44, v11, v7 op_sel_hi:[1,0,1]
	v_pk_fma_f16 v8, v46, v12, v8 op_sel:[0,1,0]
	v_add_nc_u32_e32 v32, 0x3000, v42
	v_pk_fma_f16 v11, v45, v12, v9 op_sel_hi:[1,0,1]
	v_pk_fma_f16 v1, v45, v12, v1 op_sel:[0,1,0]
	v_pk_fma_f16 v12, v46, v12, v7 op_sel_hi:[1,0,1]
	s_waitcnt lgkmcnt(3)
	v_pk_fma_f16 v33, v29, v13, v8 op_sel:[0,1,0]
	ds_load_2addr_b64 v[7:10], v22 offset0:192 offset1:224
	v_pk_fma_f16 v11, v28, v13, v11 op_sel_hi:[1,0,1]
	v_pk_fma_f16 v1, v28, v13, v1 op_sel:[0,1,0]
	v_pk_fma_f16 v12, v29, v13, v12 op_sel_hi:[1,0,1]
	v_pk_fma_f16 v13, v31, v14, v33 op_sel:[0,1,0]
	ds_load_2addr_b64 v[43:46], v32 offset1:32
	v_pk_fma_f16 v22, v30, v14, v11 op_sel_hi:[1,0,1]
	v_pk_fma_f16 v1, v30, v14, v1 op_sel:[0,1,0]
	v_pk_fma_f16 v28, v31, v14, v12 op_sel_hi:[1,0,1]
	s_waitcnt lgkmcnt(3)
	v_pk_fma_f16 v29, v48, v53, v13 op_sel:[0,1,0]
	ds_load_b128 v[11:14], v41 offset:35008
	v_pk_fma_f16 v22, v47, v53, v22 op_sel_hi:[1,0,1]
	v_pk_fma_f16 v1, v47, v53, v1 op_sel:[0,1,0]
	v_pk_fma_f16 v33, v48, v53, v28 op_sel_hi:[1,0,1]
	v_pk_fma_f16 v47, v50, v54, v29 op_sel:[0,1,0]
	ds_load_2addr_b64 v[28:31], v32 offset0:64 offset1:96
	v_pk_fma_f16 v22, v49, v54, v22 op_sel_hi:[1,0,1]
	v_pk_fma_f16 v1, v49, v54, v1 op_sel:[0,1,0]
	v_pk_fma_f16 v33, v50, v54, v33 op_sel_hi:[1,0,1]
	s_waitcnt lgkmcnt(3)
	v_pk_fma_f16 v53, v8, v55, v47 op_sel:[0,1,0]
	v_pk_fma_f16 v22, v7, v55, v22 op_sel_hi:[1,0,1]
	v_pk_fma_f16 v1, v7, v55, v1 op_sel:[0,1,0]
	v_pk_fma_f16 v7, v8, v55, v33 op_sel_hi:[1,0,1]
	ds_load_2addr_b64 v[47:50], v32 offset0:128 offset1:160
	v_pk_fma_f16 v8, v10, v56, v53 op_sel:[0,1,0]
	v_pk_fma_f16 v22, v9, v56, v22 op_sel_hi:[1,0,1]
	v_pk_fma_f16 v1, v9, v56, v1 op_sel:[0,1,0]
	v_pk_fma_f16 v7, v10, v56, v7 op_sel_hi:[1,0,1]
	s_waitcnt lgkmcnt(2)
	v_pk_fma_f16 v8, v44, v11, v8 op_sel:[0,1,0]
	v_pk_fma_f16 v9, v43, v11, v22 op_sel_hi:[1,0,1]
	v_pk_fma_f16 v1, v43, v11, v1 op_sel:[0,1,0]
	v_pk_fma_f16 v7, v44, v11, v7 op_sel_hi:[1,0,1]
	v_add_nc_u32_e32 v22, 0x3800, v42
	v_pk_fma_f16 v8, v46, v12, v8 op_sel:[0,1,0]
	v_pk_fma_f16 v11, v45, v12, v9 op_sel_hi:[1,0,1]
	v_pk_fma_f16 v1, v45, v12, v1 op_sel:[0,1,0]
	v_pk_fma_f16 v12, v46, v12, v7 op_sel_hi:[1,0,1]
	ds_load_2addr_b64 v[43:46], v22 offset1:32
	s_waitcnt lgkmcnt(2)
	v_pk_fma_f16 v33, v29, v13, v8 op_sel:[0,1,0]
	ds_load_2addr_b64 v[7:10], v32 offset0:192 offset1:224
	v_pk_fma_f16 v11, v28, v13, v11 op_sel_hi:[1,0,1]
	v_pk_fma_f16 v1, v28, v13, v1 op_sel:[0,1,0]
	v_pk_fma_f16 v12, v29, v13, v12 op_sel_hi:[1,0,1]
	v_pk_fma_f16 v13, v31, v14, v33 op_sel:[0,1,0]
	s_delay_alu instid0(VALU_DEP_4) | instskip(NEXT) | instid1(VALU_DEP_4)
	v_pk_fma_f16 v28, v30, v14, v11 op_sel_hi:[1,0,1]
	v_pk_fma_f16 v1, v30, v14, v1 op_sel:[0,1,0]
	s_delay_alu instid0(VALU_DEP_4)
	v_pk_fma_f16 v29, v31, v14, v12 op_sel_hi:[1,0,1]
	s_waitcnt lgkmcnt(2)
	v_pk_fma_f16 v30, v48, v57, v13 op_sel:[0,1,0]
	ds_load_b128 v[11:14], v41 offset:35040
	v_pk_fma_f16 v32, v47, v57, v28 op_sel_hi:[1,0,1]
	v_pk_fma_f16 v1, v47, v57, v1 op_sel:[0,1,0]
	v_pk_fma_f16 v33, v48, v57, v29 op_sel_hi:[1,0,1]
	v_pk_fma_f16 v47, v50, v58, v30 op_sel:[0,1,0]
	ds_load_2addr_b64 v[28:31], v22 offset0:64 offset1:96
	v_pk_fma_f16 v32, v49, v58, v32 op_sel_hi:[1,0,1]
	v_pk_fma_f16 v1, v49, v58, v1 op_sel:[0,1,0]
	v_pk_fma_f16 v33, v50, v58, v33 op_sel_hi:[1,0,1]
	s_waitcnt lgkmcnt(2)
	v_pk_fma_f16 v53, v8, v59, v47 op_sel:[0,1,0]
	v_pk_fma_f16 v32, v7, v59, v32 op_sel_hi:[1,0,1]
	v_pk_fma_f16 v1, v7, v59, v1 op_sel:[0,1,0]
	v_pk_fma_f16 v7, v8, v59, v33 op_sel_hi:[1,0,1]
	ds_load_2addr_b64 v[47:50], v22 offset0:128 offset1:160
	v_pk_fma_f16 v8, v10, v60, v53 op_sel:[0,1,0]
	ds_load_b128 v[53:56], v41 offset:35056
	v_pk_fma_f16 v32, v9, v60, v32 op_sel_hi:[1,0,1]
	v_pk_fma_f16 v1, v9, v60, v1 op_sel:[0,1,0]
	v_pk_fma_f16 v7, v10, v60, v7 op_sel_hi:[1,0,1]
	s_waitcnt lgkmcnt(3)
	v_pk_fma_f16 v8, v44, v11, v8 op_sel:[0,1,0]
	ds_load_b128 v[57:60], v41 offset:35088
	v_pk_fma_f16 v9, v43, v11, v32 op_sel_hi:[1,0,1]
	v_pk_fma_f16 v1, v43, v11, v1 op_sel:[0,1,0]
	v_pk_fma_f16 v7, v44, v11, v7 op_sel_hi:[1,0,1]
	v_pk_fma_f16 v8, v46, v12, v8 op_sel:[0,1,0]
	v_add_nc_u32_e32 v32, 0x4000, v42
	v_pk_fma_f16 v11, v45, v12, v9 op_sel_hi:[1,0,1]
	v_pk_fma_f16 v1, v45, v12, v1 op_sel:[0,1,0]
	v_pk_fma_f16 v12, v46, v12, v7 op_sel_hi:[1,0,1]
	s_waitcnt lgkmcnt(3)
	v_pk_fma_f16 v33, v29, v13, v8 op_sel:[0,1,0]
	ds_load_2addr_b64 v[7:10], v22 offset0:192 offset1:224
	v_pk_fma_f16 v11, v28, v13, v11 op_sel_hi:[1,0,1]
	v_pk_fma_f16 v1, v28, v13, v1 op_sel:[0,1,0]
	v_pk_fma_f16 v12, v29, v13, v12 op_sel_hi:[1,0,1]
	v_pk_fma_f16 v13, v31, v14, v33 op_sel:[0,1,0]
	ds_load_2addr_b64 v[43:46], v32 offset1:32
	v_pk_fma_f16 v22, v30, v14, v11 op_sel_hi:[1,0,1]
	v_pk_fma_f16 v1, v30, v14, v1 op_sel:[0,1,0]
	v_pk_fma_f16 v28, v31, v14, v12 op_sel_hi:[1,0,1]
	s_waitcnt lgkmcnt(3)
	v_pk_fma_f16 v29, v48, v53, v13 op_sel:[0,1,0]
	ds_load_b128 v[11:14], v41 offset:35072
	v_pk_fma_f16 v22, v47, v53, v22 op_sel_hi:[1,0,1]
	v_pk_fma_f16 v1, v47, v53, v1 op_sel:[0,1,0]
	v_pk_fma_f16 v33, v48, v53, v28 op_sel_hi:[1,0,1]
	v_pk_fma_f16 v47, v50, v54, v29 op_sel:[0,1,0]
	ds_load_2addr_b64 v[28:31], v32 offset0:64 offset1:96
	v_pk_fma_f16 v22, v49, v54, v22 op_sel_hi:[1,0,1]
	v_pk_fma_f16 v1, v49, v54, v1 op_sel:[0,1,0]
	v_pk_fma_f16 v33, v50, v54, v33 op_sel_hi:[1,0,1]
	s_waitcnt lgkmcnt(3)
	v_pk_fma_f16 v53, v8, v55, v47 op_sel:[0,1,0]
	v_pk_fma_f16 v22, v7, v55, v22 op_sel_hi:[1,0,1]
	v_pk_fma_f16 v1, v7, v55, v1 op_sel:[0,1,0]
	v_pk_fma_f16 v7, v8, v55, v33 op_sel_hi:[1,0,1]
	ds_load_2addr_b64 v[47:50], v32 offset0:128 offset1:160
	v_pk_fma_f16 v8, v10, v56, v53 op_sel:[0,1,0]
	v_pk_fma_f16 v22, v9, v56, v22 op_sel_hi:[1,0,1]
	v_pk_fma_f16 v1, v9, v56, v1 op_sel:[0,1,0]
	v_pk_fma_f16 v7, v10, v56, v7 op_sel_hi:[1,0,1]
	s_waitcnt lgkmcnt(2)
	v_pk_fma_f16 v8, v44, v11, v8 op_sel:[0,1,0]
	v_pk_fma_f16 v9, v43, v11, v22 op_sel_hi:[1,0,1]
	v_pk_fma_f16 v1, v43, v11, v1 op_sel:[0,1,0]
	v_pk_fma_f16 v7, v44, v11, v7 op_sel_hi:[1,0,1]
	v_add_nc_u32_e32 v22, 0x4800, v42
	v_pk_fma_f16 v8, v46, v12, v8 op_sel:[0,1,0]
	v_pk_fma_f16 v11, v45, v12, v9 op_sel_hi:[1,0,1]
	v_pk_fma_f16 v1, v45, v12, v1 op_sel:[0,1,0]
	v_pk_fma_f16 v12, v46, v12, v7 op_sel_hi:[1,0,1]
	ds_load_2addr_b64 v[43:46], v22 offset1:32
	s_waitcnt lgkmcnt(2)
	v_pk_fma_f16 v33, v29, v13, v8 op_sel:[0,1,0]
	ds_load_2addr_b64 v[7:10], v32 offset0:192 offset1:224
	v_pk_fma_f16 v11, v28, v13, v11 op_sel_hi:[1,0,1]
	v_pk_fma_f16 v1, v28, v13, v1 op_sel:[0,1,0]
	v_pk_fma_f16 v12, v29, v13, v12 op_sel_hi:[1,0,1]
	v_pk_fma_f16 v13, v31, v14, v33 op_sel:[0,1,0]
	s_delay_alu instid0(VALU_DEP_4) | instskip(NEXT) | instid1(VALU_DEP_4)
	v_pk_fma_f16 v28, v30, v14, v11 op_sel_hi:[1,0,1]
	v_pk_fma_f16 v1, v30, v14, v1 op_sel:[0,1,0]
	s_delay_alu instid0(VALU_DEP_4)
	v_pk_fma_f16 v29, v31, v14, v12 op_sel_hi:[1,0,1]
	s_waitcnt lgkmcnt(2)
	v_pk_fma_f16 v30, v48, v57, v13 op_sel:[0,1,0]
	ds_load_b128 v[11:14], v41 offset:35104
	v_pk_fma_f16 v32, v47, v57, v28 op_sel_hi:[1,0,1]
	v_pk_fma_f16 v1, v47, v57, v1 op_sel:[0,1,0]
	v_pk_fma_f16 v33, v48, v57, v29 op_sel_hi:[1,0,1]
	v_pk_fma_f16 v47, v50, v58, v30 op_sel:[0,1,0]
	ds_load_2addr_b64 v[28:31], v22 offset0:64 offset1:96
	v_pk_fma_f16 v32, v49, v58, v32 op_sel_hi:[1,0,1]
	v_pk_fma_f16 v1, v49, v58, v1 op_sel:[0,1,0]
	v_pk_fma_f16 v33, v50, v58, v33 op_sel_hi:[1,0,1]
	s_waitcnt lgkmcnt(2)
	v_pk_fma_f16 v53, v8, v59, v47 op_sel:[0,1,0]
	v_pk_fma_f16 v32, v7, v59, v32 op_sel_hi:[1,0,1]
	v_pk_fma_f16 v1, v7, v59, v1 op_sel:[0,1,0]
	v_pk_fma_f16 v7, v8, v59, v33 op_sel_hi:[1,0,1]
	ds_load_2addr_b64 v[47:50], v22 offset0:128 offset1:160
	v_pk_fma_f16 v8, v10, v60, v53 op_sel:[0,1,0]
	ds_load_b128 v[53:56], v41 offset:35120
	v_pk_fma_f16 v32, v9, v60, v32 op_sel_hi:[1,0,1]
	v_pk_fma_f16 v1, v9, v60, v1 op_sel:[0,1,0]
	v_pk_fma_f16 v7, v10, v60, v7 op_sel_hi:[1,0,1]
	s_waitcnt lgkmcnt(3)
	v_pk_fma_f16 v8, v44, v11, v8 op_sel:[0,1,0]
	ds_load_b128 v[57:60], v41 offset:35152
	v_pk_fma_f16 v9, v43, v11, v32 op_sel_hi:[1,0,1]
	v_pk_fma_f16 v1, v43, v11, v1 op_sel:[0,1,0]
	v_pk_fma_f16 v7, v44, v11, v7 op_sel_hi:[1,0,1]
	v_pk_fma_f16 v8, v46, v12, v8 op_sel:[0,1,0]
	v_add_nc_u32_e32 v32, 0x5000, v42
	v_pk_fma_f16 v11, v45, v12, v9 op_sel_hi:[1,0,1]
	v_pk_fma_f16 v1, v45, v12, v1 op_sel:[0,1,0]
	v_pk_fma_f16 v12, v46, v12, v7 op_sel_hi:[1,0,1]
	s_waitcnt lgkmcnt(3)
	v_pk_fma_f16 v33, v29, v13, v8 op_sel:[0,1,0]
	ds_load_2addr_b64 v[7:10], v22 offset0:192 offset1:224
	v_pk_fma_f16 v11, v28, v13, v11 op_sel_hi:[1,0,1]
	v_pk_fma_f16 v1, v28, v13, v1 op_sel:[0,1,0]
	v_pk_fma_f16 v12, v29, v13, v12 op_sel_hi:[1,0,1]
	v_pk_fma_f16 v13, v31, v14, v33 op_sel:[0,1,0]
	ds_load_2addr_b64 v[43:46], v32 offset1:32
	v_pk_fma_f16 v22, v30, v14, v11 op_sel_hi:[1,0,1]
	v_pk_fma_f16 v1, v30, v14, v1 op_sel:[0,1,0]
	v_pk_fma_f16 v28, v31, v14, v12 op_sel_hi:[1,0,1]
	s_waitcnt lgkmcnt(3)
	v_pk_fma_f16 v29, v48, v53, v13 op_sel:[0,1,0]
	ds_load_b128 v[11:14], v41 offset:35136
	v_pk_fma_f16 v22, v47, v53, v22 op_sel_hi:[1,0,1]
	v_pk_fma_f16 v1, v47, v53, v1 op_sel:[0,1,0]
	v_pk_fma_f16 v33, v48, v53, v28 op_sel_hi:[1,0,1]
	v_pk_fma_f16 v47, v50, v54, v29 op_sel:[0,1,0]
	ds_load_2addr_b64 v[28:31], v32 offset0:64 offset1:96
	v_pk_fma_f16 v22, v49, v54, v22 op_sel_hi:[1,0,1]
	v_pk_fma_f16 v1, v49, v54, v1 op_sel:[0,1,0]
	v_pk_fma_f16 v33, v50, v54, v33 op_sel_hi:[1,0,1]
	s_waitcnt lgkmcnt(3)
	v_pk_fma_f16 v53, v8, v55, v47 op_sel:[0,1,0]
	v_pk_fma_f16 v22, v7, v55, v22 op_sel_hi:[1,0,1]
	v_pk_fma_f16 v1, v7, v55, v1 op_sel:[0,1,0]
	v_pk_fma_f16 v7, v8, v55, v33 op_sel_hi:[1,0,1]
	ds_load_2addr_b64 v[47:50], v32 offset0:128 offset1:160
	v_pk_fma_f16 v8, v10, v56, v53 op_sel:[0,1,0]
	v_pk_fma_f16 v22, v9, v56, v22 op_sel_hi:[1,0,1]
	v_pk_fma_f16 v1, v9, v56, v1 op_sel:[0,1,0]
	v_pk_fma_f16 v7, v10, v56, v7 op_sel_hi:[1,0,1]
	s_waitcnt lgkmcnt(2)
	v_pk_fma_f16 v8, v44, v11, v8 op_sel:[0,1,0]
	v_pk_fma_f16 v9, v43, v11, v22 op_sel_hi:[1,0,1]
	v_pk_fma_f16 v1, v43, v11, v1 op_sel:[0,1,0]
	v_pk_fma_f16 v7, v44, v11, v7 op_sel_hi:[1,0,1]
	v_add_nc_u32_e32 v22, 0x5800, v42
	v_pk_fma_f16 v8, v46, v12, v8 op_sel:[0,1,0]
	v_pk_fma_f16 v11, v45, v12, v9 op_sel_hi:[1,0,1]
	v_pk_fma_f16 v1, v45, v12, v1 op_sel:[0,1,0]
	v_pk_fma_f16 v12, v46, v12, v7 op_sel_hi:[1,0,1]
	ds_load_2addr_b64 v[43:46], v22 offset1:32
	s_waitcnt lgkmcnt(2)
	v_pk_fma_f16 v33, v29, v13, v8 op_sel:[0,1,0]
	ds_load_2addr_b64 v[7:10], v32 offset0:192 offset1:224
	v_pk_fma_f16 v11, v28, v13, v11 op_sel_hi:[1,0,1]
	v_pk_fma_f16 v1, v28, v13, v1 op_sel:[0,1,0]
	v_pk_fma_f16 v12, v29, v13, v12 op_sel_hi:[1,0,1]
	v_pk_fma_f16 v13, v31, v14, v33 op_sel:[0,1,0]
	s_delay_alu instid0(VALU_DEP_4) | instskip(NEXT) | instid1(VALU_DEP_4)
	v_pk_fma_f16 v28, v30, v14, v11 op_sel_hi:[1,0,1]
	v_pk_fma_f16 v1, v30, v14, v1 op_sel:[0,1,0]
	s_delay_alu instid0(VALU_DEP_4)
	v_pk_fma_f16 v29, v31, v14, v12 op_sel_hi:[1,0,1]
	s_waitcnt lgkmcnt(2)
	v_pk_fma_f16 v30, v48, v57, v13 op_sel:[0,1,0]
	ds_load_b128 v[11:14], v41 offset:35168
	v_pk_fma_f16 v32, v47, v57, v28 op_sel_hi:[1,0,1]
	v_pk_fma_f16 v1, v47, v57, v1 op_sel:[0,1,0]
	v_pk_fma_f16 v33, v48, v57, v29 op_sel_hi:[1,0,1]
	v_pk_fma_f16 v47, v50, v58, v30 op_sel:[0,1,0]
	ds_load_2addr_b64 v[28:31], v22 offset0:64 offset1:96
	v_pk_fma_f16 v32, v49, v58, v32 op_sel_hi:[1,0,1]
	v_pk_fma_f16 v1, v49, v58, v1 op_sel:[0,1,0]
	v_pk_fma_f16 v33, v50, v58, v33 op_sel_hi:[1,0,1]
	s_waitcnt lgkmcnt(2)
	v_pk_fma_f16 v53, v8, v59, v47 op_sel:[0,1,0]
	v_pk_fma_f16 v32, v7, v59, v32 op_sel_hi:[1,0,1]
	v_pk_fma_f16 v1, v7, v59, v1 op_sel:[0,1,0]
	v_pk_fma_f16 v7, v8, v59, v33 op_sel_hi:[1,0,1]
	ds_load_2addr_b64 v[47:50], v22 offset0:128 offset1:160
	v_pk_fma_f16 v8, v10, v60, v53 op_sel:[0,1,0]
	ds_load_b128 v[53:56], v41 offset:35184
	v_pk_fma_f16 v32, v9, v60, v32 op_sel_hi:[1,0,1]
	v_pk_fma_f16 v1, v9, v60, v1 op_sel:[0,1,0]
	v_pk_fma_f16 v7, v10, v60, v7 op_sel_hi:[1,0,1]
	s_waitcnt lgkmcnt(3)
	v_pk_fma_f16 v8, v44, v11, v8 op_sel:[0,1,0]
	ds_load_b128 v[57:60], v41 offset:35216
	v_pk_fma_f16 v9, v43, v11, v32 op_sel_hi:[1,0,1]
	v_pk_fma_f16 v1, v43, v11, v1 op_sel:[0,1,0]
	v_pk_fma_f16 v7, v44, v11, v7 op_sel_hi:[1,0,1]
	v_pk_fma_f16 v8, v46, v12, v8 op_sel:[0,1,0]
	v_add_nc_u32_e32 v32, 0x6000, v42
	v_pk_fma_f16 v11, v45, v12, v9 op_sel_hi:[1,0,1]
	v_pk_fma_f16 v1, v45, v12, v1 op_sel:[0,1,0]
	v_pk_fma_f16 v12, v46, v12, v7 op_sel_hi:[1,0,1]
	s_waitcnt lgkmcnt(3)
	v_pk_fma_f16 v33, v29, v13, v8 op_sel:[0,1,0]
	ds_load_2addr_b64 v[7:10], v22 offset0:192 offset1:224
	v_pk_fma_f16 v11, v28, v13, v11 op_sel_hi:[1,0,1]
	v_pk_fma_f16 v1, v28, v13, v1 op_sel:[0,1,0]
	v_pk_fma_f16 v12, v29, v13, v12 op_sel_hi:[1,0,1]
	v_pk_fma_f16 v13, v31, v14, v33 op_sel:[0,1,0]
	ds_load_2addr_b64 v[43:46], v32 offset1:32
	v_pk_fma_f16 v22, v30, v14, v11 op_sel_hi:[1,0,1]
	v_pk_fma_f16 v1, v30, v14, v1 op_sel:[0,1,0]
	v_pk_fma_f16 v28, v31, v14, v12 op_sel_hi:[1,0,1]
	s_waitcnt lgkmcnt(3)
	v_pk_fma_f16 v29, v48, v53, v13 op_sel:[0,1,0]
	ds_load_b128 v[11:14], v41 offset:35200
	v_pk_fma_f16 v22, v47, v53, v22 op_sel_hi:[1,0,1]
	v_pk_fma_f16 v1, v47, v53, v1 op_sel:[0,1,0]
	v_pk_fma_f16 v33, v48, v53, v28 op_sel_hi:[1,0,1]
	v_pk_fma_f16 v47, v50, v54, v29 op_sel:[0,1,0]
	ds_load_2addr_b64 v[28:31], v32 offset0:64 offset1:96
	v_pk_fma_f16 v22, v49, v54, v22 op_sel_hi:[1,0,1]
	v_pk_fma_f16 v1, v49, v54, v1 op_sel:[0,1,0]
	v_pk_fma_f16 v33, v50, v54, v33 op_sel_hi:[1,0,1]
	s_waitcnt lgkmcnt(3)
	v_pk_fma_f16 v53, v8, v55, v47 op_sel:[0,1,0]
	v_pk_fma_f16 v22, v7, v55, v22 op_sel_hi:[1,0,1]
	v_pk_fma_f16 v1, v7, v55, v1 op_sel:[0,1,0]
	v_pk_fma_f16 v7, v8, v55, v33 op_sel_hi:[1,0,1]
	ds_load_2addr_b64 v[47:50], v32 offset0:128 offset1:160
	v_pk_fma_f16 v8, v10, v56, v53 op_sel:[0,1,0]
	v_pk_fma_f16 v22, v9, v56, v22 op_sel_hi:[1,0,1]
	v_pk_fma_f16 v1, v9, v56, v1 op_sel:[0,1,0]
	v_pk_fma_f16 v7, v10, v56, v7 op_sel_hi:[1,0,1]
	s_waitcnt lgkmcnt(2)
	v_pk_fma_f16 v8, v44, v11, v8 op_sel:[0,1,0]
	v_pk_fma_f16 v9, v43, v11, v22 op_sel_hi:[1,0,1]
	v_pk_fma_f16 v1, v43, v11, v1 op_sel:[0,1,0]
	v_pk_fma_f16 v7, v44, v11, v7 op_sel_hi:[1,0,1]
	v_add_nc_u32_e32 v22, 0x6800, v42
	v_pk_fma_f16 v8, v46, v12, v8 op_sel:[0,1,0]
	v_pk_fma_f16 v11, v45, v12, v9 op_sel_hi:[1,0,1]
	v_pk_fma_f16 v1, v45, v12, v1 op_sel:[0,1,0]
	v_pk_fma_f16 v12, v46, v12, v7 op_sel_hi:[1,0,1]
	ds_load_2addr_b64 v[43:46], v22 offset1:32
	s_waitcnt lgkmcnt(2)
	v_pk_fma_f16 v33, v29, v13, v8 op_sel:[0,1,0]
	ds_load_2addr_b64 v[7:10], v32 offset0:192 offset1:224
	v_pk_fma_f16 v11, v28, v13, v11 op_sel_hi:[1,0,1]
	v_pk_fma_f16 v1, v28, v13, v1 op_sel:[0,1,0]
	v_pk_fma_f16 v12, v29, v13, v12 op_sel_hi:[1,0,1]
	v_pk_fma_f16 v13, v31, v14, v33 op_sel:[0,1,0]
	v_add_nc_u32_e32 v32, 0x7000, v42
	v_pk_fma_f16 v28, v30, v14, v11 op_sel_hi:[1,0,1]
	v_pk_fma_f16 v1, v30, v14, v1 op_sel:[0,1,0]
	v_pk_fma_f16 v29, v31, v14, v12 op_sel_hi:[1,0,1]
	s_waitcnt lgkmcnt(2)
	v_pk_fma_f16 v30, v48, v57, v13 op_sel:[0,1,0]
	ds_load_b128 v[11:14], v41 offset:35232
	v_pk_fma_f16 v33, v47, v57, v28 op_sel_hi:[1,0,1]
	v_pk_fma_f16 v1, v47, v57, v1 op_sel:[0,1,0]
	v_pk_fma_f16 v47, v48, v57, v29 op_sel_hi:[1,0,1]
	v_pk_fma_f16 v48, v50, v58, v30 op_sel:[0,1,0]
	ds_load_2addr_b64 v[28:31], v22 offset0:64 offset1:96
	v_pk_fma_f16 v33, v49, v58, v33 op_sel_hi:[1,0,1]
	v_pk_fma_f16 v1, v49, v58, v1 op_sel:[0,1,0]
	v_pk_fma_f16 v53, v50, v58, v47 op_sel_hi:[1,0,1]
	v_add_nc_u32_e32 v57, 0x7800, v42
	s_waitcnt lgkmcnt(2)
	v_pk_fma_f16 v54, v8, v59, v48 op_sel:[0,1,0]
	v_pk_fma_f16 v33, v7, v59, v33 op_sel_hi:[1,0,1]
	v_pk_fma_f16 v1, v7, v59, v1 op_sel:[0,1,0]
	v_pk_fma_f16 v7, v8, v59, v53 op_sel_hi:[1,0,1]
	ds_load_2addr_b64 v[47:50], v22 offset0:128 offset1:160
	v_pk_fma_f16 v8, v10, v60, v54 op_sel:[0,1,0]
	ds_load_b128 v[53:56], v41 offset:35248
	v_pk_fma_f16 v33, v9, v60, v33 op_sel_hi:[1,0,1]
	v_pk_fma_f16 v1, v9, v60, v1 op_sel:[0,1,0]
	v_pk_fma_f16 v7, v10, v60, v7 op_sel_hi:[1,0,1]
	s_waitcnt lgkmcnt(3)
	v_pk_fma_f16 v8, v44, v11, v8 op_sel:[0,1,0]
	v_pk_fma_f16 v9, v43, v11, v33 op_sel_hi:[1,0,1]
	v_pk_fma_f16 v1, v43, v11, v1 op_sel:[0,1,0]
	v_pk_fma_f16 v7, v44, v11, v7 op_sel_hi:[1,0,1]
	s_delay_alu instid0(VALU_DEP_4)
	v_pk_fma_f16 v8, v46, v12, v8 op_sel:[0,1,0]
	v_add_f32_e32 v33, v21, v19
	v_pk_fma_f16 v11, v45, v12, v9 op_sel_hi:[1,0,1]
	v_pk_fma_f16 v1, v45, v12, v1 op_sel:[0,1,0]
	v_pk_fma_f16 v12, v46, v12, v7 op_sel_hi:[1,0,1]
	s_waitcnt lgkmcnt(2)
	v_pk_fma_f16 v20, v29, v13, v8 op_sel:[0,1,0]
	ds_load_2addr_b64 v[7:10], v22 offset0:192 offset1:224
	v_pk_fma_f16 v11, v28, v13, v11 op_sel_hi:[1,0,1]
	v_pk_fma_f16 v1, v28, v13, v1 op_sel:[0,1,0]
	v_pk_fma_f16 v12, v29, v13, v12 op_sel_hi:[1,0,1]
	v_pk_fma_f16 v13, v31, v14, v20 op_sel:[0,1,0]
	ds_load_2addr_b64 v[42:45], v32 offset1:32
	v_pk_fma_f16 v20, v30, v14, v11 op_sel_hi:[1,0,1]
	v_pk_fma_f16 v1, v30, v14, v1 op_sel:[0,1,0]
	v_pk_fma_f16 v22, v31, v14, v12 op_sel_hi:[1,0,1]
	s_waitcnt lgkmcnt(2)
	v_pk_fma_f16 v28, v48, v53, v13 op_sel:[0,1,0]
	ds_load_b128 v[11:14], v41 offset:35264
	v_pk_fma_f16 v29, v47, v53, v20 op_sel_hi:[1,0,1]
	v_pk_fma_f16 v1, v47, v53, v1 op_sel:[0,1,0]
	v_pk_fma_f16 v30, v48, v53, v22 op_sel_hi:[1,0,1]
	v_pk_fma_f16 v28, v50, v54, v28 op_sel:[0,1,0]
	ds_load_2addr_b64 v[19:22], v32 offset0:64 offset1:96
	v_pk_fma_f16 v46, v49, v54, v29 op_sel_hi:[1,0,1]
	v_pk_fma_f16 v1, v49, v54, v1 op_sel:[0,1,0]
	v_pk_fma_f16 v47, v50, v54, v30 op_sel_hi:[1,0,1]
	v_add_f32_e32 v18, v18, v33
	s_waitcnt lgkmcnt(3)
	v_pk_fma_f16 v48, v8, v55, v28 op_sel:[0,1,0]
	v_pk_fma_f16 v50, v7, v55, v46 op_sel_hi:[1,0,1]
	v_pk_fma_f16 v1, v7, v55, v1 op_sel:[0,1,0]
	v_pk_fma_f16 v7, v8, v55, v47 op_sel_hi:[1,0,1]
	ds_load_2addr_b64 v[28:31], v32 offset0:128 offset1:160
	v_pk_fma_f16 v8, v10, v56, v48 op_sel:[0,1,0]
	ds_load_b128 v[46:49], v41 offset:35280
	v_pk_fma_f16 v50, v9, v56, v50 op_sel_hi:[1,0,1]
	v_pk_fma_f16 v1, v9, v56, v1 op_sel:[0,1,0]
	v_pk_fma_f16 v7, v10, v56, v7 op_sel_hi:[1,0,1]
	s_waitcnt lgkmcnt(3)
	v_pk_fma_f16 v8, v43, v11, v8 op_sel:[0,1,0]
	v_fmac_f32_e32 v18, v51, v0
	v_pk_fma_f16 v9, v42, v11, v50 op_sel_hi:[1,0,1]
	v_pk_fma_f16 v1, v42, v11, v1 op_sel:[0,1,0]
	v_pk_fma_f16 v7, v43, v11, v7 op_sel_hi:[1,0,1]
	v_pk_fma_f16 v8, v45, v12, v8 op_sel:[0,1,0]
	v_mov_b32_e32 v51, v18
	v_pk_fma_f16 v0, v44, v12, v9 op_sel_hi:[1,0,1]
	v_pk_fma_f16 v1, v44, v12, v1 op_sel:[0,1,0]
	v_pk_fma_f16 v11, v45, v12, v7 op_sel_hi:[1,0,1]
	s_waitcnt lgkmcnt(2)
	v_pk_fma_f16 v12, v20, v13, v8 op_sel:[0,1,0]
	ds_load_2addr_b64 v[7:10], v32 offset0:192 offset1:224
	v_pk_fma_f16 v0, v19, v13, v0 op_sel_hi:[1,0,1]
	v_pk_fma_f16 v1, v19, v13, v1 op_sel:[0,1,0]
	v_pk_fma_f16 v11, v20, v13, v11 op_sel_hi:[1,0,1]
	v_pk_fma_f16 v12, v22, v14, v12 op_sel:[0,1,0]
	ds_load_2addr_b64 v[42:45], v57 offset1:32
	v_pk_fma_f16 v0, v21, v14, v0 op_sel_hi:[1,0,1]
	v_pk_fma_f16 v1, v21, v14, v1 op_sel:[0,1,0]
	v_pk_fma_f16 v19, v22, v14, v11 op_sel_hi:[1,0,1]
	s_waitcnt lgkmcnt(2)
	v_pk_fma_f16 v20, v29, v46, v12 op_sel:[0,1,0]
	ds_load_b128 v[11:14], v41 offset:35296
	v_pk_fma_f16 v0, v28, v46, v0 op_sel_hi:[1,0,1]
	v_pk_fma_f16 v1, v28, v46, v1 op_sel:[0,1,0]
	v_pk_fma_f16 v19, v29, v46, v19 op_sel_hi:[1,0,1]
	v_pk_fma_f16 v22, v31, v47, v20 op_sel:[0,1,0]
	s_delay_alu instid0(VALU_DEP_4) | instskip(NEXT) | instid1(VALU_DEP_4)
	v_pk_fma_f16 v0, v30, v47, v0 op_sel_hi:[1,0,1]
	v_pk_fma_f16 v1, v30, v47, v1 op_sel:[0,1,0]
	s_delay_alu instid0(VALU_DEP_4)
	v_pk_fma_f16 v28, v31, v47, v19 op_sel_hi:[1,0,1]
	ds_load_2addr_b64 v[18:21], v57 offset0:64 offset1:96
	s_waitcnt lgkmcnt(3)
	v_pk_fma_f16 v22, v8, v48, v22 op_sel:[0,1,0]
	v_pk_fma_f16 v0, v7, v48, v0 op_sel_hi:[1,0,1]
	v_pk_fma_f16 v1, v7, v48, v1 op_sel:[0,1,0]
	v_pk_fma_f16 v7, v8, v48, v28 op_sel_hi:[1,0,1]
	ds_load_2addr_b64 v[28:31], v57 offset0:128 offset1:160
	v_pk_fma_f16 v22, v10, v49, v22 op_sel:[0,1,0]
	v_pk_fma_f16 v0, v9, v49, v0 op_sel_hi:[1,0,1]
	v_pk_fma_f16 v1, v9, v49, v1 op_sel:[0,1,0]
	v_pk_fma_f16 v32, v10, v49, v7 op_sel_hi:[1,0,1]
	ds_load_b128 v[7:10], v41 offset:35312
	s_waitcnt lgkmcnt(3)
	v_pk_fma_f16 v22, v43, v11, v22 op_sel:[0,1,0]
	v_pk_fma_f16 v33, v42, v11, v0 op_sel_hi:[1,0,1]
	v_pk_fma_f16 v41, v42, v11, v1 op_sel:[0,1,0]
	v_pk_fma_f16 v11, v43, v11, v32 op_sel_hi:[1,0,1]
	v_dual_mov_b32 v0, v2 :: v_dual_mov_b32 v1, v3
	v_pk_fma_f16 v2, v45, v12, v22 op_sel:[0,1,0]
	v_pk_fma_f16 v3, v44, v12, v33 op_sel_hi:[1,0,1]
	v_pk_fma_f16 v22, v44, v12, v41 op_sel:[0,1,0]
	v_pk_fma_f16 v11, v45, v12, v11 op_sel_hi:[1,0,1]
	ds_load_2addr_b64 v[44:47], v57 offset0:192 offset1:224
	s_waitcnt lgkmcnt(3)
	v_pk_fma_f16 v2, v19, v13, v2 op_sel:[0,1,0]
	v_pk_fma_f16 v3, v18, v13, v3 op_sel_hi:[1,0,1]
	v_pk_fma_f16 v12, v18, v13, v22 op_sel:[0,1,0]
	v_pk_fma_f16 v11, v19, v13, v11 op_sel_hi:[1,0,1]
	v_add_f32_e32 v13, v16, v17
	v_pk_fma_f16 v2, v21, v14, v2 op_sel:[0,1,0]
	v_pk_fma_f16 v3, v20, v14, v3 op_sel_hi:[1,0,1]
	v_pk_fma_f16 v12, v20, v14, v12 op_sel:[0,1,0]
	v_pk_fma_f16 v11, v21, v14, v11 op_sel_hi:[1,0,1]
	v_add_f32_e32 v13, v15, v13
	s_waitcnt lgkmcnt(1)
	v_pk_fma_f16 v2, v29, v7, v2 op_sel:[0,1,0]
	v_pk_fma_f16 v3, v28, v7, v3 op_sel_hi:[1,0,1]
	v_pk_fma_f16 v12, v28, v7, v12 op_sel:[0,1,0]
	v_pk_fma_f16 v7, v29, v7, v11 op_sel_hi:[1,0,1]
	v_add_f32_e32 v4, v4, v13
	v_pk_fma_f16 v2, v31, v8, v2 op_sel:[0,1,0]
	v_pk_fma_f16 v3, v30, v8, v3 op_sel_hi:[1,0,1]
	v_pk_fma_f16 v11, v30, v8, v12 op_sel:[0,1,0]
	v_pk_fma_f16 v7, v31, v8, v7 op_sel_hi:[1,0,1]
	v_fmac_f32_e32 v4, v52, v6
	s_waitcnt lgkmcnt(0)
	v_pk_fma_f16 v2, v45, v9, v2 op_sel:[0,1,0]
	v_pk_fma_f16 v3, v44, v9, v3 op_sel_hi:[1,0,1]
	v_pk_fma_f16 v6, v44, v9, v11 op_sel:[0,1,0]
	v_pk_fma_f16 v7, v45, v9, v7 op_sel_hi:[1,0,1]
	v_mov_b32_e32 v52, v4
	v_pk_fma_f16 v44, v47, v10, v2 op_sel:[0,1,0]
	v_pk_fma_f16 v48, v46, v10, v3 op_sel_hi:[1,0,1]
	v_pk_fma_f16 v46, v46, v10, v6 op_sel:[0,1,0]
	v_pk_fma_f16 v49, v47, v10, v7 op_sel_hi:[1,0,1]
	v_mov_b32_e32 v2, v40
	s_barrier
	buffer_gl0_inv
.LBB59_72:
	v_cmp_lt_i32_e32 vcc_lo, v24, v5
	s_cmp_eq_u64 s[24:25], 0
	s_cselect_b32 s2, -1, 0
	s_cmp_lg_u32 s14, 0
	v_cndmask_b32_e32 v3, v2, v24, vcc_lo
	v_cmp_lt_i32_e32 vcc_lo, v23, v5
	s_cselect_b32 s3, -1, 0
	s_delay_alu instid0(SALU_CYCLE_1) | instskip(SKIP_2) | instid1(VALU_DEP_2)
	s_or_b32 s2, s3, s2
	v_cndmask_b32_e32 v6, v2, v23, vcc_lo
	v_cmp_lt_i32_e32 vcc_lo, v25, v5
	v_lshlrev_b32_e32 v6, 2, v6
	v_dual_cndmask_b32 v8, v2, v25 :: v_dual_lshlrev_b32 v3, 2, v3
	v_cmp_lt_i32_e32 vcc_lo, v26, v5
	ds_bpermute_b32 v4, v3, v51
	s_waitcnt lgkmcnt(0)
	v_add_f32_e32 v4, v51, v4
	ds_bpermute_b32 v3, v3, v52
	ds_bpermute_b32 v7, v6, v4
	s_waitcnt lgkmcnt(1)
	v_add_f32_e32 v3, v52, v3
	s_waitcnt lgkmcnt(0)
	v_add_f32_e32 v4, v4, v7
	ds_bpermute_b32 v6, v6, v3
	s_waitcnt lgkmcnt(0)
	v_dual_add_f32 v3, v3, v6 :: v_dual_lshlrev_b32 v8, 2, v8
	ds_bpermute_b32 v6, v8, v4
	ds_bpermute_b32 v7, v8, v3
	v_cndmask_b32_e32 v8, v2, v26, vcc_lo
	v_cmp_lt_i32_e32 vcc_lo, v27, v5
	v_cndmask_b32_e32 v2, v2, v27, vcc_lo
	s_and_b32 vcc_lo, exec_lo, s2
	s_delay_alu instid0(VALU_DEP_1)
	v_lshlrev_b32_e32 v2, 2, v2
	s_waitcnt lgkmcnt(0)
	v_dual_add_f32 v4, v4, v6 :: v_dual_add_f32 v3, v3, v7
	v_lshlrev_b32_e32 v8, 2, v8
	ds_bpermute_b32 v7, v8, v3
	s_waitcnt lgkmcnt(0)
	v_add_f32_e32 v3, v3, v7
	ds_bpermute_b32 v6, v8, v4
	s_waitcnt lgkmcnt(0)
	v_add_f32_e32 v4, v4, v6
	ds_bpermute_b32 v6, v2, v3
	ds_bpermute_b32 v5, v2, v4
	s_waitcnt lgkmcnt(0)
	v_dual_add_f32 v3, v3, v6 :: v_dual_add_f32 v2, v4, v5
	s_cbranch_vccnz .LBB59_75
; %bb.73:
	s_lshl_b64 s[2:3], s[34:35], 2
	v_dual_mov_b32 v4, 0 :: v_dual_max_f32 v5, v0, v0
	s_add_u32 s2, s24, s2
	s_addc_u32 s3, s25, s3
	v_max_f32_e32 v8, v1, v1
	global_load_b32 v4, v4, s[2:3]
	s_waitcnt vmcnt(0)
	v_max_f32_e32 v7, v4, v4
	s_delay_alu instid0(VALU_DEP_1) | instskip(NEXT) | instid1(VALU_DEP_1)
	v_max_f32_e32 v6, v5, v7
	v_sub_f32_e32 v5, v4, v6
	s_delay_alu instid0(VALU_DEP_1) | instskip(SKIP_1) | instid1(VALU_DEP_2)
	v_dual_mul_f32 v9, 0x3fb8aa3b, v5 :: v_dual_sub_f32 v0, v0, v6
	v_max_f32_e32 v7, v8, v7
	v_rndne_f32_e32 v15, v9
	s_delay_alu instid0(VALU_DEP_2) | instskip(NEXT) | instid1(VALU_DEP_4)
	v_sub_f32_e32 v8, v4, v7
	v_dual_mul_f32 v4, 0x3fb8aa3b, v0 :: v_dual_sub_f32 v1, v1, v7
	v_cmp_ngt_f32_e32 vcc_lo, 0xc2ce8ed0, v0
	s_delay_alu instid0(VALU_DEP_2) | instskip(NEXT) | instid1(VALU_DEP_3)
	v_fma_f32 v12, 0x3fb8aa3b, v0, -v4
	v_mul_f32_e32 v10, 0x3fb8aa3b, v1
	v_fma_f32 v14, 0x3fb8aa3b, v5, -v9
	v_rndne_f32_e32 v13, v4
	s_delay_alu instid0(VALU_DEP_4) | instskip(NEXT) | instid1(VALU_DEP_4)
	v_dual_sub_f32 v9, v9, v15 :: v_dual_fmac_f32 v12, 0x32a5705f, v0
	v_fma_f32 v16, 0x3fb8aa3b, v1, -v10
	s_delay_alu instid0(VALU_DEP_4) | instskip(NEXT) | instid1(VALU_DEP_4)
	v_fmac_f32_e32 v14, 0x32a5705f, v5
	v_sub_f32_e32 v4, v4, v13
	v_rndne_f32_e32 v17, v10
	s_delay_alu instid0(VALU_DEP_3) | instskip(SKIP_1) | instid1(VALU_DEP_4)
	v_add_f32_e32 v9, v9, v14
	v_mul_f32_e32 v11, 0x3fb8aa3b, v8
	v_add_f32_e32 v4, v4, v12
	v_cvt_i32_f32_e32 v12, v13
	v_cvt_i32_f32_e32 v13, v15
	v_exp_f32_e32 v9, v9
	v_fma_f32 v18, 0x3fb8aa3b, v8, -v11
	v_exp_f32_e32 v4, v4
	v_rndne_f32_e32 v19, v11
	v_cvt_i32_f32_e32 v14, v17
	s_delay_alu instid0(VALU_DEP_2) | instskip(SKIP_1) | instid1(TRANS32_DEP_2)
	v_sub_f32_e32 v11, v11, v19
	v_cvt_i32_f32_e32 v15, v19
	v_ldexp_f32 v9, v9, v13
	s_waitcnt_depctr 0xfff
	v_ldexp_f32 v4, v4, v12
	s_delay_alu instid0(VALU_DEP_1) | instskip(SKIP_2) | instid1(VALU_DEP_1)
	v_cndmask_b32_e32 v4, 0, v4, vcc_lo
	v_cmp_ngt_f32_e32 vcc_lo, 0xc2ce8ed0, v5
	v_dual_fmac_f32 v18, 0x32a5705f, v8 :: v_dual_cndmask_b32 v9, 0, v9
	v_dual_fmac_f32 v16, 0x32a5705f, v1 :: v_dual_add_f32 v11, v11, v18
	v_cmp_ngt_f32_e32 vcc_lo, 0xc2ce8ed0, v1
	s_delay_alu instid0(VALU_DEP_2) | instskip(SKIP_3) | instid1(VALU_DEP_1)
	v_exp_f32_e32 v11, v11
	s_waitcnt_depctr 0xfff
	v_ldexp_f32 v11, v11, v15
	v_sub_f32_e32 v10, v10, v17
	v_add_f32_e32 v10, v10, v16
	s_delay_alu instid0(VALU_DEP_1) | instskip(SKIP_2) | instid1(VALU_DEP_1)
	v_exp_f32_e32 v10, v10
	s_waitcnt_depctr 0xfff
	v_ldexp_f32 v10, v10, v14
	v_cndmask_b32_e32 v10, 0, v10, vcc_lo
	v_cmp_ngt_f32_e32 vcc_lo, 0xc2ce8ed0, v8
	v_cndmask_b32_e32 v11, 0, v11, vcc_lo
	v_cmp_nlt_f32_e32 vcc_lo, 0x42b17218, v0
	v_cndmask_b32_e32 v0, 0x7f800000, v4, vcc_lo
	v_cmp_nlt_f32_e32 vcc_lo, 0x42b17218, v5
	;; [unrolled: 2-line block ×3, first 2 shown]
	s_delay_alu instid0(VALU_DEP_2) | instskip(SKIP_2) | instid1(VALU_DEP_3)
	v_dual_fmac_f32 v4, v2, v0 :: v_dual_cndmask_b32 v1, 0x7f800000, v10
	v_cmp_nlt_f32_e32 vcc_lo, 0x42b17218, v8
	v_cvt_f16_f32_e32 v8, v0
	v_cvt_f16_f32_e32 v9, v1
	v_cndmask_b32_e32 v5, 0x7f800000, v11, vcc_lo
	s_delay_alu instid0(VALU_DEP_3) | instskip(SKIP_1) | instid1(VALU_DEP_4)
	v_pk_mul_f16 v48, v8, v48 op_sel_hi:[0,1]
	v_pk_mul_f16 v49, v8, v49 op_sel_hi:[0,1]
	;; [unrolled: 1-line block ×3, first 2 shown]
	s_delay_alu instid0(VALU_DEP_4) | instskip(SKIP_3) | instid1(VALU_DEP_4)
	v_fmac_f32_e32 v5, v3, v1
	v_mov_b32_e32 v2, v4
	v_dual_mov_b32 v0, v6 :: v_dual_mov_b32 v1, v7
	v_pk_mul_f16 v44, v9, v44 op_sel_hi:[0,1]
	v_mov_b32_e32 v3, v5
	s_mov_b32 s2, exec_lo
	v_cmpx_gt_i32_e64 s38, v39
	s_cbranch_execnz .LBB59_76
.LBB59_74:
	s_nop 0
	s_sendmsg sendmsg(MSG_DEALLOC_VGPRS)
	s_endpgm
.LBB59_75:
	s_delay_alu instid0(VALU_DEP_1)
	v_dual_mov_b32 v4, v2 :: v_dual_mov_b32 v5, v3
	s_mov_b32 s2, exec_lo
	v_cmpx_gt_i32_e64 s38, v39
	s_cbranch_execz .LBB59_74
.LBB59_76:
	s_load_b32 s1, s[0:1], 0xd4
	v_mov_b32_e32 v8, 1.0
	s_waitcnt lgkmcnt(0)
	s_cmp_lg_u32 s1, 1
	s_cselect_b32 s4, -1, 0
	s_cmp_eq_u32 s1, 1
	s_cselect_b32 s2, -1, 0
	s_and_b32 vcc_lo, exec_lo, s4
	s_cbranch_vccnz .LBB59_78
; %bb.77:
	v_div_scale_f32 v6, null, v4, v4, 1.0
	s_delay_alu instid0(VALU_DEP_1) | instskip(SKIP_2) | instid1(VALU_DEP_1)
	v_rcp_f32_e32 v7, v6
	s_waitcnt_depctr 0xfff
	v_fma_f32 v8, -v6, v7, 1.0
	v_fmac_f32_e32 v7, v8, v7
	v_div_scale_f32 v8, vcc_lo, 1.0, v4, 1.0
	s_delay_alu instid0(VALU_DEP_1) | instskip(NEXT) | instid1(VALU_DEP_1)
	v_mul_f32_e32 v9, v8, v7
	v_fma_f32 v10, -v6, v9, v8
	s_delay_alu instid0(VALU_DEP_1) | instskip(NEXT) | instid1(VALU_DEP_1)
	v_fmac_f32_e32 v9, v10, v7
	v_fma_f32 v6, -v6, v9, v8
	s_delay_alu instid0(VALU_DEP_1) | instskip(NEXT) | instid1(VALU_DEP_1)
	v_div_fmas_f32 v6, v6, v7, v9
	v_div_fixup_f32 v8, v6, v4, 1.0
.LBB59_78:
	s_mul_i32 s3, s33, s38
	v_cvt_f32_f16_e32 v11, v48
	s_add_i32 s3, s3, s15
	v_cvt_f32_f16_e32 v12, v49
	v_add_nc_u32_e32 v4, s3, v36
	v_cmp_eq_u32_e32 vcc_lo, 0, v38
	s_delay_alu instid0(VALU_DEP_2) | instskip(SKIP_2) | instid1(VALU_DEP_1)
	v_mad_u64_u32 v[9:10], null, v4, s39, s[34:35]
	v_mov_b32_e32 v10, 0
	v_lshrrev_b32_e32 v4, 16, v48
	v_cvt_f32_f16_e32 v4, v4
	s_delay_alu instid0(VALU_DEP_4) | instskip(SKIP_1) | instid1(VALU_DEP_1)
	v_mad_u64_u32 v[6:7], null, s1, v9, s[14:15]
	v_lshrrev_b32_e32 v7, 16, v49
	v_cvt_f32_f16_e32 v7, v7
	s_delay_alu instid0(VALU_DEP_3) | instskip(NEXT) | instid1(VALU_DEP_1)
	v_lshl_add_u32 v9, v6, 7, v37
	v_lshlrev_b64 v[13:14], 2, v[9:10]
	v_mul_f32_e32 v9, v8, v11
	v_mul_f32_e32 v11, v8, v12
	;; [unrolled: 1-line block ×4, first 2 shown]
	v_add_co_u32 v7, s0, s28, v13
	s_delay_alu instid0(VALU_DEP_1)
	v_add_co_ci_u32_e64 v8, s0, s29, v14, s0
	s_and_b32 s0, vcc_lo, s4
	global_store_b128 v[7:8], v[9:12], off
	s_and_saveexec_b32 s4, s0
	s_cbranch_execz .LBB59_80
; %bb.79:
	v_ashrrev_i32_e32 v7, 31, v6
	v_dual_mov_b32 v8, v0 :: v_dual_mov_b32 v9, v2
	s_delay_alu instid0(VALU_DEP_2) | instskip(NEXT) | instid1(VALU_DEP_1)
	v_lshlrev_b64 v[6:7], 3, v[6:7]
	v_add_co_u32 v6, vcc_lo, s30, v6
	s_delay_alu instid0(VALU_DEP_2)
	v_add_co_ci_u32_e32 v7, vcc_lo, s31, v7, vcc_lo
	global_store_b64 v[6:7], v[8:9], off
.LBB59_80:
	s_or_b32 exec_lo, exec_lo, s4
	v_cmp_gt_i32_e32 vcc_lo, s38, v35
	s_and_b32 exec_lo, exec_lo, vcc_lo
	s_cbranch_execz .LBB59_74
; %bb.81:
	v_mov_b32_e32 v0, 1.0
	s_and_not1_b32 vcc_lo, exec_lo, s2
	s_cbranch_vccnz .LBB59_83
; %bb.82:
	v_div_scale_f32 v0, null, v5, v5, 1.0
	s_delay_alu instid0(VALU_DEP_1) | instskip(SKIP_2) | instid1(VALU_DEP_1)
	v_rcp_f32_e32 v2, v0
	s_waitcnt_depctr 0xfff
	v_fma_f32 v4, -v0, v2, 1.0
	v_fmac_f32_e32 v2, v4, v2
	v_div_scale_f32 v4, vcc_lo, 1.0, v5, 1.0
	s_delay_alu instid0(VALU_DEP_1) | instskip(NEXT) | instid1(VALU_DEP_1)
	v_mul_f32_e32 v6, v4, v2
	v_fma_f32 v7, -v0, v6, v4
	s_delay_alu instid0(VALU_DEP_1) | instskip(NEXT) | instid1(VALU_DEP_1)
	v_fmac_f32_e32 v6, v7, v2
	v_fma_f32 v0, -v0, v6, v4
	s_delay_alu instid0(VALU_DEP_1) | instskip(NEXT) | instid1(VALU_DEP_1)
	v_div_fmas_f32 v0, v0, v2, v6
	v_div_fixup_f32 v0, v0, v5, 1.0
.LBB59_83:
	v_cvt_f32_f16_e32 v8, v46
	v_add_nc_u32_e32 v2, s3, v34
	v_cvt_f32_f16_e32 v11, v44
	s_delay_alu instid0(VALU_DEP_2) | instskip(SKIP_2) | instid1(VALU_DEP_2)
	v_mad_u64_u32 v[6:7], null, v2, s39, s[34:35]
	v_lshrrev_b32_e32 v7, 16, v44
	v_lshrrev_b32_e32 v2, 16, v46
	v_cvt_f32_f16_e32 v12, v7
	s_delay_alu instid0(VALU_DEP_4) | instskip(SKIP_1) | instid1(VALU_DEP_4)
	v_mad_u64_u32 v[4:5], null, s1, v6, s[14:15]
	v_dual_mov_b32 v6, 0 :: v_dual_mul_f32 v7, v0, v11
	v_cvt_f32_f16_e32 v2, v2
	s_delay_alu instid0(VALU_DEP_3) | instskip(NEXT) | instid1(VALU_DEP_1)
	v_lshl_add_u32 v5, v4, 7, v37
	v_lshlrev_b64 v[9:10], 2, v[5:6]
	v_mul_f32_e32 v5, v0, v8
	s_delay_alu instid0(VALU_DEP_4) | instskip(SKIP_1) | instid1(VALU_DEP_4)
	v_mul_f32_e32 v6, v0, v2
	v_mul_f32_e32 v8, v0, v12
	v_add_co_u32 v9, vcc_lo, s28, v9
	v_add_co_ci_u32_e32 v10, vcc_lo, s29, v10, vcc_lo
	global_store_b128 v[9:10], v[5:8], off
	s_and_b32 exec_lo, exec_lo, s0
	s_cbranch_execz .LBB59_74
; %bb.84:
	v_ashrrev_i32_e32 v5, 31, v4
	v_mov_b32_e32 v2, v1
	s_delay_alu instid0(VALU_DEP_2) | instskip(NEXT) | instid1(VALU_DEP_1)
	v_lshlrev_b64 v[4:5], 3, v[4:5]
	v_add_co_u32 v4, vcc_lo, s30, v4
	s_delay_alu instid0(VALU_DEP_2)
	v_add_co_ci_u32_e32 v5, vcc_lo, s31, v5, vcc_lo
	global_store_b64 v[4:5], v[2:3], off
	s_nop 0
	s_sendmsg sendmsg(MSG_DEALLOC_VGPRS)
	s_endpgm
	.section	.rodata,"a",@progbits
	.p2align	6, 0x0
	.amdhsa_kernel _ZL15flash_attn_tileILi128ELi128ELi16ELi1ELb0EEvPKcS1_S1_S1_S1_PKiPfP15HIP_vector_typeIfLj2EEffffjfiS5_IjLj3EEiiiiiiiiiiiliiliiiiil
		.amdhsa_group_segment_fixed_size 43008
		.amdhsa_private_segment_fixed_size 32
		.amdhsa_kernarg_size 464
		.amdhsa_user_sgpr_count 13
		.amdhsa_user_sgpr_dispatch_ptr 0
		.amdhsa_user_sgpr_queue_ptr 0
		.amdhsa_user_sgpr_kernarg_segment_ptr 1
		.amdhsa_user_sgpr_dispatch_id 0
		.amdhsa_user_sgpr_private_segment_size 0
		.amdhsa_wavefront_size32 1
		.amdhsa_uses_dynamic_stack 0
		.amdhsa_enable_private_segment 1
		.amdhsa_system_sgpr_workgroup_id_x 1
		.amdhsa_system_sgpr_workgroup_id_y 1
		.amdhsa_system_sgpr_workgroup_id_z 1
		.amdhsa_system_sgpr_workgroup_info 0
		.amdhsa_system_vgpr_workitem_id 1
		.amdhsa_next_free_vgpr 141
		.amdhsa_next_free_sgpr 47
		.amdhsa_reserve_vcc 1
		.amdhsa_float_round_mode_32 0
		.amdhsa_float_round_mode_16_64 0
		.amdhsa_float_denorm_mode_32 3
		.amdhsa_float_denorm_mode_16_64 3
		.amdhsa_dx10_clamp 1
		.amdhsa_ieee_mode 1
		.amdhsa_fp16_overflow 0
		.amdhsa_workgroup_processor_mode 1
		.amdhsa_memory_ordered 1
		.amdhsa_forward_progress 0
		.amdhsa_shared_vgpr_count 0
		.amdhsa_exception_fp_ieee_invalid_op 0
		.amdhsa_exception_fp_denorm_src 0
		.amdhsa_exception_fp_ieee_div_zero 0
		.amdhsa_exception_fp_ieee_overflow 0
		.amdhsa_exception_fp_ieee_underflow 0
		.amdhsa_exception_fp_ieee_inexact 0
		.amdhsa_exception_int_div_zero 0
	.end_amdhsa_kernel
	.section	.text._ZL15flash_attn_tileILi128ELi128ELi16ELi1ELb0EEvPKcS1_S1_S1_S1_PKiPfP15HIP_vector_typeIfLj2EEffffjfiS5_IjLj3EEiiiiiiiiiiiliiliiiiil,"axG",@progbits,_ZL15flash_attn_tileILi128ELi128ELi16ELi1ELb0EEvPKcS1_S1_S1_S1_PKiPfP15HIP_vector_typeIfLj2EEffffjfiS5_IjLj3EEiiiiiiiiiiiliiliiiiil,comdat
.Lfunc_end59:
	.size	_ZL15flash_attn_tileILi128ELi128ELi16ELi1ELb0EEvPKcS1_S1_S1_S1_PKiPfP15HIP_vector_typeIfLj2EEffffjfiS5_IjLj3EEiiiiiiiiiiiliiliiiiil, .Lfunc_end59-_ZL15flash_attn_tileILi128ELi128ELi16ELi1ELb0EEvPKcS1_S1_S1_S1_PKiPfP15HIP_vector_typeIfLj2EEffffjfiS5_IjLj3EEiiiiiiiiiiiliiliiiiil
                                        ; -- End function
	.section	.AMDGPU.csdata,"",@progbits
; Kernel info:
; codeLenInByte = 46116
; NumSgprs: 49
; NumVgprs: 141
; ScratchSize: 32
; MemoryBound: 0
; FloatMode: 240
; IeeeMode: 1
; LDSByteSize: 43008 bytes/workgroup (compile time only)
; SGPRBlocks: 6
; VGPRBlocks: 17
; NumSGPRsForWavesPerEU: 49
; NumVGPRsForWavesPerEU: 141
; Occupancy: 6
; WaveLimiterHint : 1
; COMPUTE_PGM_RSRC2:SCRATCH_EN: 1
; COMPUTE_PGM_RSRC2:USER_SGPR: 13
; COMPUTE_PGM_RSRC2:TRAP_HANDLER: 0
; COMPUTE_PGM_RSRC2:TGID_X_EN: 1
; COMPUTE_PGM_RSRC2:TGID_Y_EN: 1
; COMPUTE_PGM_RSRC2:TGID_Z_EN: 1
; COMPUTE_PGM_RSRC2:TIDIG_COMP_CNT: 1
	.section	.text._ZL33flash_attn_stream_k_fixup_uniformILi128ELi16ELi1EEvPfPK15HIP_vector_typeIfLj2EEiiiiiiS1_IjLj3EES5_S5_,"axG",@progbits,_ZL33flash_attn_stream_k_fixup_uniformILi128ELi16ELi1EEvPfPK15HIP_vector_typeIfLj2EEiiiiiiS1_IjLj3EES5_S5_,comdat
	.globl	_ZL33flash_attn_stream_k_fixup_uniformILi128ELi16ELi1EEvPfPK15HIP_vector_typeIfLj2EEiiiiiiS1_IjLj3EES5_S5_ ; -- Begin function _ZL33flash_attn_stream_k_fixup_uniformILi128ELi16ELi1EEvPfPK15HIP_vector_typeIfLj2EEiiiiiiS1_IjLj3EES5_S5_
	.p2align	8
	.type	_ZL33flash_attn_stream_k_fixup_uniformILi128ELi16ELi1EEvPfPK15HIP_vector_typeIfLj2EEiiiiiiS1_IjLj3EES5_S5_,@function
_ZL33flash_attn_stream_k_fixup_uniformILi128ELi16ELi1EEvPfPK15HIP_vector_typeIfLj2EEiiiiiiS1_IjLj3EES5_S5_: ; @_ZL33flash_attn_stream_k_fixup_uniformILi128ELi16ELi1EEvPfPK15HIP_vector_typeIfLj2EEiiiiiiS1_IjLj3EES5_S5_
; %bb.0:
	s_clause 0x1
	s_load_b256 s[4:11], s[0:1], 0x1c
	s_load_b128 s[16:19], s[0:1], 0x3c
	s_waitcnt lgkmcnt(0)
	s_mul_hi_u32 s2, s7, s13
	s_delay_alu instid0(SALU_CYCLE_1) | instskip(NEXT) | instid1(SALU_CYCLE_1)
	s_add_i32 s2, s13, s2
	s_lshr_b32 s2, s2, s8
	s_delay_alu instid0(SALU_CYCLE_1) | instskip(SKIP_2) | instid1(SALU_CYCLE_1)
	s_mul_i32 s3, s2, s9
	s_load_b64 s[8:9], s[0:1], 0x10
	s_sub_i32 s7, s13, s3
	s_mul_hi_u32 s3, s7, s10
	s_delay_alu instid0(SALU_CYCLE_1) | instskip(NEXT) | instid1(SALU_CYCLE_1)
	s_add_i32 s3, s7, s3
	s_lshr_b32 s3, s3, s11
	s_delay_alu instid0(SALU_CYCLE_1) | instskip(NEXT) | instid1(SALU_CYCLE_1)
	s_mul_i32 s10, s3, s16
	s_sub_i32 s10, s7, s10
	s_delay_alu instid0(SALU_CYCLE_1) | instskip(NEXT) | instid1(SALU_CYCLE_1)
	s_mul_hi_u32 s7, s10, s17
	s_add_i32 s7, s10, s7
	s_delay_alu instid0(SALU_CYCLE_1) | instskip(NEXT) | instid1(SALU_CYCLE_1)
	s_lshr_b32 s7, s7, s18
	s_mul_i32 s11, s7, s19
	s_delay_alu instid0(SALU_CYCLE_1) | instskip(NEXT) | instid1(SALU_CYCLE_1)
	s_sub_i32 s10, s10, s11
	s_lshl_b32 s11, s10, 4
	s_delay_alu instid0(SALU_CYCLE_1) | instskip(SKIP_4) | instid1(SALU_CYCLE_1)
	s_add_i32 s11, s11, s14
	s_waitcnt lgkmcnt(0)
	s_cmp_lt_i32 s11, s8
	s_cselect_b32 s11, -1, 0
	s_add_i32 s12, s7, s15
	s_cmp_lt_i32 s12, s5
	s_cselect_b32 s12, -1, 0
	s_delay_alu instid0(SALU_CYCLE_1) | instskip(NEXT) | instid1(SALU_CYCLE_1)
	s_and_b32 s11, s11, s12
	s_and_not1_b32 vcc_lo, exec_lo, s11
	s_cbranch_vccnz .LBB60_6
; %bb.1:
	s_mul_i32 s2, s2, s8
	s_mul_i32 s5, s3, s5
	s_add_i32 s2, s2, s14
	s_delay_alu instid0(SALU_CYCLE_1) | instskip(NEXT) | instid1(SALU_CYCLE_1)
	s_mul_i32 s2, s2, s9
	s_add_i32 s8, s2, s15
	s_load_b128 s[0:3], s[0:1], 0x0
	s_add_i32 s5, s8, s5
	s_mul_i32 s8, s9, s10
	s_add_i32 s5, s5, s7
	s_lshl_b32 s7, s8, 11
	s_lshl_b32 s5, s5, 7
	s_add_i32 s10, s14, s15
	s_add_i32 s7, s7, s5
	s_mul_i32 s5, s13, s6
	v_or_b32_e32 v1, s7, v0
	s_add_i32 s9, s5, s6
	s_delay_alu instid0(VALU_DEP_1) | instskip(NEXT) | instid1(VALU_DEP_1)
	v_ashrrev_i32_e32 v2, 31, v1
	v_lshlrev_b64 v[1:2], 2, v[1:2]
	s_waitcnt lgkmcnt(0)
	s_delay_alu instid0(VALU_DEP_1) | instskip(NEXT) | instid1(VALU_DEP_2)
	v_add_co_u32 v1, vcc_lo, s0, v1
	v_add_co_ci_u32_e32 v2, vcc_lo, s1, v2, vcc_lo
	s_lshl_b32 s0, s9, 4
	s_delay_alu instid0(SALU_CYCLE_1) | instskip(SKIP_2) | instid1(SALU_CYCLE_1)
	s_add_i32 s0, s10, s0
	global_load_b32 v5, v[1:2], off
	s_add_i32 s0, s0, -16
	s_ashr_i32 s1, s0, 31
	s_delay_alu instid0(SALU_CYCLE_1) | instskip(NEXT) | instid1(SALU_CYCLE_1)
	s_lshl_b64 s[0:1], s[0:1], 3
	s_add_u32 s0, s2, s0
	s_addc_u32 s1, s3, s1
	s_add_i32 s7, s9, -2
	s_load_b32 s11, s[0:1], 0x4
	s_cmp_lt_i32 s7, s5
	s_cbranch_scc1 .LBB60_4
; %bb.2:
	s_lshl_b32 s14, s4, 6
	s_load_b32 s12, s[0:1], 0x0
	s_ashr_i32 s15, s14, 31
	s_delay_alu instid0(SALU_CYCLE_1) | instskip(NEXT) | instid1(SALU_CYCLE_1)
	s_lshl_b64 s[0:1], s[14:15], 2
	s_add_u32 s7, s2, s0
	s_addc_u32 s8, s3, s1
	s_add_i32 s13, s13, 1
	s_lshl_b32 s1, s10, 7
	s_mul_i32 s0, s6, s13
	s_delay_alu instid0(SALU_CYCLE_1)
	s_lshl_b32 s6, s0, 11
	s_lshl_b32 s0, s0, 4
	s_add_i32 s1, s1, s6
	s_add_i32 s0, s10, s0
	v_or_b32_e32 v0, s1, v0
	s_lshl_b32 s1, s4, 4
	s_waitcnt lgkmcnt(0)
	v_mov_b32_e32 v6, s11
	s_add_i32 s0, s0, s1
	s_add_i32 s4, s9, -1
	v_dual_mov_b32 v0, s12 :: v_dual_add_nc_u32 v3, 0xfffff000, v0
	s_sub_i32 s0, s0, 32
.LBB60_3:                               ; =>This Inner Loop Header: Depth=1
	s_delay_alu instid0(VALU_DEP_1) | instskip(SKIP_1) | instid1(SALU_CYCLE_1)
	v_ashrrev_i32_e32 v4, 31, v3
	s_ashr_i32 s1, s0, 31
	s_lshl_b64 s[10:11], s[0:1], 3
	s_delay_alu instid0(SALU_CYCLE_1) | instskip(NEXT) | instid1(VALU_DEP_1)
	s_add_u32 s10, s2, s10
	v_lshlrev_b64 v[7:8], 2, v[3:4]
	s_addc_u32 s11, s3, s11
	s_add_i32 s4, s4, -1
	s_add_i32 s0, s0, -16
	s_cmp_le_i32 s4, s5
	s_load_b64 s[10:11], s[10:11], 0x0
	v_add_co_u32 v7, vcc_lo, s7, v7
	v_add_co_ci_u32_e32 v8, vcc_lo, s8, v8, vcc_lo
	global_load_b32 v4, v[7:8], off
	v_max_f32_e32 v7, v0, v0
	s_waitcnt lgkmcnt(0)
	v_max_f32_e64 v8, s10, s10
	s_delay_alu instid0(VALU_DEP_1) | instskip(NEXT) | instid1(VALU_DEP_1)
	v_max_f32_e32 v7, v7, v8
	v_sub_f32_e32 v8, s10, v7
	s_delay_alu instid0(VALU_DEP_1) | instskip(NEXT) | instid1(VALU_DEP_1)
	v_dual_sub_f32 v0, v0, v7 :: v_dual_mul_f32 v9, 0x3fb8aa3b, v8
	v_fma_f32 v10, 0x3fb8aa3b, v8, -v9
	v_rndne_f32_e32 v11, v9
	s_delay_alu instid0(VALU_DEP_3) | instskip(NEXT) | instid1(VALU_DEP_2)
	v_mul_f32_e32 v12, 0x3fb8aa3b, v0
	v_dual_fmac_f32 v10, 0x32a5705f, v8 :: v_dual_sub_f32 v9, v9, v11
	v_cvt_i32_f32_e32 v11, v11
	s_delay_alu instid0(VALU_DEP_3) | instskip(SKIP_1) | instid1(VALU_DEP_4)
	v_fma_f32 v13, 0x3fb8aa3b, v0, -v12
	v_rndne_f32_e32 v14, v12
	v_add_f32_e32 v9, v9, v10
	v_cmp_ngt_f32_e32 vcc_lo, 0xc2ce8ed0, v8
	s_delay_alu instid0(VALU_DEP_3) | instskip(NEXT) | instid1(VALU_DEP_3)
	v_sub_f32_e32 v10, v12, v14
	v_exp_f32_e32 v9, v9
	s_waitcnt_depctr 0xfff
	v_ldexp_f32 v9, v9, v11
	v_cvt_i32_f32_e32 v11, v14
	s_delay_alu instid0(VALU_DEP_2) | instskip(SKIP_1) | instid1(VALU_DEP_2)
	v_cndmask_b32_e32 v9, 0, v9, vcc_lo
	v_cmp_nlt_f32_e32 vcc_lo, 0x42b17218, v8
	v_cndmask_b32_e32 v9, 0x7f800000, v9, vcc_lo
	v_cmp_ngt_f32_e32 vcc_lo, 0xc2ce8ed0, v0
	v_fmac_f32_e32 v13, 0x32a5705f, v0
	s_delay_alu instid0(VALU_DEP_1) | instskip(NEXT) | instid1(VALU_DEP_1)
	v_add_f32_e32 v10, v10, v13
	v_exp_f32_e32 v10, v10
	s_waitcnt_depctr 0xfff
	v_ldexp_f32 v10, v10, v11
	s_delay_alu instid0(VALU_DEP_1)
	v_dual_mov_b32 v11, v6 :: v_dual_cndmask_b32 v10, 0, v10
	v_cmp_le_f32_e32 vcc_lo, 0xc1a00000, v8
	s_waitcnt vmcnt(1)
	v_dual_cndmask_b32 v8, 0, v9 :: v_dual_mov_b32 v9, v5
	v_cmp_nlt_f32_e32 vcc_lo, 0x42b17218, v0
	v_cndmask_b32_e32 v5, 0x7f800000, v10, vcc_lo
	s_delay_alu instid0(VALU_DEP_3) | instskip(SKIP_2) | instid1(VALU_DEP_3)
	v_mul_f32_e32 v10, s11, v8
	v_cmp_le_f32_e32 vcc_lo, 0xc1a00000, v0
	v_mov_b32_e32 v0, v7
	v_mov_b32_e32 v6, v10
	s_waitcnt vmcnt(0)
	v_dual_cndmask_b32 v12, 0, v5 :: v_dual_mul_f32 v5, v4, v8
	s_delay_alu instid0(VALU_DEP_1) | instskip(NEXT) | instid1(VALU_DEP_2)
	v_dual_fmac_f32 v6, v11, v12 :: v_dual_add_nc_u32 v3, 0xfffff800, v3
	v_fmac_f32_e32 v5, v9, v12
	s_cbranch_scc0 .LBB60_3
	s_branch .LBB60_5
.LBB60_4:
	s_waitcnt lgkmcnt(0)
	v_mov_b32_e32 v6, s11
.LBB60_5:
	s_waitcnt vmcnt(0)
	s_delay_alu instid0(VALU_DEP_1) | instskip(NEXT) | instid1(VALU_DEP_1)
	v_div_scale_f32 v0, null, v6, v6, v5
	v_rcp_f32_e32 v3, v0
	s_waitcnt_depctr 0xfff
	v_fma_f32 v4, -v0, v3, 1.0
	s_delay_alu instid0(VALU_DEP_1) | instskip(SKIP_1) | instid1(VALU_DEP_1)
	v_fmac_f32_e32 v3, v4, v3
	v_div_scale_f32 v4, vcc_lo, v5, v6, v5
	v_mul_f32_e32 v7, v4, v3
	s_delay_alu instid0(VALU_DEP_1) | instskip(NEXT) | instid1(VALU_DEP_1)
	v_fma_f32 v8, -v0, v7, v4
	v_fmac_f32_e32 v7, v8, v3
	s_delay_alu instid0(VALU_DEP_1) | instskip(NEXT) | instid1(VALU_DEP_1)
	v_fma_f32 v0, -v0, v7, v4
	v_div_fmas_f32 v0, v0, v3, v7
	s_delay_alu instid0(VALU_DEP_1)
	v_div_fixup_f32 v0, v0, v6, v5
	global_store_b32 v[1:2], v0, off
.LBB60_6:
	s_nop 0
	s_sendmsg sendmsg(MSG_DEALLOC_VGPRS)
	s_endpgm
	.section	.rodata,"a",@progbits
	.p2align	6, 0x0
	.amdhsa_kernel _ZL33flash_attn_stream_k_fixup_uniformILi128ELi16ELi1EEvPfPK15HIP_vector_typeIfLj2EEiiiiiiS1_IjLj3EES5_S5_
		.amdhsa_group_segment_fixed_size 0
		.amdhsa_private_segment_fixed_size 0
		.amdhsa_kernarg_size 76
		.amdhsa_user_sgpr_count 13
		.amdhsa_user_sgpr_dispatch_ptr 0
		.amdhsa_user_sgpr_queue_ptr 0
		.amdhsa_user_sgpr_kernarg_segment_ptr 1
		.amdhsa_user_sgpr_dispatch_id 0
		.amdhsa_user_sgpr_private_segment_size 0
		.amdhsa_wavefront_size32 1
		.amdhsa_uses_dynamic_stack 0
		.amdhsa_enable_private_segment 0
		.amdhsa_system_sgpr_workgroup_id_x 1
		.amdhsa_system_sgpr_workgroup_id_y 1
		.amdhsa_system_sgpr_workgroup_id_z 1
		.amdhsa_system_sgpr_workgroup_info 0
		.amdhsa_system_vgpr_workitem_id 0
		.amdhsa_next_free_vgpr 15
		.amdhsa_next_free_sgpr 20
		.amdhsa_reserve_vcc 1
		.amdhsa_float_round_mode_32 0
		.amdhsa_float_round_mode_16_64 0
		.amdhsa_float_denorm_mode_32 3
		.amdhsa_float_denorm_mode_16_64 3
		.amdhsa_dx10_clamp 1
		.amdhsa_ieee_mode 1
		.amdhsa_fp16_overflow 0
		.amdhsa_workgroup_processor_mode 1
		.amdhsa_memory_ordered 1
		.amdhsa_forward_progress 0
		.amdhsa_shared_vgpr_count 0
		.amdhsa_exception_fp_ieee_invalid_op 0
		.amdhsa_exception_fp_denorm_src 0
		.amdhsa_exception_fp_ieee_div_zero 0
		.amdhsa_exception_fp_ieee_overflow 0
		.amdhsa_exception_fp_ieee_underflow 0
		.amdhsa_exception_fp_ieee_inexact 0
		.amdhsa_exception_int_div_zero 0
	.end_amdhsa_kernel
	.section	.text._ZL33flash_attn_stream_k_fixup_uniformILi128ELi16ELi1EEvPfPK15HIP_vector_typeIfLj2EEiiiiiiS1_IjLj3EES5_S5_,"axG",@progbits,_ZL33flash_attn_stream_k_fixup_uniformILi128ELi16ELi1EEvPfPK15HIP_vector_typeIfLj2EEiiiiiiS1_IjLj3EES5_S5_,comdat
.Lfunc_end60:
	.size	_ZL33flash_attn_stream_k_fixup_uniformILi128ELi16ELi1EEvPfPK15HIP_vector_typeIfLj2EEiiiiiiS1_IjLj3EES5_S5_, .Lfunc_end60-_ZL33flash_attn_stream_k_fixup_uniformILi128ELi16ELi1EEvPfPK15HIP_vector_typeIfLj2EEiiiiiiS1_IjLj3EES5_S5_
                                        ; -- End function
	.section	.AMDGPU.csdata,"",@progbits
; Kernel info:
; codeLenInByte = 976
; NumSgprs: 22
; NumVgprs: 15
; ScratchSize: 0
; MemoryBound: 0
; FloatMode: 240
; IeeeMode: 1
; LDSByteSize: 0 bytes/workgroup (compile time only)
; SGPRBlocks: 2
; VGPRBlocks: 1
; NumSGPRsForWavesPerEU: 22
; NumVGPRsForWavesPerEU: 15
; Occupancy: 16
; WaveLimiterHint : 0
; COMPUTE_PGM_RSRC2:SCRATCH_EN: 0
; COMPUTE_PGM_RSRC2:USER_SGPR: 13
; COMPUTE_PGM_RSRC2:TRAP_HANDLER: 0
; COMPUTE_PGM_RSRC2:TGID_X_EN: 1
; COMPUTE_PGM_RSRC2:TGID_Y_EN: 1
; COMPUTE_PGM_RSRC2:TGID_Z_EN: 1
; COMPUTE_PGM_RSRC2:TIDIG_COMP_CNT: 0
	.section	.text._ZL33flash_attn_stream_k_fixup_generalILi128ELi16ELi1EEvPfPK15HIP_vector_typeIfLj2EEiiiiS1_IjLj3EES5_S5_S5_,"axG",@progbits,_ZL33flash_attn_stream_k_fixup_generalILi128ELi16ELi1EEvPfPK15HIP_vector_typeIfLj2EEiiiiS1_IjLj3EES5_S5_S5_,comdat
	.globl	_ZL33flash_attn_stream_k_fixup_generalILi128ELi16ELi1EEvPfPK15HIP_vector_typeIfLj2EEiiiiS1_IjLj3EES5_S5_S5_ ; -- Begin function _ZL33flash_attn_stream_k_fixup_generalILi128ELi16ELi1EEvPfPK15HIP_vector_typeIfLj2EEiiiiS1_IjLj3EES5_S5_S5_
	.p2align	8
	.type	_ZL33flash_attn_stream_k_fixup_generalILi128ELi16ELi1EEvPfPK15HIP_vector_typeIfLj2EEiiiiS1_IjLj3EES5_S5_S5_,@function
_ZL33flash_attn_stream_k_fixup_generalILi128ELi16ELi1EEvPfPK15HIP_vector_typeIfLj2EEiiiiS1_IjLj3EES5_S5_S5_: ; @_ZL33flash_attn_stream_k_fixup_generalILi128ELi16ELi1EEvPfPK15HIP_vector_typeIfLj2EEiiiiS1_IjLj3EES5_S5_S5_
; %bb.0:
	s_clause 0x1
	s_load_b128 s[4:7], s[0:1], 0x10
	s_load_b32 s20, s[0:1], 0x50
	s_mov_b32 s2, 0
	s_waitcnt lgkmcnt(0)
	s_mul_hi_i32 s3, s7, s13
	s_mul_i32 s12, s7, s13
	s_cmp_lg_u64 s[2:3], 0
	s_cbranch_scc0 .LBB61_21
; %bb.1:
	v_cvt_f32_ubyte0_e32 v1, 0
	v_cvt_f32_u32_e32 v2, s20
	s_sub_u32 s10, 0, s20
	s_subb_u32 s11, 0, 0
	s_delay_alu instid0(VALU_DEP_1) | instskip(NEXT) | instid1(VALU_DEP_1)
	v_fmamk_f32 v1, v1, 0x4f800000, v2
	v_rcp_f32_e32 v1, v1
	s_waitcnt_depctr 0xfff
	v_mul_f32_e32 v1, 0x5f7ffffc, v1
	s_delay_alu instid0(VALU_DEP_1) | instskip(NEXT) | instid1(VALU_DEP_1)
	v_mul_f32_e32 v2, 0x2f800000, v1
	v_trunc_f32_e32 v2, v2
	s_delay_alu instid0(VALU_DEP_1) | instskip(SKIP_1) | instid1(VALU_DEP_2)
	v_fmamk_f32 v1, v2, 0xcf800000, v1
	v_cvt_u32_f32_e32 v2, v2
	v_cvt_u32_f32_e32 v1, v1
	s_delay_alu instid0(VALU_DEP_2) | instskip(NEXT) | instid1(VALU_DEP_2)
	v_readfirstlane_b32 s8, v2
	v_readfirstlane_b32 s9, v1
	s_delay_alu instid0(VALU_DEP_2) | instskip(NEXT) | instid1(VALU_DEP_1)
	s_mul_i32 s16, s10, s8
	s_mul_hi_u32 s18, s10, s9
	s_mul_i32 s17, s11, s9
	s_add_i32 s16, s18, s16
	s_mul_i32 s19, s10, s9
	s_add_i32 s16, s16, s17
	s_mul_hi_u32 s18, s9, s19
	s_mul_hi_u32 s21, s8, s19
	s_mul_i32 s17, s8, s19
	s_mul_hi_u32 s19, s9, s16
	s_mul_i32 s9, s9, s16
	s_mul_hi_u32 s22, s8, s16
	s_add_u32 s9, s18, s9
	s_addc_u32 s18, 0, s19
	s_add_u32 s9, s9, s17
	s_mul_i32 s16, s8, s16
	s_addc_u32 s9, s18, s21
	s_addc_u32 s17, s22, 0
	s_add_u32 s9, s9, s16
	s_addc_u32 s16, 0, s17
	v_add_co_u32 v1, s9, v1, s9
	s_delay_alu instid0(VALU_DEP_1) | instskip(SKIP_1) | instid1(VALU_DEP_1)
	s_cmp_lg_u32 s9, 0
	s_addc_u32 s8, s8, s16
	v_readfirstlane_b32 s9, v1
	s_mul_i32 s16, s10, s8
	s_delay_alu instid0(VALU_DEP_1)
	s_mul_hi_u32 s17, s10, s9
	s_mul_i32 s11, s11, s9
	s_add_i32 s16, s17, s16
	s_mul_i32 s10, s10, s9
	s_add_i32 s16, s16, s11
	s_mul_hi_u32 s17, s8, s10
	s_mul_i32 s18, s8, s10
	s_mul_hi_u32 s10, s9, s10
	s_mul_hi_u32 s19, s9, s16
	s_mul_i32 s9, s9, s16
	s_mul_hi_u32 s11, s8, s16
	s_add_u32 s9, s10, s9
	s_addc_u32 s10, 0, s19
	s_add_u32 s9, s9, s18
	s_mul_i32 s16, s8, s16
	s_addc_u32 s9, s10, s17
	s_addc_u32 s10, s11, 0
	s_add_u32 s9, s9, s16
	s_addc_u32 s10, 0, s10
	v_add_co_u32 v1, s9, v1, s9
	s_delay_alu instid0(VALU_DEP_1) | instskip(SKIP_2) | instid1(SALU_CYCLE_1)
	s_cmp_lg_u32 s9, 0
	s_addc_u32 s16, s8, s10
	s_ashr_i32 s8, s3, 31
	s_add_u32 s10, s12, s8
	s_addc_u32 s11, s3, s8
	v_readfirstlane_b32 s3, v1
	s_mov_b32 s9, s8
	s_delay_alu instid0(SALU_CYCLE_1) | instskip(NEXT) | instid1(SALU_CYCLE_1)
	s_xor_b64 s[10:11], s[10:11], s[8:9]
	s_mul_i32 s18, s10, s16
	s_delay_alu instid0(VALU_DEP_1)
	s_mul_hi_u32 s19, s10, s3
	s_mul_hi_u32 s17, s10, s16
	;; [unrolled: 1-line block ×3, first 2 shown]
	s_mul_i32 s3, s11, s3
	s_add_u32 s18, s19, s18
	s_addc_u32 s17, 0, s17
	s_mul_hi_u32 s21, s11, s16
	s_add_u32 s3, s18, s3
	s_mul_i32 s16, s11, s16
	s_addc_u32 s3, s17, s22
	s_addc_u32 s17, s21, 0
	s_add_u32 s3, s3, s16
	s_addc_u32 s16, 0, s17
	s_mul_i32 s18, s20, s3
	s_add_u32 s17, s3, 1
	v_sub_co_u32 v1, s10, s10, s18
	s_mul_hi_u32 s18, s20, s3
	s_addc_u32 s19, s16, 0
	s_mul_i32 s21, s20, s16
	s_delay_alu instid0(VALU_DEP_1)
	v_sub_co_u32 v2, s22, v1, s20
	s_add_u32 s23, s3, 2
	s_addc_u32 s24, s16, 0
	s_add_i32 s18, s18, s21
	s_cmp_lg_u32 s10, 0
	v_readfirstlane_b32 s10, v2
	s_subb_u32 s11, s11, s18
	s_cmp_lg_u32 s22, 0
	s_subb_u32 s18, s11, 0
	s_delay_alu instid0(VALU_DEP_1) | instskip(SKIP_4) | instid1(SALU_CYCLE_1)
	s_cmp_ge_u32 s10, s20
	s_cselect_b32 s10, -1, 0
	s_cmp_eq_u32 s18, 0
	v_readfirstlane_b32 s18, v1
	s_cselect_b32 s10, s10, -1
	s_cmp_lg_u32 s10, 0
	s_cselect_b32 s10, s23, s17
	s_cselect_b32 s17, s24, s19
	s_cmp_ge_u32 s18, s20
	s_cselect_b32 s18, -1, 0
	s_cmp_eq_u32 s11, 0
	s_cselect_b32 s11, s18, -1
	s_delay_alu instid0(SALU_CYCLE_1) | instskip(SKIP_2) | instid1(SALU_CYCLE_1)
	s_cmp_lg_u32 s11, 0
	s_cselect_b32 s11, s17, s16
	s_cselect_b32 s10, s10, s3
	s_xor_b64 s[10:11], s[10:11], s[8:9]
	s_delay_alu instid0(SALU_CYCLE_1)
	s_sub_u32 s16, s10, s8
	s_load_b128 s[8:11], s[0:1], 0x44
	s_and_not1_b32 vcc_lo, exec_lo, s2
	s_cbranch_vccnz .LBB61_3
.LBB61_2:
	v_cvt_f32_u32_e32 v1, s20
	s_sub_i32 s3, 0, s20
	s_delay_alu instid0(VALU_DEP_1) | instskip(SKIP_2) | instid1(VALU_DEP_1)
	v_rcp_iflag_f32_e32 v1, v1
	s_waitcnt_depctr 0xfff
	v_mul_f32_e32 v1, 0x4f7ffffe, v1
	v_cvt_u32_f32_e32 v1, v1
	s_delay_alu instid0(VALU_DEP_1) | instskip(NEXT) | instid1(VALU_DEP_1)
	v_readfirstlane_b32 s2, v1
	s_mul_i32 s3, s3, s2
	s_delay_alu instid0(SALU_CYCLE_1) | instskip(NEXT) | instid1(SALU_CYCLE_1)
	s_mul_hi_u32 s3, s2, s3
	s_add_i32 s2, s2, s3
	s_delay_alu instid0(SALU_CYCLE_1) | instskip(NEXT) | instid1(SALU_CYCLE_1)
	s_mul_hi_u32 s2, s12, s2
	s_mul_i32 s3, s2, s20
	s_waitcnt lgkmcnt(0)
	s_add_i32 s11, s2, 1
	s_sub_i32 s3, s12, s3
	s_delay_alu instid0(SALU_CYCLE_1)
	s_sub_i32 s12, s3, s20
	s_cmp_ge_u32 s3, s20
	s_cselect_b32 s2, s11, s2
	s_cselect_b32 s3, s12, s3
	s_add_i32 s11, s2, 1
	s_cmp_ge_u32 s3, s20
	s_cselect_b32 s16, s11, s2
.LBB61_3:
	s_waitcnt lgkmcnt(0)
	s_add_i32 s11, s13, 1
	s_mov_b32 s2, 0
	s_mul_hi_i32 s3, s7, s11
	s_mul_i32 s11, s7, s11
	s_cmp_lg_u64 s[2:3], 0
	s_cbranch_scc0 .LBB61_22
; %bb.4:
	v_cvt_f32_ubyte0_e32 v1, 0
	v_cvt_f32_u32_e32 v2, s20
	s_sub_u32 s18, 0, s20
	s_subb_u32 s19, 0, 0
	s_delay_alu instid0(VALU_DEP_1) | instskip(NEXT) | instid1(VALU_DEP_1)
	v_fmamk_f32 v1, v1, 0x4f800000, v2
	v_rcp_f32_e32 v1, v1
	s_waitcnt_depctr 0xfff
	v_mul_f32_e32 v1, 0x5f7ffffc, v1
	s_delay_alu instid0(VALU_DEP_1) | instskip(NEXT) | instid1(VALU_DEP_1)
	v_mul_f32_e32 v2, 0x2f800000, v1
	v_trunc_f32_e32 v2, v2
	s_delay_alu instid0(VALU_DEP_1) | instskip(SKIP_1) | instid1(VALU_DEP_2)
	v_fmamk_f32 v1, v2, 0xcf800000, v1
	v_cvt_u32_f32_e32 v2, v2
	v_cvt_u32_f32_e32 v1, v1
	s_delay_alu instid0(VALU_DEP_2) | instskip(NEXT) | instid1(VALU_DEP_2)
	v_readfirstlane_b32 s12, v2
	v_readfirstlane_b32 s17, v1
	s_delay_alu instid0(VALU_DEP_2) | instskip(NEXT) | instid1(VALU_DEP_1)
	s_mul_i32 s21, s18, s12
	s_mul_hi_u32 s23, s18, s17
	s_mul_i32 s22, s19, s17
	s_add_i32 s21, s23, s21
	s_mul_i32 s24, s18, s17
	s_add_i32 s21, s21, s22
	s_mul_hi_u32 s23, s17, s24
	s_mul_hi_u32 s25, s12, s24
	s_mul_i32 s22, s12, s24
	s_mul_hi_u32 s24, s17, s21
	s_mul_i32 s17, s17, s21
	s_mul_hi_u32 s26, s12, s21
	s_add_u32 s17, s23, s17
	s_addc_u32 s23, 0, s24
	s_add_u32 s17, s17, s22
	s_mul_i32 s21, s12, s21
	s_addc_u32 s17, s23, s25
	s_addc_u32 s22, s26, 0
	s_add_u32 s17, s17, s21
	s_addc_u32 s21, 0, s22
	v_add_co_u32 v1, s17, v1, s17
	s_delay_alu instid0(VALU_DEP_1) | instskip(SKIP_1) | instid1(VALU_DEP_1)
	s_cmp_lg_u32 s17, 0
	s_addc_u32 s12, s12, s21
	v_readfirstlane_b32 s17, v1
	s_mul_i32 s21, s18, s12
	s_delay_alu instid0(VALU_DEP_1)
	s_mul_hi_u32 s22, s18, s17
	s_mul_i32 s19, s19, s17
	s_add_i32 s21, s22, s21
	s_mul_i32 s18, s18, s17
	s_add_i32 s21, s21, s19
	s_mul_hi_u32 s22, s12, s18
	s_mul_i32 s23, s12, s18
	s_mul_hi_u32 s18, s17, s18
	s_mul_hi_u32 s24, s17, s21
	s_mul_i32 s17, s17, s21
	s_mul_hi_u32 s19, s12, s21
	s_add_u32 s17, s18, s17
	s_addc_u32 s18, 0, s24
	s_add_u32 s17, s17, s23
	s_mul_i32 s21, s12, s21
	s_addc_u32 s17, s18, s22
	s_addc_u32 s18, s19, 0
	s_add_u32 s17, s17, s21
	s_addc_u32 s18, 0, s18
	v_add_co_u32 v1, s17, v1, s17
	s_delay_alu instid0(VALU_DEP_1) | instskip(SKIP_2) | instid1(SALU_CYCLE_1)
	s_cmp_lg_u32 s17, 0
	s_addc_u32 s12, s12, s18
	s_ashr_i32 s18, s3, 31
	s_add_u32 s22, s11, s18
	s_addc_u32 s23, s3, s18
	v_readfirstlane_b32 s3, v1
	s_mov_b32 s19, s18
	s_delay_alu instid0(SALU_CYCLE_1) | instskip(NEXT) | instid1(SALU_CYCLE_1)
	s_xor_b64 s[22:23], s[22:23], s[18:19]
	s_mul_i32 s21, s22, s12
	s_delay_alu instid0(VALU_DEP_1)
	s_mul_hi_u32 s24, s22, s3
	s_mul_hi_u32 s17, s22, s12
	s_mul_hi_u32 s26, s23, s3
	s_mul_i32 s3, s23, s3
	s_add_u32 s21, s24, s21
	s_addc_u32 s17, 0, s17
	s_mul_hi_u32 s25, s23, s12
	s_add_u32 s3, s21, s3
	s_mul_i32 s12, s23, s12
	s_addc_u32 s3, s17, s26
	s_addc_u32 s17, s25, 0
	s_add_u32 s3, s3, s12
	s_addc_u32 s12, 0, s17
	s_mul_i32 s21, s20, s3
	s_add_u32 s17, s3, 1
	v_sub_co_u32 v1, s21, s22, s21
	s_mul_hi_u32 s22, s20, s3
	s_addc_u32 s24, s12, 0
	s_mul_i32 s25, s20, s12
	s_delay_alu instid0(VALU_DEP_1)
	v_sub_co_u32 v2, s26, v1, s20
	s_add_u32 s27, s3, 2
	s_addc_u32 s28, s12, 0
	s_add_i32 s22, s22, s25
	s_cmp_lg_u32 s21, 0
	v_readfirstlane_b32 s21, v2
	s_subb_u32 s22, s23, s22
	s_cmp_lg_u32 s26, 0
	s_subb_u32 s23, s22, 0
	s_delay_alu instid0(VALU_DEP_1) | instskip(SKIP_4) | instid1(SALU_CYCLE_1)
	s_cmp_ge_u32 s21, s20
	s_cselect_b32 s21, -1, 0
	s_cmp_eq_u32 s23, 0
	v_readfirstlane_b32 s23, v1
	s_cselect_b32 s21, s21, -1
	s_cmp_lg_u32 s21, 0
	s_cselect_b32 s17, s27, s17
	s_cselect_b32 s21, s28, s24
	s_cmp_ge_u32 s23, s20
	s_cselect_b32 s23, -1, 0
	s_cmp_eq_u32 s22, 0
	s_cselect_b32 s22, s23, -1
	s_delay_alu instid0(SALU_CYCLE_1) | instskip(SKIP_2) | instid1(SALU_CYCLE_1)
	s_cmp_lg_u32 s22, 0
	s_cselect_b32 s23, s21, s12
	s_cselect_b32 s22, s17, s3
	s_xor_b64 s[22:23], s[22:23], s[18:19]
	s_delay_alu instid0(SALU_CYCLE_1)
	s_sub_u32 s18, s22, s18
	s_and_not1_b32 vcc_lo, exec_lo, s2
	s_cbranch_vccnz .LBB61_6
.LBB61_5:
	v_cvt_f32_u32_e32 v1, s20
	s_sub_i32 s3, 0, s20
	s_delay_alu instid0(VALU_DEP_1) | instskip(SKIP_2) | instid1(VALU_DEP_1)
	v_rcp_iflag_f32_e32 v1, v1
	s_waitcnt_depctr 0xfff
	v_mul_f32_e32 v1, 0x4f7ffffe, v1
	v_cvt_u32_f32_e32 v1, v1
	s_delay_alu instid0(VALU_DEP_1) | instskip(NEXT) | instid1(VALU_DEP_1)
	v_readfirstlane_b32 s2, v1
	s_mul_i32 s3, s3, s2
	s_delay_alu instid0(SALU_CYCLE_1) | instskip(NEXT) | instid1(SALU_CYCLE_1)
	s_mul_hi_u32 s3, s2, s3
	s_add_i32 s2, s2, s3
	s_delay_alu instid0(SALU_CYCLE_1) | instskip(NEXT) | instid1(SALU_CYCLE_1)
	s_mul_hi_u32 s2, s11, s2
	s_mul_i32 s3, s2, s20
	s_delay_alu instid0(SALU_CYCLE_1)
	s_sub_i32 s3, s11, s3
	s_add_i32 s11, s2, 1
	s_sub_i32 s12, s3, s20
	s_cmp_ge_u32 s3, s20
	s_cselect_b32 s2, s11, s2
	s_cselect_b32 s3, s12, s3
	s_add_i32 s11, s2, 1
	s_cmp_ge_u32 s3, s20
	s_cselect_b32 s18, s11, s2
.LBB61_6:
	s_delay_alu instid0(SALU_CYCLE_1) | instskip(SKIP_3) | instid1(SALU_CYCLE_1)
	s_cmp_eq_u32 s16, s18
	s_mul_hi_u32 s2, s16, s8
	s_cselect_b32 s3, -1, 0
	s_add_i32 s2, s2, s16
	s_lshr_b32 s11, s2, s9
	s_delay_alu instid0(SALU_CYCLE_1) | instskip(NEXT) | instid1(SALU_CYCLE_1)
	s_mul_i32 s2, s11, s10
	s_cmp_eq_u32 s2, s16
	s_mul_hi_u32 s2, s18, s8
	s_cselect_b32 s12, -1, 0
	s_add_i32 s2, s2, s18
	s_delay_alu instid0(SALU_CYCLE_1) | instskip(NEXT) | instid1(SALU_CYCLE_1)
	s_lshr_b32 s2, s2, s9
	s_cmp_eq_u32 s11, s2
	s_mul_i32 s2, s2, s10
	s_cselect_b32 s17, -1, 0
	s_cmp_lg_u32 s2, s18
	s_cselect_b32 s2, -1, 0
	s_or_b32 s3, s3, s12
	s_and_b32 s2, s17, s2
	s_delay_alu instid0(SALU_CYCLE_1) | instskip(NEXT) | instid1(SALU_CYCLE_1)
	s_or_b32 s2, s3, s2
	s_and_b32 vcc_lo, exec_lo, s2
	s_cbranch_vccnz .LBB61_24
; %bb.7:
	s_load_b256 s[24:31], s[0:1], 0x20
	s_waitcnt lgkmcnt(0)
	s_mul_hi_u32 s2, s16, s24
	s_delay_alu instid0(SALU_CYCLE_1) | instskip(NEXT) | instid1(SALU_CYCLE_1)
	s_add_i32 s2, s2, s16
	s_lshr_b32 s18, s2, s25
	s_load_b32 s2, s[0:1], 0x40
	s_mul_i32 s3, s18, s26
	s_delay_alu instid0(SALU_CYCLE_1) | instskip(NEXT) | instid1(SALU_CYCLE_1)
	s_sub_i32 s3, s16, s3
	s_mul_hi_u32 s12, s3, s27
	s_delay_alu instid0(SALU_CYCLE_1) | instskip(NEXT) | instid1(SALU_CYCLE_1)
	s_add_i32 s12, s3, s12
	s_lshr_b32 s21, s12, s28
	s_delay_alu instid0(SALU_CYCLE_1) | instskip(NEXT) | instid1(SALU_CYCLE_1)
	s_mul_i32 s12, s21, s29
	s_sub_i32 s3, s3, s12
	s_delay_alu instid0(SALU_CYCLE_1) | instskip(NEXT) | instid1(SALU_CYCLE_1)
	s_mul_hi_u32 s12, s3, s30
	s_add_i32 s12, s3, s12
	s_delay_alu instid0(SALU_CYCLE_1) | instskip(SKIP_3) | instid1(SALU_CYCLE_1)
	s_lshr_b32 s22, s12, s31
	s_mov_b32 s12, 0
	s_waitcnt lgkmcnt(0)
	s_mul_i32 s2, s22, s2
	s_sub_i32 s2, s3, s2
	s_delay_alu instid0(SALU_CYCLE_1) | instskip(NEXT) | instid1(SALU_CYCLE_1)
	s_mul_hi_u32 s3, s2, s8
	s_add_i32 s2, s2, s3
	s_delay_alu instid0(SALU_CYCLE_1) | instskip(NEXT) | instid1(SALU_CYCLE_1)
	s_lshr_b32 s23, s2, s9
	s_lshl_b32 s2, s23, 4
	s_delay_alu instid0(SALU_CYCLE_1) | instskip(NEXT) | instid1(SALU_CYCLE_1)
	s_add_i32 s2, s2, s14
	s_cmp_lt_i32 s2, s4
	s_cselect_b32 s2, -1, 0
	s_add_i32 s3, s22, s15
	s_delay_alu instid0(SALU_CYCLE_1) | instskip(SKIP_1) | instid1(SALU_CYCLE_1)
	s_cmp_lt_i32 s3, s6
	s_cselect_b32 s3, -1, 0
	s_and_b32 s2, s2, s3
	s_delay_alu instid0(SALU_CYCLE_1)
	s_and_not1_b32 vcc_lo, exec_lo, s2
	s_cbranch_vccnz .LBB61_24
; %bb.8:
	s_load_b128 s[0:3], s[0:1], 0x0
	s_lshl_b32 s24, s20, 6
	s_mov_b32 s25, s12
	s_add_i32 s17, s14, s15
	s_lshl_b64 s[24:25], s[24:25], 2
	s_mul_i32 s4, s18, s4
	s_mul_i32 s21, s21, s6
	v_cvt_f32_ubyte0_e32 v4, 0
	v_cvt_f32_u32_e32 v5, s20
	s_waitcnt lgkmcnt(0)
	s_add_u32 s18, s2, s24
	s_addc_u32 s19, s3, s25
	s_add_i32 s4, s4, s14
	s_delay_alu instid0(SALU_CYCLE_1) | instskip(SKIP_4) | instid1(SALU_CYCLE_1)
	s_mul_i32 s4, s4, s5
	s_mul_i32 s5, s5, s23
	s_add_i32 s4, s4, s15
	s_lshl_b32 s5, s5, 11
	s_add_i32 s4, s4, s21
	s_add_i32 s4, s4, s22
	s_delay_alu instid0(SALU_CYCLE_1) | instskip(NEXT) | instid1(SALU_CYCLE_1)
	s_lshl_b32 s4, s4, 7
	s_add_i32 s5, s5, s4
	s_delay_alu instid0(SALU_CYCLE_1) | instskip(SKIP_1) | instid1(VALU_DEP_2)
	v_or_b32_e32 v1, s5, v0
	v_lshl_or_b32 v0, s17, 7, v0
	v_ashrrev_i32_e32 v2, 31, v1
	s_delay_alu instid0(VALU_DEP_1) | instskip(NEXT) | instid1(VALU_DEP_1)
	v_lshlrev_b64 v[1:2], 2, v[1:2]
	v_add_co_u32 v1, vcc_lo, s0, v1
	s_delay_alu instid0(VALU_DEP_2) | instskip(SKIP_1) | instid1(SALU_CYCLE_1)
	v_add_co_ci_u32_e32 v2, vcc_lo, s1, v2, vcc_lo
	s_lshl_b32 s0, s13, 4
	s_add_i32 s0, s0, s17
	global_load_b32 v3, v[1:2], off
	s_ashr_i32 s1, s0, 31
	s_delay_alu instid0(SALU_CYCLE_1) | instskip(NEXT) | instid1(SALU_CYCLE_1)
	s_lshl_b64 s[0:1], s[0:1], 3
	s_add_u32 s0, s2, s0
	s_addc_u32 s1, s3, s1
	s_add_i32 s14, s13, -1
	s_load_b64 s[0:1], s[0:1], 0x0
	v_fmac_f32_e32 v5, 0x4f800000, v4
	s_sub_i32 s6, 0, s20
	s_waitcnt lgkmcnt(0)
	v_mov_b32_e32 v8, s0
	s_delay_alu instid0(VALU_DEP_2) | instskip(SKIP_2) | instid1(VALU_DEP_2)
	v_rcp_f32_e32 v4, v5
	v_cvt_f32_u32_e32 v5, s20
	v_mov_b32_e32 v7, s1
	v_rcp_iflag_f32_e32 v5, v5
	s_waitcnt_depctr 0xfff
	v_mul_f32_e32 v4, 0x5f7ffffc, v4
	s_delay_alu instid0(VALU_DEP_1) | instskip(SKIP_1) | instid1(VALU_DEP_2)
	v_mul_f32_e32 v6, 0x2f800000, v4
	v_mul_f32_e32 v9, 0x4f7ffffe, v5
	v_trunc_f32_e32 v6, v6
	s_delay_alu instid0(VALU_DEP_1) | instskip(SKIP_1) | instid1(VALU_DEP_4)
	v_fmac_f32_e32 v4, 0xcf800000, v6
	v_cvt_u32_f32_e32 v5, v6
	v_cvt_u32_f32_e32 v6, v9
	s_delay_alu instid0(VALU_DEP_3)
	v_cvt_u32_f32_e32 v4, v4
.LBB61_9:                               ; =>This Inner Loop Header: Depth=1
	s_mul_hi_i32 s13, s14, s7
	s_mul_i32 s4, s14, s7
	s_cmp_lg_u64 s[12:13], 0
	s_mov_b32 s5, -1
                                        ; implicit-def: $sgpr0_sgpr1
	s_cbranch_scc0 .LBB61_11
; %bb.10:                               ;   in Loop: Header=BB61_9 Depth=1
	v_readfirstlane_b32 s0, v4
	v_readfirstlane_b32 s1, v5
	s_sub_u32 s5, 0, s20
	s_subb_u32 s15, 0, 0
	s_delay_alu instid0(VALU_DEP_2) | instskip(NEXT) | instid1(VALU_DEP_1)
	s_mul_hi_u32 s21, s5, s0
	s_mul_i32 s22, s5, s1
	s_mul_i32 s23, s15, s0
	s_add_i32 s21, s21, s22
	s_mul_i32 s22, s5, s0
	s_add_i32 s21, s21, s23
	s_mul_hi_u32 s23, s0, s22
	s_mul_i32 s24, s0, s21
	s_mul_hi_u32 s0, s0, s21
	s_add_u32 s23, s23, s24
	s_mul_i32 s25, s1, s22
	s_addc_u32 s0, 0, s0
	s_mul_hi_u32 s22, s1, s22
	s_mul_hi_u32 s24, s1, s21
	s_add_u32 s23, s23, s25
	s_addc_u32 s0, s0, s22
	s_mul_i32 s21, s1, s21
	s_addc_u32 s22, s24, 0
	s_add_u32 s0, s0, s21
	s_addc_u32 s21, 0, s22
	v_add_co_u32 v9, s0, v4, s0
	s_delay_alu instid0(VALU_DEP_1) | instskip(SKIP_1) | instid1(VALU_DEP_1)
	s_cmp_lg_u32 s0, 0
	s_addc_u32 s1, s1, s21
	v_readfirstlane_b32 s0, v9
	s_mul_i32 s21, s5, s1
	s_delay_alu instid0(VALU_DEP_1)
	s_mul_hi_u32 s22, s5, s0
	s_mul_i32 s15, s15, s0
	s_add_i32 s21, s22, s21
	s_mul_i32 s5, s5, s0
	s_add_i32 s21, s21, s15
	s_mul_hi_u32 s15, s1, s5
	s_mul_i32 s23, s1, s5
	s_mul_i32 s24, s0, s21
	s_mul_hi_u32 s5, s0, s5
	s_mul_hi_u32 s0, s0, s21
	s_add_u32 s5, s5, s24
	s_addc_u32 s0, 0, s0
	s_mul_hi_u32 s22, s1, s21
	s_add_u32 s5, s5, s23
	s_addc_u32 s0, s0, s15
	s_mul_i32 s5, s1, s21
	s_addc_u32 s15, s22, 0
	s_add_u32 s0, s0, s5
	s_addc_u32 s5, 0, s15
	v_add_co_u32 v9, s0, v9, s0
	s_delay_alu instid0(VALU_DEP_1) | instskip(SKIP_2) | instid1(SALU_CYCLE_1)
	s_cmp_lg_u32 s0, 0
	s_addc_u32 s5, s1, s5
	s_ashr_i32 s0, s13, 31
	s_add_u32 s22, s4, s0
	s_addc_u32 s23, s13, s0
	v_readfirstlane_b32 s13, v9
	s_mov_b32 s1, s0
	s_delay_alu instid0(SALU_CYCLE_1) | instskip(NEXT) | instid1(SALU_CYCLE_1)
	s_xor_b64 s[22:23], s[22:23], s[0:1]
	s_mul_i32 s15, s22, s5
	s_delay_alu instid0(VALU_DEP_1)
	s_mul_hi_u32 s21, s22, s13
	s_mul_hi_u32 s24, s22, s5
	s_add_u32 s15, s21, s15
	s_mul_i32 s25, s23, s13
	s_addc_u32 s21, 0, s24
	s_mul_hi_u32 s13, s23, s13
	s_mul_hi_u32 s24, s23, s5
	s_add_u32 s15, s15, s25
	s_addc_u32 s13, s21, s13
	s_mul_i32 s5, s23, s5
	s_addc_u32 s15, s24, 0
	s_add_u32 s5, s13, s5
	s_addc_u32 s13, 0, s15
	s_mul_i32 s21, s20, s5
	s_add_u32 s15, s5, 1
	v_sub_co_u32 v9, s21, s22, s21
	s_addc_u32 s22, s13, 0
	s_mul_i32 s25, s20, s13
	s_mul_hi_u32 s27, s20, s5
	s_delay_alu instid0(VALU_DEP_1)
	v_sub_co_u32 v10, s26, v9, s20
	s_add_u32 s24, s5, 2
	s_addc_u32 s28, s13, 0
	s_add_i32 s27, s27, s25
	s_cmp_lg_u32 s21, 0
	v_readfirstlane_b32 s21, v10
	s_subb_u32 s23, s23, s27
	s_cmp_lg_u32 s26, 0
	s_subb_u32 s25, s23, 0
	s_delay_alu instid0(VALU_DEP_1) | instskip(SKIP_4) | instid1(SALU_CYCLE_1)
	s_cmp_ge_u32 s21, s20
	s_cselect_b32 s21, -1, 0
	s_cmp_eq_u32 s25, 0
	v_readfirstlane_b32 s25, v9
	s_cselect_b32 s21, s21, -1
	s_cmp_lg_u32 s21, 0
	s_cselect_b32 s15, s24, s15
	s_cselect_b32 s21, s28, s22
	s_cmp_ge_u32 s25, s20
	s_cselect_b32 s22, -1, 0
	s_cmp_eq_u32 s23, 0
	s_cselect_b32 s22, s22, -1
	s_delay_alu instid0(SALU_CYCLE_1) | instskip(SKIP_4) | instid1(SALU_CYCLE_1)
	s_cmp_lg_u32 s22, 0
	s_cselect_b32 s23, s21, s13
	s_cselect_b32 s22, s15, s5
	s_mov_b32 s5, 0
	s_xor_b64 s[22:23], s[22:23], s[0:1]
	s_sub_u32 s0, s22, s0
.LBB61_11:                              ;   in Loop: Header=BB61_9 Depth=1
	s_and_not1_b32 vcc_lo, exec_lo, s5
	s_cbranch_vccnz .LBB61_13
; %bb.12:                               ;   in Loop: Header=BB61_9 Depth=1
	v_readfirstlane_b32 s0, v6
	s_delay_alu instid0(VALU_DEP_1) | instskip(NEXT) | instid1(SALU_CYCLE_1)
	s_mul_i32 s1, s6, s0
	s_mul_hi_u32 s1, s0, s1
	s_delay_alu instid0(SALU_CYCLE_1) | instskip(NEXT) | instid1(SALU_CYCLE_1)
	s_add_i32 s0, s0, s1
	s_mul_hi_u32 s0, s4, s0
	s_delay_alu instid0(SALU_CYCLE_1) | instskip(NEXT) | instid1(SALU_CYCLE_1)
	s_mul_i32 s1, s0, s20
	s_sub_i32 s1, s4, s1
	s_add_i32 s4, s0, 1
	s_sub_i32 s5, s1, s20
	s_cmp_ge_u32 s1, s20
	s_cselect_b32 s0, s4, s0
	s_cselect_b32 s1, s5, s1
	s_add_i32 s4, s0, 1
	s_cmp_ge_u32 s1, s20
	s_cselect_b32 s0, s4, s0
.LBB61_13:                              ;   in Loop: Header=BB61_9 Depth=1
	s_delay_alu instid0(SALU_CYCLE_1)
	s_cmp_lg_u32 s16, s0
	s_cbranch_scc0 .LBB61_17
; %bb.14:                               ;   in Loop: Header=BB61_9 Depth=1
	s_add_i32 s1, s14, s20
	s_mov_b32 s5, s12
	s_lshl_b32 s1, s1, 4
	s_mov_b32 s15, s16
	s_add_i32 s4, s1, s17
	s_mul_hi_u32 s1, s0, s8
	s_lshl_b64 s[4:5], s[4:5], 3
	s_delay_alu instid0(SALU_CYCLE_1) | instskip(SKIP_2) | instid1(SALU_CYCLE_1)
	s_add_u32 s4, s2, s4
	s_addc_u32 s5, s3, s5
	s_add_i32 s1, s1, s0
	s_lshr_b32 s1, s1, s9
	s_delay_alu instid0(SALU_CYCLE_1) | instskip(NEXT) | instid1(SALU_CYCLE_1)
	s_mul_i32 s13, s1, s10
	s_cmp_eq_u32 s13, s0
	s_cselect_b32 s13, -1, 0
	s_cmp_lt_u32 s1, s11
	s_cselect_b32 s1, -1, 0
	s_delay_alu instid0(SALU_CYCLE_1)
	s_or_b32 s1, s1, s13
	s_mov_b32 s13, -1
	s_and_b32 vcc_lo, exec_lo, s1
	s_mov_b32 s1, s14
	s_cbranch_vccnz .LBB61_16
; %bb.15:                               ;   in Loop: Header=BB61_9 Depth=1
	s_add_i32 s1, s14, -1
	s_mov_b32 s13, 0
	s_mov_b32 s15, s0
.LBB61_16:                              ;   in Loop: Header=BB61_9 Depth=1
	v_lshl_add_u32 v9, s14, 11, v0
	s_load_b64 s[4:5], s[4:5], 0x0
	s_delay_alu instid0(VALU_DEP_1) | instskip(NEXT) | instid1(VALU_DEP_1)
	v_ashrrev_i32_e32 v10, 31, v9
	v_lshlrev_b64 v[9:10], 2, v[9:10]
	s_delay_alu instid0(VALU_DEP_1) | instskip(NEXT) | instid1(VALU_DEP_2)
	v_add_co_u32 v9, vcc_lo, s18, v9
	v_add_co_ci_u32_e32 v10, vcc_lo, s19, v10, vcc_lo
	s_waitcnt lgkmcnt(0)
	v_max_f32_e64 v11, s4, s4
	global_load_b32 v10, v[9:10], off
	v_max_f32_e32 v9, v8, v8
	s_delay_alu instid0(VALU_DEP_1) | instskip(NEXT) | instid1(VALU_DEP_1)
	v_max_f32_e32 v9, v9, v11
	v_sub_f32_e32 v12, v8, v9
	s_delay_alu instid0(VALU_DEP_1) | instskip(NEXT) | instid1(VALU_DEP_1)
	v_dual_mul_f32 v14, 0x3fb8aa3b, v12 :: v_dual_sub_f32 v11, s4, v9
	v_rndne_f32_e32 v18, v14
	s_delay_alu instid0(VALU_DEP_2) | instskip(SKIP_2) | instid1(VALU_DEP_4)
	v_mul_f32_e32 v13, 0x3fb8aa3b, v11
	v_fma_f32 v17, 0x3fb8aa3b, v12, -v14
	v_cmp_ngt_f32_e32 vcc_lo, 0xc2ce8ed0, v11
	v_sub_f32_e32 v14, v14, v18
	s_delay_alu instid0(VALU_DEP_4) | instskip(SKIP_2) | instid1(VALU_DEP_3)
	v_fma_f32 v15, 0x3fb8aa3b, v11, -v13
	v_rndne_f32_e32 v16, v13
	v_fmac_f32_e32 v17, 0x32a5705f, v12
	v_fmac_f32_e32 v15, 0x32a5705f, v11
	s_delay_alu instid0(VALU_DEP_2) | instskip(NEXT) | instid1(VALU_DEP_1)
	v_dual_sub_f32 v13, v13, v16 :: v_dual_add_f32 v14, v14, v17
	v_add_f32_e32 v13, v13, v15
	s_delay_alu instid0(VALU_DEP_2) | instskip(SKIP_2) | instid1(VALU_DEP_3)
	v_exp_f32_e32 v14, v14
	v_cvt_i32_f32_e32 v15, v16
	v_cvt_i32_f32_e32 v16, v18
	v_exp_f32_e32 v13, v13
	s_waitcnt_depctr 0xfff
	v_ldexp_f32 v14, v14, v16
	v_ldexp_f32 v13, v13, v15
	s_delay_alu instid0(VALU_DEP_1) | instskip(SKIP_1) | instid1(VALU_DEP_4)
	v_cndmask_b32_e32 v13, 0, v13, vcc_lo
	v_cmp_ngt_f32_e32 vcc_lo, 0xc2ce8ed0, v12
	v_cndmask_b32_e32 v14, 0, v14, vcc_lo
	v_cmp_nlt_f32_e32 vcc_lo, 0x42b17218, v11
	s_delay_alu instid0(VALU_DEP_4) | instskip(SKIP_1) | instid1(VALU_DEP_4)
	v_cndmask_b32_e32 v13, 0x7f800000, v13, vcc_lo
	v_cmp_nlt_f32_e32 vcc_lo, 0x42b17218, v12
	v_cndmask_b32_e32 v14, 0x7f800000, v14, vcc_lo
	v_cmp_le_f32_e32 vcc_lo, 0xc1a00000, v11
	s_delay_alu instid0(VALU_DEP_4) | instskip(SKIP_1) | instid1(VALU_DEP_4)
	v_cndmask_b32_e32 v11, 0, v13, vcc_lo
	v_cmp_le_f32_e32 vcc_lo, 0xc1a00000, v12
	v_cndmask_b32_e32 v12, 0, v14, vcc_lo
	s_waitcnt vmcnt(0)
	s_delay_alu instid0(VALU_DEP_3) | instskip(NEXT) | instid1(VALU_DEP_1)
	v_mul_f32_e32 v10, v10, v11
	v_dual_mul_f32 v11, s5, v11 :: v_dual_fmac_f32 v10, v3, v12
	s_delay_alu instid0(VALU_DEP_1)
	v_fmac_f32_e32 v11, v7, v12
	s_cbranch_execz .LBB61_18
	s_branch .LBB61_19
.LBB61_17:                              ;   in Loop: Header=BB61_9 Depth=1
                                        ; implicit-def: $sgpr13
                                        ; implicit-def: $vgpr10
                                        ; implicit-def: $vgpr9
                                        ; implicit-def: $vgpr11
                                        ; implicit-def: $sgpr1
                                        ; implicit-def: $sgpr15
.LBB61_18:                              ;   in Loop: Header=BB61_9 Depth=1
	v_mov_b32_e32 v11, v7
	s_waitcnt vmcnt(0)
	v_dual_mov_b32 v9, v8 :: v_dual_mov_b32 v10, v3
	s_add_i32 s1, s14, -1
	s_mov_b32 s13, 0
	s_mov_b32 s15, s16
.LBB61_19:                              ;   in Loop: Header=BB61_9 Depth=1
	s_and_not1_b32 vcc_lo, exec_lo, s13
	s_cbranch_vccz .LBB61_23
; %bb.20:                               ;   in Loop: Header=BB61_9 Depth=1
	v_dual_mov_b32 v7, v11 :: v_dual_mov_b32 v8, v9
	s_waitcnt vmcnt(0)
	v_mov_b32_e32 v3, v10
	s_mov_b32 s16, s15
	s_mov_b32 s14, s1
	s_branch .LBB61_9
.LBB61_21:
                                        ; implicit-def: $sgpr16_sgpr17
	s_load_b128 s[8:11], s[0:1], 0x44
	s_branch .LBB61_2
.LBB61_22:
                                        ; implicit-def: $sgpr18_sgpr19
	s_branch .LBB61_5
.LBB61_23:
	v_div_scale_f32 v0, null, v11, v11, v10
	s_waitcnt vmcnt(0)
	s_delay_alu instid0(VALU_DEP_1) | instskip(SKIP_2) | instid1(VALU_DEP_1)
	v_rcp_f32_e32 v3, v0
	s_waitcnt_depctr 0xfff
	v_fma_f32 v4, -v0, v3, 1.0
	v_fmac_f32_e32 v3, v4, v3
	v_div_scale_f32 v4, vcc_lo, v10, v11, v10
	s_delay_alu instid0(VALU_DEP_1) | instskip(NEXT) | instid1(VALU_DEP_1)
	v_mul_f32_e32 v5, v4, v3
	v_fma_f32 v6, -v0, v5, v4
	s_delay_alu instid0(VALU_DEP_1) | instskip(NEXT) | instid1(VALU_DEP_1)
	v_fmac_f32_e32 v5, v6, v3
	v_fma_f32 v0, -v0, v5, v4
	s_delay_alu instid0(VALU_DEP_1) | instskip(NEXT) | instid1(VALU_DEP_1)
	v_div_fmas_f32 v0, v0, v3, v5
	v_div_fixup_f32 v0, v0, v11, v10
	global_store_b32 v[1:2], v0, off
.LBB61_24:
	s_nop 0
	s_sendmsg sendmsg(MSG_DEALLOC_VGPRS)
	s_endpgm
	.section	.rodata,"a",@progbits
	.p2align	6, 0x0
	.amdhsa_kernel _ZL33flash_attn_stream_k_fixup_generalILi128ELi16ELi1EEvPfPK15HIP_vector_typeIfLj2EEiiiiS1_IjLj3EES5_S5_S5_
		.amdhsa_group_segment_fixed_size 0
		.amdhsa_private_segment_fixed_size 0
		.amdhsa_kernarg_size 336
		.amdhsa_user_sgpr_count 13
		.amdhsa_user_sgpr_dispatch_ptr 0
		.amdhsa_user_sgpr_queue_ptr 0
		.amdhsa_user_sgpr_kernarg_segment_ptr 1
		.amdhsa_user_sgpr_dispatch_id 0
		.amdhsa_user_sgpr_private_segment_size 0
		.amdhsa_wavefront_size32 1
		.amdhsa_uses_dynamic_stack 0
		.amdhsa_enable_private_segment 0
		.amdhsa_system_sgpr_workgroup_id_x 1
		.amdhsa_system_sgpr_workgroup_id_y 1
		.amdhsa_system_sgpr_workgroup_id_z 1
		.amdhsa_system_sgpr_workgroup_info 0
		.amdhsa_system_vgpr_workitem_id 0
		.amdhsa_next_free_vgpr 19
		.amdhsa_next_free_sgpr 32
		.amdhsa_reserve_vcc 1
		.amdhsa_float_round_mode_32 0
		.amdhsa_float_round_mode_16_64 0
		.amdhsa_float_denorm_mode_32 3
		.amdhsa_float_denorm_mode_16_64 3
		.amdhsa_dx10_clamp 1
		.amdhsa_ieee_mode 1
		.amdhsa_fp16_overflow 0
		.amdhsa_workgroup_processor_mode 1
		.amdhsa_memory_ordered 1
		.amdhsa_forward_progress 0
		.amdhsa_shared_vgpr_count 0
		.amdhsa_exception_fp_ieee_invalid_op 0
		.amdhsa_exception_fp_denorm_src 0
		.amdhsa_exception_fp_ieee_div_zero 0
		.amdhsa_exception_fp_ieee_overflow 0
		.amdhsa_exception_fp_ieee_underflow 0
		.amdhsa_exception_fp_ieee_inexact 0
		.amdhsa_exception_int_div_zero 0
	.end_amdhsa_kernel
	.section	.text._ZL33flash_attn_stream_k_fixup_generalILi128ELi16ELi1EEvPfPK15HIP_vector_typeIfLj2EEiiiiS1_IjLj3EES5_S5_S5_,"axG",@progbits,_ZL33flash_attn_stream_k_fixup_generalILi128ELi16ELi1EEvPfPK15HIP_vector_typeIfLj2EEiiiiS1_IjLj3EES5_S5_S5_,comdat
.Lfunc_end61:
	.size	_ZL33flash_attn_stream_k_fixup_generalILi128ELi16ELi1EEvPfPK15HIP_vector_typeIfLj2EEiiiiS1_IjLj3EES5_S5_S5_, .Lfunc_end61-_ZL33flash_attn_stream_k_fixup_generalILi128ELi16ELi1EEvPfPK15HIP_vector_typeIfLj2EEiiiiS1_IjLj3EES5_S5_S5_
                                        ; -- End function
	.section	.AMDGPU.csdata,"",@progbits
; Kernel info:
; codeLenInByte = 3220
; NumSgprs: 34
; NumVgprs: 19
; ScratchSize: 0
; MemoryBound: 0
; FloatMode: 240
; IeeeMode: 1
; LDSByteSize: 0 bytes/workgroup (compile time only)
; SGPRBlocks: 4
; VGPRBlocks: 2
; NumSGPRsForWavesPerEU: 34
; NumVGPRsForWavesPerEU: 19
; Occupancy: 16
; WaveLimiterHint : 0
; COMPUTE_PGM_RSRC2:SCRATCH_EN: 0
; COMPUTE_PGM_RSRC2:USER_SGPR: 13
; COMPUTE_PGM_RSRC2:TRAP_HANDLER: 0
; COMPUTE_PGM_RSRC2:TGID_X_EN: 1
; COMPUTE_PGM_RSRC2:TGID_Y_EN: 1
; COMPUTE_PGM_RSRC2:TGID_Z_EN: 1
; COMPUTE_PGM_RSRC2:TIDIG_COMP_CNT: 0
	.section	.text._ZL15flash_attn_tileILi128ELi128ELi8ELi1ELb0EEvPKcS1_S1_S1_S1_PKiPfP15HIP_vector_typeIfLj2EEffffjfiS5_IjLj3EEiiiiiiiiiiiliiliiiiil,"axG",@progbits,_ZL15flash_attn_tileILi128ELi128ELi8ELi1ELb0EEvPKcS1_S1_S1_S1_PKiPfP15HIP_vector_typeIfLj2EEffffjfiS5_IjLj3EEiiiiiiiiiiiliiliiiiil,comdat
	.globl	_ZL15flash_attn_tileILi128ELi128ELi8ELi1ELb0EEvPKcS1_S1_S1_S1_PKiPfP15HIP_vector_typeIfLj2EEffffjfiS5_IjLj3EEiiiiiiiiiiiliiliiiiil ; -- Begin function _ZL15flash_attn_tileILi128ELi128ELi8ELi1ELb0EEvPKcS1_S1_S1_S1_PKiPfP15HIP_vector_typeIfLj2EEffffjfiS5_IjLj3EEiiiiiiiiiiiliiliiiiil
	.p2align	8
	.type	_ZL15flash_attn_tileILi128ELi128ELi8ELi1ELb0EEvPKcS1_S1_S1_S1_PKiPfP15HIP_vector_typeIfLj2EEffffjfiS5_IjLj3EEiiiiiiiiiiiliiliiiiil,@function
_ZL15flash_attn_tileILi128ELi128ELi8ELi1ELb0EEvPKcS1_S1_S1_S1_PKiPfP15HIP_vector_typeIfLj2EEffffjfiS5_IjLj3EEiiiiiiiiiiiliiliiiiil: ; @_ZL15flash_attn_tileILi128ELi128ELi8ELi1ELb0EEvPKcS1_S1_S1_S1_PKiPfP15HIP_vector_typeIfLj2EEffffjfiS5_IjLj3EEiiiiiiiiiiiliiliiiiil
; %bb.0:
	s_clause 0x3
	s_load_b128 s[8:11], s[0:1], 0x5c
	s_load_b64 s[42:43], s[0:1], 0x80
	s_load_b512 s[16:31], s[0:1], 0x0
	s_load_b64 s[44:45], s[0:1], 0xb8
	s_mov_b64 s[40:41], 0
	s_waitcnt lgkmcnt(0)
	v_cvt_f32_u32_e32 v1, s11
	s_sub_i32 s3, 0, s11
	s_delay_alu instid0(VALU_DEP_1) | instskip(SKIP_2) | instid1(VALU_DEP_1)
	v_rcp_iflag_f32_e32 v1, v1
	s_waitcnt_depctr 0xfff
	v_mul_f32_e32 v1, 0x4f7ffffe, v1
	v_cvt_u32_f32_e32 v1, v1
	s_delay_alu instid0(VALU_DEP_1) | instskip(NEXT) | instid1(VALU_DEP_1)
	v_readfirstlane_b32 s2, v1
	s_mul_i32 s3, s3, s2
	s_delay_alu instid0(SALU_CYCLE_1) | instskip(NEXT) | instid1(SALU_CYCLE_1)
	s_mul_hi_u32 s3, s2, s3
	s_add_i32 s2, s2, s3
	s_delay_alu instid0(SALU_CYCLE_1) | instskip(NEXT) | instid1(SALU_CYCLE_1)
	s_mul_hi_u32 s2, s15, s2
	s_mul_i32 s3, s2, s11
	s_add_i32 s4, s2, 1
	s_sub_i32 s3, s15, s3
	s_delay_alu instid0(SALU_CYCLE_1)
	s_sub_i32 s5, s3, s11
	s_cmp_ge_u32 s3, s11
	s_cselect_b32 s2, s4, s2
	s_cselect_b32 s3, s5, s3
	s_add_i32 s4, s2, 1
	s_cmp_ge_u32 s3, s11
	s_cselect_b32 s33, s4, s2
	s_abs_i32 s2, s43
	s_abs_i32 s6, s11
	v_cvt_f32_u32_e32 v1, s2
	s_sub_i32 s4, 0, s2
	s_mul_i32 s5, s33, s11
	s_delay_alu instid0(SALU_CYCLE_1) | instskip(NEXT) | instid1(VALU_DEP_1)
	s_sub_i32 s34, s15, s5
	v_rcp_iflag_f32_e32 v1, v1
	s_waitcnt_depctr 0xfff
	v_mul_f32_e32 v1, 0x4f7ffffe, v1
	s_delay_alu instid0(VALU_DEP_1) | instskip(NEXT) | instid1(VALU_DEP_1)
	v_cvt_u32_f32_e32 v1, v1
	v_readfirstlane_b32 s3, v1
	s_delay_alu instid0(VALU_DEP_1) | instskip(NEXT) | instid1(SALU_CYCLE_1)
	s_mul_i32 s4, s4, s3
	s_mul_hi_u32 s4, s3, s4
	s_delay_alu instid0(SALU_CYCLE_1) | instskip(SKIP_4) | instid1(SALU_CYCLE_1)
	s_add_i32 s3, s3, s4
	s_xor_b32 s4, s11, s43
	s_mul_hi_u32 s3, s6, s3
	s_ashr_i32 s4, s4, 31
	s_mul_i32 s5, s3, s2
	s_sub_i32 s5, s6, s5
	s_add_i32 s6, s3, 1
	s_sub_i32 s7, s5, s2
	s_cmp_ge_u32 s5, s2
	s_cselect_b32 s3, s6, s3
	s_cselect_b32 s5, s7, s5
	s_add_i32 s6, s3, 1
	s_cmp_ge_u32 s5, s2
	s_cselect_b32 s2, s6, s3
	s_abs_i32 s43, s34
	s_xor_b32 s2, s2, s4
	s_delay_alu instid0(SALU_CYCLE_1) | instskip(NEXT) | instid1(SALU_CYCLE_1)
	s_sub_i32 s46, s2, s4
	s_abs_i32 s12, s46
	s_delay_alu instid0(SALU_CYCLE_1) | instskip(SKIP_1) | instid1(VALU_DEP_1)
	v_cvt_f32_u32_e32 v1, s12
	s_sub_i32 s3, 0, s12
	v_rcp_iflag_f32_e32 v1, v1
	s_waitcnt_depctr 0xfff
	v_mul_f32_e32 v1, 0x4f7ffffe, v1
	s_delay_alu instid0(VALU_DEP_1) | instskip(NEXT) | instid1(VALU_DEP_1)
	v_cvt_u32_f32_e32 v1, v1
	v_readfirstlane_b32 s2, v1
	s_delay_alu instid0(VALU_DEP_1) | instskip(NEXT) | instid1(SALU_CYCLE_1)
	s_mul_i32 s3, s3, s2
	s_mul_hi_u32 s3, s2, s3
	s_delay_alu instid0(SALU_CYCLE_1)
	s_add_i32 s2, s2, s3
	s_cmp_eq_u64 s[22:23], 0
	s_cbranch_scc1 .LBB62_2
; %bb.1:
	s_abs_i32 s3, s44
	s_abs_i32 s6, s33
	v_cvt_f32_u32_e32 v1, s3
	s_sub_i32 s5, 0, s3
	s_delay_alu instid0(VALU_DEP_1) | instskip(SKIP_2) | instid1(VALU_DEP_1)
	v_rcp_iflag_f32_e32 v1, v1
	s_waitcnt_depctr 0xfff
	v_mul_f32_e32 v1, 0x4f7ffffe, v1
	v_cvt_u32_f32_e32 v1, v1
	s_delay_alu instid0(VALU_DEP_1) | instskip(NEXT) | instid1(VALU_DEP_1)
	v_readfirstlane_b32 s4, v1
	s_mul_i32 s5, s5, s4
	s_delay_alu instid0(SALU_CYCLE_1) | instskip(NEXT) | instid1(SALU_CYCLE_1)
	s_mul_hi_u32 s5, s4, s5
	s_add_i32 s7, s4, s5
	s_load_b64 s[4:5], s[0:1], 0xc8
	s_mul_hi_u32 s7, s6, s7
	s_delay_alu instid0(SALU_CYCLE_1) | instskip(NEXT) | instid1(SALU_CYCLE_1)
	s_mul_i32 s7, s7, s3
	s_sub_i32 s6, s6, s7
	s_ashr_i32 s7, s33, 31
	s_sub_i32 s15, s6, s3
	s_cmp_ge_u32 s6, s3
	s_cselect_b32 s6, s15, s6
	s_delay_alu instid0(SALU_CYCLE_1) | instskip(SKIP_2) | instid1(SALU_CYCLE_1)
	s_sub_i32 s15, s6, s3
	s_cmp_ge_u32 s6, s3
	s_cselect_b32 s3, s15, s6
	s_xor_b32 s3, s3, s7
	s_delay_alu instid0(SALU_CYCLE_1)
	s_sub_i32 s3, s3, s7
	s_waitcnt lgkmcnt(0)
	s_mul_i32 s5, s3, s5
	s_mul_hi_u32 s6, s3, s4
	s_ashr_i32 s7, s3, 31
	s_add_i32 s5, s6, s5
	s_mul_i32 s7, s7, s4
	s_mul_i32 s3, s3, s4
	s_add_i32 s5, s5, s7
	s_add_u32 s40, s22, s3
	s_addc_u32 s41, s23, s5
.LBB62_2:
	s_clause 0x1
	s_load_b128 s[36:39], s[0:1], 0x40
	s_load_b32 s3, s[0:1], 0x50
	v_mov_b32_e32 v47, 1.0
	s_waitcnt lgkmcnt(0)
	v_cmp_le_f32_e64 s4, s37, 0
	s_mul_hi_u32 s37, s43, s2
	s_delay_alu instid0(VALU_DEP_1)
	s_and_b32 vcc_lo, exec_lo, s4
	s_cbranch_vccnz .LBB62_4
; %bb.3:
	s_sub_i32 s2, s34, s3
	s_add_i32 s4, s34, 1
	s_lshl_b32 s2, s2, 1
	v_mov_b32_e32 v1, s38
	s_or_b32 s2, s2, 1
	s_cmp_lt_u32 s34, s3
	s_cselect_b32 vcc_lo, -1, 0
	s_delay_alu instid0(VALU_DEP_1)
	v_cndmask_b32_e32 v3, s39, v1, vcc_lo
	s_and_b32 s3, vcc_lo, exec_lo
	s_cselect_b32 s2, s4, s2
	s_mov_b32 s3, 0x3e76c4e1
	v_cvt_f32_i32_e32 v1, s2
	v_cmp_neq_f32_e32 vcc_lo, 1.0, v3
	s_delay_alu instid0(VALU_DEP_2) | instskip(NEXT) | instid1(VALU_DEP_1)
	v_cndmask_b32_e32 v4, 1.0, v1, vcc_lo
	v_cmp_eq_f32_e32 vcc_lo, 0, v4
	v_cndmask_b32_e64 v5, |v3|, 1.0, vcc_lo
	s_delay_alu instid0(VALU_DEP_1) | instskip(NEXT) | instid1(VALU_DEP_1)
	v_frexp_mant_f32_e32 v1, v5
	v_cmp_gt_f32_e64 s2, 0x3f2aaaab, v1
	s_delay_alu instid0(VALU_DEP_1) | instskip(NEXT) | instid1(VALU_DEP_1)
	v_cndmask_b32_e64 v2, 1.0, 2.0, s2
	v_mul_f32_e32 v1, v1, v2
	s_delay_alu instid0(VALU_DEP_1) | instskip(SKIP_1) | instid1(VALU_DEP_2)
	v_add_f32_e32 v2, 1.0, v1
	v_add_f32_e32 v7, -1.0, v1
	v_rcp_f32_e32 v6, v2
	s_waitcnt_depctr 0xfff
	v_mul_f32_e32 v8, v7, v6
	s_delay_alu instid0(VALU_DEP_1) | instskip(NEXT) | instid1(VALU_DEP_1)
	v_dual_add_f32 v9, -1.0, v2 :: v_dual_mul_f32 v10, v2, v8
	v_sub_f32_e32 v1, v1, v9
	v_cndmask_b32_e64 v3, v3, 1.0, vcc_lo
	s_delay_alu instid0(VALU_DEP_3) | instskip(NEXT) | instid1(VALU_DEP_2)
	v_fma_f32 v2, v8, v2, -v10
	v_cmp_eq_f32_e64 s4, 0, v3
	s_delay_alu instid0(VALU_DEP_2) | instskip(NEXT) | instid1(VALU_DEP_1)
	v_fmac_f32_e32 v2, v8, v1
	v_add_f32_e32 v1, v10, v2
	s_delay_alu instid0(VALU_DEP_1) | instskip(NEXT) | instid1(VALU_DEP_1)
	v_dual_sub_f32 v10, v1, v10 :: v_dual_sub_f32 v9, v7, v1
	v_dual_sub_f32 v2, v10, v2 :: v_dual_sub_f32 v7, v7, v9
	s_delay_alu instid0(VALU_DEP_1) | instskip(NEXT) | instid1(VALU_DEP_1)
	v_sub_f32_e32 v1, v7, v1
	v_add_f32_e32 v1, v2, v1
	s_delay_alu instid0(VALU_DEP_1) | instskip(NEXT) | instid1(VALU_DEP_1)
	v_add_f32_e32 v1, v9, v1
	v_mul_f32_e32 v1, v6, v1
	s_delay_alu instid0(VALU_DEP_1) | instskip(NEXT) | instid1(VALU_DEP_1)
	v_add_f32_e32 v6, v8, v1
	v_sub_f32_e32 v2, v6, v8
	v_mul_f32_e32 v7, v6, v6
	s_delay_alu instid0(VALU_DEP_2) | instskip(NEXT) | instid1(VALU_DEP_2)
	v_sub_f32_e32 v8, v1, v2
	v_fma_f32 v9, v6, v6, -v7
	s_delay_alu instid0(VALU_DEP_2) | instskip(NEXT) | instid1(VALU_DEP_1)
	v_add_f32_e32 v1, v8, v8
	v_fmac_f32_e32 v9, v6, v1
	v_cvt_f64_f32_e32 v[1:2], v5
	s_delay_alu instid0(VALU_DEP_2) | instskip(NEXT) | instid1(VALU_DEP_1)
	v_add_f32_e32 v10, v7, v9
	v_fmaak_f32 v11, s3, v10, 0x3e91f4c4
	v_sub_f32_e32 v7, v10, v7
	v_mul_f32_e32 v14, v6, v10
	s_delay_alu instid0(VALU_DEP_3) | instskip(NEXT) | instid1(VALU_DEP_3)
	v_fmaak_f32 v11, v10, v11, 0x3ecccdef
	v_sub_f32_e32 v7, v9, v7
	s_delay_alu instid0(VALU_DEP_2) | instskip(NEXT) | instid1(VALU_DEP_1)
	v_mul_f32_e32 v12, v10, v11
	v_fma_f32 v9, v10, v11, -v12
	s_delay_alu instid0(VALU_DEP_1) | instskip(NEXT) | instid1(VALU_DEP_1)
	v_fmac_f32_e32 v9, v7, v11
	v_add_f32_e32 v11, v12, v9
	v_frexp_exp_i32_f64_e32 v1, v[1:2]
	s_delay_alu instid0(VALU_DEP_2) | instskip(NEXT) | instid1(VALU_DEP_1)
	v_sub_f32_e32 v12, v11, v12
	v_sub_f32_e32 v2, v9, v12
	v_fma_f32 v12, v10, v6, -v14
	s_delay_alu instid0(VALU_DEP_2) | instskip(NEXT) | instid1(VALU_DEP_2)
	v_add_f32_e32 v2, 0x31739010, v2
	v_dual_add_f32 v13, 0x3f2aaaaa, v11 :: v_dual_fmac_f32 v12, v10, v8
	v_ldexp_f32 v8, v8, 1
	s_delay_alu instid0(VALU_DEP_2) | instskip(NEXT) | instid1(VALU_DEP_1)
	v_dual_add_f32 v9, 0xbf2aaaaa, v13 :: v_dual_fmac_f32 v12, v7, v6
	v_sub_f32_e32 v9, v11, v9
	s_delay_alu instid0(VALU_DEP_1) | instskip(NEXT) | instid1(VALU_DEP_3)
	v_add_f32_e32 v2, v2, v9
	v_add_f32_e32 v9, v14, v12
	s_delay_alu instid0(VALU_DEP_2) | instskip(NEXT) | instid1(VALU_DEP_1)
	v_add_f32_e32 v7, v13, v2
	v_sub_f32_e32 v10, v13, v7
	s_delay_alu instid0(VALU_DEP_3) | instskip(SKIP_2) | instid1(VALU_DEP_4)
	v_mul_f32_e32 v11, v9, v7
	v_sub_f32_e32 v13, v9, v14
	v_subrev_co_ci_u32_e64 v1, s2, 0, v1, s2
	v_add_f32_e32 v2, v2, v10
	s_delay_alu instid0(VALU_DEP_4) | instskip(NEXT) | instid1(VALU_DEP_4)
	v_fma_f32 v10, v9, v7, -v11
	v_sub_f32_e32 v12, v12, v13
	s_delay_alu instid0(VALU_DEP_4) | instskip(NEXT) | instid1(VALU_DEP_3)
	v_cvt_f32_i32_e32 v1, v1
	v_fmac_f32_e32 v10, v9, v2
	v_ldexp_f32 v2, v6, 1
	s_delay_alu instid0(VALU_DEP_2) | instskip(NEXT) | instid1(VALU_DEP_1)
	v_fmac_f32_e32 v10, v12, v7
	v_add_f32_e32 v6, v11, v10
	s_delay_alu instid0(VALU_DEP_1) | instskip(NEXT) | instid1(VALU_DEP_1)
	v_add_f32_e32 v7, v2, v6
	v_dual_sub_f32 v2, v7, v2 :: v_dual_sub_f32 v9, v6, v11
	s_delay_alu instid0(VALU_DEP_1) | instskip(NEXT) | instid1(VALU_DEP_2)
	v_sub_f32_e32 v2, v6, v2
	v_sub_f32_e32 v9, v10, v9
	s_delay_alu instid0(VALU_DEP_1) | instskip(NEXT) | instid1(VALU_DEP_1)
	v_add_f32_e32 v6, v8, v9
	v_dual_mul_f32 v11, 0x3f317218, v1 :: v_dual_add_f32 v2, v6, v2
	s_delay_alu instid0(VALU_DEP_1) | instskip(NEXT) | instid1(VALU_DEP_2)
	v_fma_f32 v10, 0x3f317218, v1, -v11
	v_add_f32_e32 v8, v7, v2
	s_delay_alu instid0(VALU_DEP_1) | instskip(NEXT) | instid1(VALU_DEP_1)
	v_sub_f32_e32 v7, v8, v7
	v_dual_fmamk_f32 v1, v1, 0xb102e308, v10 :: v_dual_sub_f32 v2, v2, v7
	s_delay_alu instid0(VALU_DEP_1) | instskip(NEXT) | instid1(VALU_DEP_1)
	v_add_f32_e32 v6, v11, v1
	v_add_f32_e32 v9, v6, v8
	s_delay_alu instid0(VALU_DEP_1) | instskip(NEXT) | instid1(VALU_DEP_1)
	v_dual_sub_f32 v11, v6, v11 :: v_dual_sub_f32 v10, v9, v6
	v_sub_f32_e32 v12, v9, v10
	s_delay_alu instid0(VALU_DEP_2) | instskip(NEXT) | instid1(VALU_DEP_2)
	v_sub_f32_e32 v1, v1, v11
	v_dual_sub_f32 v7, v8, v10 :: v_dual_sub_f32 v6, v6, v12
	s_delay_alu instid0(VALU_DEP_2) | instskip(NEXT) | instid1(VALU_DEP_2)
	v_add_f32_e32 v8, v1, v2
	v_add_f32_e32 v6, v7, v6
	s_delay_alu instid0(VALU_DEP_1) | instskip(NEXT) | instid1(VALU_DEP_1)
	v_add_f32_e32 v6, v8, v6
	v_dual_sub_f32 v7, v8, v1 :: v_dual_add_f32 v10, v9, v6
	s_delay_alu instid0(VALU_DEP_1) | instskip(SKIP_1) | instid1(VALU_DEP_3)
	v_sub_f32_e32 v8, v8, v7
	v_sub_f32_e32 v2, v2, v7
	;; [unrolled: 1-line block ×3, first 2 shown]
	s_delay_alu instid0(VALU_DEP_3) | instskip(NEXT) | instid1(VALU_DEP_1)
	v_sub_f32_e32 v1, v1, v8
	v_add_f32_e32 v1, v2, v1
	s_delay_alu instid0(VALU_DEP_3) | instskip(NEXT) | instid1(VALU_DEP_1)
	v_sub_f32_e32 v2, v6, v7
	v_add_f32_e32 v1, v1, v2
	s_delay_alu instid0(VALU_DEP_1) | instskip(NEXT) | instid1(VALU_DEP_1)
	v_add_f32_e32 v2, v10, v1
	v_mul_f32_e32 v7, v4, v2
	v_sub_f32_e32 v6, v2, v10
	s_delay_alu instid0(VALU_DEP_2) | instskip(NEXT) | instid1(VALU_DEP_2)
	v_fma_f32 v2, v4, v2, -v7
	v_sub_f32_e32 v1, v1, v6
	v_cmp_class_f32_e64 s2, v7, 0x204
	s_delay_alu instid0(VALU_DEP_2) | instskip(NEXT) | instid1(VALU_DEP_1)
	v_fmac_f32_e32 v2, v4, v1
	v_add_f32_e32 v1, v7, v2
	s_delay_alu instid0(VALU_DEP_1) | instskip(NEXT) | instid1(VALU_DEP_1)
	v_cndmask_b32_e64 v6, v1, v7, s2
	v_cmp_eq_f32_e64 s2, 0x42b17218, v6
	s_delay_alu instid0(VALU_DEP_1) | instskip(SKIP_1) | instid1(VALU_DEP_2)
	v_cndmask_b32_e64 v8, 0, 0x37000000, s2
	v_cmp_neq_f32_e64 s2, 0x7f800000, |v6|
	v_sub_f32_e32 v9, v6, v8
	v_trunc_f32_e32 v6, v4
	s_delay_alu instid0(VALU_DEP_2) | instskip(NEXT) | instid1(VALU_DEP_1)
	v_mul_f32_e32 v10, 0x3fb8aa3b, v9
	v_fma_f32 v11, 0x3fb8aa3b, v9, -v10
	v_rndne_f32_e32 v12, v10
	s_delay_alu instid0(VALU_DEP_1) | instskip(NEXT) | instid1(VALU_DEP_1)
	v_dual_fmamk_f32 v11, v9, 0x32a5705f, v11 :: v_dual_sub_f32 v10, v10, v12
	v_add_f32_e32 v10, v10, v11
	v_sub_f32_e32 v1, v1, v7
	v_cvt_i32_f32_e32 v7, v12
	s_delay_alu instid0(VALU_DEP_3) | instskip(NEXT) | instid1(VALU_DEP_2)
	v_exp_f32_e32 v10, v10
	v_sub_f32_e32 v1, v2, v1
	s_delay_alu instid0(VALU_DEP_1)
	v_cndmask_b32_e64 v1, 0, v1, s2
	v_cmp_ngt_f32_e64 s2, 0xc2ce8ed0, v9
	s_waitcnt_depctr 0xfff
	v_ldexp_f32 v2, v10, v7
	v_mul_f32_e32 v7, 0.5, v4
	v_add_f32_e32 v1, v8, v1
	s_delay_alu instid0(VALU_DEP_3) | instskip(NEXT) | instid1(VALU_DEP_3)
	v_cndmask_b32_e64 v2, 0, v2, s2
	v_trunc_f32_e32 v10, v7
	v_cmp_nlt_f32_e64 s2, 0x42b17218, v9
	s_delay_alu instid0(VALU_DEP_2) | instskip(NEXT) | instid1(VALU_DEP_2)
	v_cmp_neq_f32_e64 s3, v10, v7
	v_cndmask_b32_e64 v2, 0x7f800000, v2, s2
	v_cmp_eq_f32_e64 s2, v6, v4
	s_delay_alu instid0(VALU_DEP_2) | instskip(NEXT) | instid1(VALU_DEP_2)
	v_fma_f32 v1, v2, v1, v2
	s_and_b32 vcc_lo, s2, s3
	v_cmp_class_f32_e64 s3, v2, 0x204
	v_cndmask_b32_e32 v6, 1.0, v3, vcc_lo
	s_delay_alu instid0(VALU_DEP_2) | instskip(SKIP_1) | instid1(VALU_DEP_2)
	v_cndmask_b32_e64 v1, v1, v2, s3
	v_cmp_gt_f32_e64 s3, 0, v4
	v_bfi_b32 v1, 0x7fffffff, v1, v6
	v_cndmask_b32_e32 v6, 0, v3, vcc_lo
	s_delay_alu instid0(VALU_DEP_3)
	s_xor_b32 s3, s3, s4
	v_cmp_eq_f32_e32 vcc_lo, 0x7f800000, v5
	v_cndmask_b32_e64 v2, 0x7f800000, 0, s3
	v_cndmask_b32_e64 v4, 0x7fc00000, v1, s2
	v_cmp_gt_f32_e64 s2, 0, v3
	s_or_b32 vcc_lo, vcc_lo, s4
	s_delay_alu instid0(VALU_DEP_3) | instskip(NEXT) | instid1(VALU_DEP_2)
	v_bfi_b32 v2, 0x7fffffff, v2, v6
	v_cndmask_b32_e64 v1, v1, v4, s2
	s_delay_alu instid0(VALU_DEP_1) | instskip(SKIP_1) | instid1(VALU_DEP_2)
	v_cndmask_b32_e32 v1, v1, v2, vcc_lo
	v_cmp_o_f32_e32 vcc_lo, v3, v3
	v_cndmask_b32_e32 v47, 0x7fc00000, v1, vcc_lo
.LBB62_4:
	v_bfe_u32 v46, v0, 10, 10
	s_lshl_b32 s15, s13, 3
	s_load_b128 s[4:7], s[0:1], 0x70
	s_ashr_i32 s35, s34, 31
	s_ashr_i32 s38, s46, 31
	v_lshlrev_b32_e32 v36, 1, v46
	v_and_b32_e32 v38, 0x3ff, v0
	s_delay_alu instid0(VALU_DEP_2) | instskip(NEXT) | instid1(VALU_DEP_2)
	v_or_b32_e32 v34, 1, v36
	v_lshlrev_b32_e32 v12, 1, v38
	s_delay_alu instid0(VALU_DEP_2) | instskip(SKIP_1) | instid1(VALU_DEP_2)
	v_add_nc_u32_e32 v35, s15, v34
	v_lshlrev_b32_e32 v14, 6, v34
	v_mul_hi_u32 v2, v35, s8
	s_waitcnt lgkmcnt(0)
	s_mul_i32 s2, s33, s6
	s_mul_i32 s3, s34, s5
	s_ashr_i32 s5, s2, 31
	s_add_u32 s2, s16, s2
	s_addc_u32 s5, s17, s5
	s_ashr_i32 s6, s3, 31
	v_add_nc_u32_e32 v2, v35, v2
	s_add_u32 s2, s2, s3
	s_addc_u32 s3, s5, s6
	s_ashr_i32 s5, s4, 31
	s_delay_alu instid0(SALU_CYCLE_1) | instskip(SKIP_3) | instid1(VALU_DEP_1)
	v_alignbit_b32 v5, s5, s4, 2
	v_lshrrev_b32_e32 v2, s9, v2
	s_lshr_b32 s4, s5, 2
	s_cmp_eq_u64 s[26:27], 0
	v_mul_lo_u32 v3, v2, s10
	s_delay_alu instid0(VALU_DEP_1) | instskip(NEXT) | instid1(VALU_DEP_1)
	v_sub_nc_u32_e32 v8, v35, v3
	v_mad_u64_u32 v[3:4], null, v5, v8, 0
	v_add_nc_u32_e32 v39, s15, v36
	s_delay_alu instid0(VALU_DEP_1) | instskip(NEXT) | instid1(VALU_DEP_1)
	v_mul_hi_u32 v1, v39, s8
	v_add_nc_u32_e32 v1, v39, v1
	s_delay_alu instid0(VALU_DEP_1) | instskip(NEXT) | instid1(VALU_DEP_1)
	v_lshrrev_b32_e32 v1, s9, v1
	v_mul_lo_u32 v1, v1, s10
	s_delay_alu instid0(VALU_DEP_1) | instskip(NEXT) | instid1(VALU_DEP_1)
	v_sub_nc_u32_e32 v51, v39, v1
	v_mad_u64_u32 v[1:2], null, v5, v51, 0
	s_delay_alu instid0(VALU_DEP_1) | instskip(SKIP_1) | instid1(VALU_DEP_1)
	v_mad_u64_u32 v[5:6], null, s4, v51, v[2:3]
	v_mov_b32_e32 v2, v4
	v_mad_u64_u32 v[6:7], null, s4, v8, v[2:3]
	s_delay_alu instid0(VALU_DEP_3) | instskip(SKIP_1) | instid1(VALU_DEP_2)
	v_dual_mov_b32 v2, v5 :: v_dual_lshlrev_b32 v5, 4, v38
	v_lshlrev_b32_e32 v8, 7, v46
	v_lshlrev_b64 v[0:1], 2, v[1:2]
	s_delay_alu instid0(VALU_DEP_4) | instskip(NEXT) | instid1(VALU_DEP_4)
	v_mov_b32_e32 v4, v6
	v_add_co_u32 v5, s2, s2, v5
	s_delay_alu instid0(VALU_DEP_1) | instskip(NEXT) | instid1(VALU_DEP_3)
	v_add_co_ci_u32_e64 v6, null, s3, 0, s2
	v_lshlrev_b64 v[2:3], 2, v[3:4]
	s_delay_alu instid0(VALU_DEP_3) | instskip(NEXT) | instid1(VALU_DEP_3)
	v_add_co_u32 v0, vcc_lo, v5, v0
	v_add_co_ci_u32_e32 v1, vcc_lo, v6, v1, vcc_lo
	v_add_lshl_u32 v13, v8, v12, 2
	s_delay_alu instid0(VALU_DEP_4)
	v_add_co_u32 v4, vcc_lo, v5, v2
	v_add_co_ci_u32_e32 v5, vcc_lo, v6, v3, vcc_lo
	s_clause 0x1
	global_load_b128 v[0:3], v[0:1], off
	global_load_b128 v[4:7], v[4:5], off
	s_mov_b32 s3, 0
	s_waitcnt vmcnt(1)
	v_fma_mixlo_f16 v9, v2, s36, 0
	v_fma_mixlo_f16 v8, v0, s36, 0
	s_waitcnt vmcnt(0)
	v_fma_mixlo_f16 v11, v6, s36, 0
	v_fma_mixlo_f16 v10, v4, s36, 0
	v_add_lshl_u32 v0, v14, v12, 2
	v_fma_mixhi_f16 v9, v3, s36, 0
	v_fma_mixhi_f16 v8, v1, s36, 0
	;; [unrolled: 1-line block ×4, first 2 shown]
	ds_store_b64 v13, v[8:9] offset:9216
	ds_store_b64 v0, v[10:11] offset:9216
	s_waitcnt lgkmcnt(0)
	s_barrier
	buffer_gl0_inv
	s_cbranch_scc1 .LBB62_6
; %bb.5:
	s_load_b32 s2, s[0:1], 0xd0
	s_waitcnt lgkmcnt(0)
	s_mul_i32 s2, s2, s33
	s_delay_alu instid0(SALU_CYCLE_1) | instskip(NEXT) | instid1(SALU_CYCLE_1)
	s_add_i32 s2, s2, s13
	s_lshl_b64 s[2:3], s[2:3], 2
	s_delay_alu instid0(SALU_CYCLE_1)
	s_add_u32 s2, s26, s2
	s_addc_u32 s3, s27, s3
	s_load_b32 s42, s[2:3], 0x0
.LBB62_6:
	s_clause 0x1
	s_load_b64 s[2:3], s[0:1], 0x8c
	s_load_b128 s[4:7], s[0:1], 0x98
	s_ashr_i32 s13, s33, 31
	s_load_b64 s[26:27], s[0:1], 0xa8
	s_ashr_i32 s22, s45, 1
	s_mul_i32 s17, s37, s12
	v_dual_mov_b32 v6, 0 :: v_dual_lshlrev_b32 v37, 2, v38
	v_mov_b32_e32 v44, 0
	v_lshrrev_b32_e32 v53, 3, v38
	v_mul_u32_u24_e32 v52, 0x90, v38
	s_delay_alu instid0(VALU_DEP_4)
	v_and_b32_e32 v49, 60, v37
	v_and_b32_e32 v54, 28, v37
	v_or_b32_e32 v50, 1, v39
	v_lshrrev_b32_e32 v48, 4, v38
	v_lshlrev_b32_e32 v41, 3, v38
	v_mbcnt_lo_u32_b32 v40, -1, 0
	s_mov_b32 s44, 0xfeffffff
	s_waitcnt lgkmcnt(0)
	s_ashr_i32 s23, s2, 2
	s_mul_i32 s2, s33, s5
	s_mul_hi_u32 s5, s33, s4
	s_ashr_i32 s16, s6, 2
	s_mul_i32 s6, s13, s4
	s_add_i32 s2, s5, s2
	s_mul_i32 s4, s33, s4
	s_add_i32 s2, s2, s6
	s_add_u32 s4, s18, s4
	s_addc_u32 s2, s19, s2
	s_sub_i32 s6, s43, s17
	s_xor_b32 s5, s35, s38
	s_add_i32 s17, s37, 1
	s_sub_i32 s18, s6, s12
	s_cmp_ge_u32 s6, s12
	s_mul_i32 s13, s13, s26
	s_cselect_b32 s17, s17, s37
	s_cselect_b32 s6, s18, s6
	s_add_i32 s18, s17, 1
	s_cmp_ge_u32 s6, s12
	s_mul_i32 s12, s33, s27
	s_cselect_b32 s6, s18, s17
	s_mul_hi_u32 s17, s33, s26
	s_xor_b32 s6, s6, s5
	s_mul_i32 s18, s33, s26
	s_sub_i32 s6, s6, s5
	s_delay_alu instid0(SALU_CYCLE_1)
	s_mul_i32 s3, s6, s3
	s_mul_i32 s6, s6, s7
	s_ashr_i32 s5, s3, 31
	s_add_u32 s4, s4, s3
	s_addc_u32 s5, s2, s5
	s_add_i32 s2, s17, s12
	s_delay_alu instid0(SALU_CYCLE_1)
	s_add_i32 s2, s2, s13
	s_add_u32 s3, s20, s18
	s_addc_u32 s2, s21, s2
	s_ashr_i32 s12, s6, 31
	s_add_u32 s7, s3, s6
	s_addc_u32 s17, s2, s12
	s_lshl_b32 s6, s14, 6
	s_sub_i32 s12, s42, 64
	s_delay_alu instid0(SALU_CYCLE_1)
	s_cmp_ge_i32 s6, s12
	s_cbranch_scc1 .LBB62_19
; %bb.7:
	v_mul_hi_u32 v2, s8, v50
	v_lshl_add_u32 v1, v46, 2, v53
	v_dual_mov_b32 v42, 0 :: v_dual_lshlrev_b32 v3, 2, v54
	v_dual_mov_b32 v72, 0xfeffffff :: v_dual_add_nc_u32 v5, v48, v36
	s_delay_alu instid0(VALU_DEP_3)
	v_mul_lo_u32 v0, s23, v1
	s_lshl_b32 s2, s23, 4
	v_dual_mov_b32 v43, 0 :: v_dual_add_nc_u32 v4, v50, v2
	v_mad_u32_u24 v56, 0x90, v1, v3
	s_cmp_lg_u64 s[40:41], 0
	v_dual_mov_b32 v44, 0 :: v_dual_lshlrev_b32 v11, 2, v49
	s_delay_alu instid0(VALU_DEP_3)
	v_lshrrev_b32_e32 v1, s9, v4
	v_mul_lo_u32 v4, s16, v5
	s_cselect_b32 s13, -1, 0
	s_lshl_b32 s3, s16, 3
	v_dual_mov_b32 v45, 0 :: v_dual_add_nc_u32 v2, s2, v0
	v_mul_lo_u32 v9, v1, s10
	v_mov_b32_e32 v73, 0xfeffffff
	v_ashrrev_i32_e32 v1, 31, v0
	v_add_nc_u32_e32 v10, s3, v4
	v_add_nc_u32_e32 v6, s2, v2
	v_ashrrev_i32_e32 v3, 31, v2
	v_lshl_or_b32 v61, v5, 8, v11
	v_ashrrev_i32_e32 v5, 31, v4
	v_add_nc_u32_e32 v12, s3, v10
	v_add_nc_u32_e32 v8, s2, v6
	v_sub_nc_u32_e32 v13, v50, v9
	v_ashrrev_i32_e32 v7, 31, v6
	v_ashrrev_i32_e32 v11, 31, v10
	v_add_nc_u32_e32 v14, s3, v12
	v_ashrrev_i32_e32 v9, 31, v8
	v_mul_lo_u32 v62, v13, s22
	v_ashrrev_i32_e32 v13, 31, v12
	v_mul_lo_u32 v60, v51, s22
	v_ashrrev_i32_e32 v15, 31, v14
	v_lshlrev_b64 v[18:19], 2, v[0:1]
	v_lshlrev_b64 v[20:21], 2, v[2:3]
	;; [unrolled: 1-line block ×8, first 2 shown]
	v_lshl_add_u32 v55, v46, 9, 0x2400
	v_dual_mov_b32 v70, 0 :: v_dual_add_nc_u32 v57, 0x900, v56
	v_dual_mov_b32 v71, 0 :: v_dual_add_nc_u32 v58, 0x1200, v56
	v_add_nc_u32_e32 v59, 0x1b00, v56
	v_lshl_add_u32 v63, v46, 8, 0x2c00
	v_add_nc_u32_e32 v64, 0x800, v61
	v_add_nc_u32_e32 v65, 0x1000, v61
	;; [unrolled: 1-line block ×3, first 2 shown]
	s_add_u32 s2, s0, 0xd0
	v_lshlrev_b32_e32 v67, 2, v54
	v_lshlrev_b32_e32 v68, 2, v49
	v_mbcnt_lo_u32_b32 v69, -1, 0
	s_addc_u32 s3, s1, 0
	s_add_u32 s18, s40, 64
	s_addc_u32 s19, s41, 0
.LBB62_8:                               ; =>This Inner Loop Header: Depth=1
	s_mul_hi_i32 s21, s6, s23
	s_mul_i32 s20, s6, s23
	v_dual_mov_b32 v16, 0 :: v_dual_mov_b32 v17, 0
	s_lshl_b64 s[20:21], s[20:21], 2
	s_delay_alu instid0(SALU_CYCLE_1)
	s_add_u32 s20, s4, s20
	s_addc_u32 s21, s5, s21
	v_add_co_u32 v0, vcc_lo, s20, v18
	v_add_co_ci_u32_e32 v1, vcc_lo, s21, v19, vcc_lo
	v_add_co_u32 v2, vcc_lo, s20, v20
	v_add_co_ci_u32_e32 v3, vcc_lo, s21, v21, vcc_lo
	s_delay_alu instid0(VALU_DEP_4) | instskip(NEXT) | instid1(VALU_DEP_4)
	v_add_co_u32 v0, vcc_lo, v0, v67
	v_add_co_ci_u32_e32 v1, vcc_lo, 0, v1, vcc_lo
	s_delay_alu instid0(VALU_DEP_4) | instskip(NEXT) | instid1(VALU_DEP_4)
	v_add_co_u32 v2, vcc_lo, v2, v67
	v_add_co_ci_u32_e32 v3, vcc_lo, 0, v3, vcc_lo
	v_add_co_u32 v4, vcc_lo, s20, v22
	v_add_co_ci_u32_e32 v5, vcc_lo, s21, v23, vcc_lo
	;; [unrolled: 2-line block ×3, first 2 shown]
	s_delay_alu instid0(VALU_DEP_4) | instskip(NEXT) | instid1(VALU_DEP_4)
	v_add_co_u32 v4, vcc_lo, v4, v67
	v_add_co_ci_u32_e32 v5, vcc_lo, 0, v5, vcc_lo
	s_delay_alu instid0(VALU_DEP_4) | instskip(NEXT) | instid1(VALU_DEP_4)
	v_add_co_u32 v6, vcc_lo, v6, v67
	v_add_co_ci_u32_e32 v7, vcc_lo, 0, v7, vcc_lo
	s_clause 0x3
	global_load_b128 v[8:11], v[0:1], off
	global_load_b128 v[12:15], v[2:3], off
	global_load_b128 v[74:77], v[4:5], off
	global_load_b128 v[78:81], v[6:7], off
	s_and_not1_b32 vcc_lo, exec_lo, s13
	s_waitcnt vmcnt(3)
	ds_store_b128 v56, v[8:11]
	s_waitcnt vmcnt(2)
	ds_store_b128 v57, v[12:15]
	;; [unrolled: 2-line block ×4, first 2 shown]
	s_waitcnt lgkmcnt(0)
	s_barrier
	buffer_gl0_inv
	ds_load_b128 v[10:13], v52
	ds_load_b128 v[74:77], v55
	ds_load_b128 v[78:81], v55 offset:256
	ds_load_b128 v[82:85], v52 offset:4608
	v_dual_mov_b32 v8, 0 :: v_dual_mov_b32 v9, 0
	s_waitcnt lgkmcnt(2)
	;;#ASMSTART
	v_dot2_f32_f16 v8, v10, v74, v8
	;;#ASMEND
	;;#ASMSTART
	v_dot2_f32_f16 v8, v11, v75, v8
	;;#ASMEND
	;;#ASMSTART
	v_dot2_f32_f16 v8, v12, v76, v8
	;;#ASMEND
	;;#ASMSTART
	v_dot2_f32_f16 v8, v13, v77, v8
	;;#ASMEND
	s_waitcnt lgkmcnt(1)
	;;#ASMSTART
	v_dot2_f32_f16 v16, v10, v78, v16
	;;#ASMEND
	;;#ASMSTART
	v_dot2_f32_f16 v16, v11, v79, v16
	;;#ASMEND
	;;#ASMSTART
	v_dot2_f32_f16 v16, v12, v80, v16
	;;#ASMEND
	;;#ASMSTART
	v_dot2_f32_f16 v16, v13, v81, v16
	;;#ASMEND
	s_waitcnt lgkmcnt(0)
	;;#ASMSTART
	v_dot2_f32_f16 v9, v82, v74, v9
	;;#ASMEND
	;;#ASMSTART
	v_dot2_f32_f16 v9, v83, v75, v9
	;;#ASMEND
	;;#ASMSTART
	v_dot2_f32_f16 v9, v84, v76, v9
	;;#ASMEND
	;;#ASMSTART
	v_dot2_f32_f16 v9, v85, v77, v9
	;;#ASMEND
	;;#ASMSTART
	v_dot2_f32_f16 v17, v82, v78, v17
	;;#ASMEND
	;;#ASMSTART
	v_dot2_f32_f16 v17, v83, v79, v17
	;;#ASMEND
	;;#ASMSTART
	v_dot2_f32_f16 v17, v84, v80, v17
	;;#ASMEND
	;;#ASMSTART
	v_dot2_f32_f16 v17, v85, v81, v17
	;;#ASMEND
	ds_load_b128 v[10:13], v52 offset:16
	ds_load_b128 v[74:77], v55 offset:16
	ds_load_b128 v[78:81], v55 offset:272
	ds_load_b128 v[82:85], v52 offset:4624
	s_waitcnt lgkmcnt(2)
	;;#ASMSTART
	v_dot2_f32_f16 v8, v10, v74, v8
	;;#ASMEND
	;;#ASMSTART
	v_dot2_f32_f16 v8, v11, v75, v8
	;;#ASMEND
	;;#ASMSTART
	v_dot2_f32_f16 v8, v12, v76, v8
	;;#ASMEND
	;;#ASMSTART
	v_dot2_f32_f16 v8, v13, v77, v8
	;;#ASMEND
	s_waitcnt lgkmcnt(1)
	;;#ASMSTART
	v_dot2_f32_f16 v16, v10, v78, v16
	;;#ASMEND
	;;#ASMSTART
	v_dot2_f32_f16 v16, v11, v79, v16
	;;#ASMEND
	;;#ASMSTART
	v_dot2_f32_f16 v16, v12, v80, v16
	;;#ASMEND
	;;#ASMSTART
	v_dot2_f32_f16 v16, v13, v81, v16
	;;#ASMEND
	s_waitcnt lgkmcnt(0)
	;;#ASMSTART
	v_dot2_f32_f16 v9, v82, v74, v9
	;;#ASMEND
	;;#ASMSTART
	v_dot2_f32_f16 v9, v83, v75, v9
	;;#ASMEND
	;;#ASMSTART
	v_dot2_f32_f16 v9, v84, v76, v9
	;;#ASMEND
	;;#ASMSTART
	v_dot2_f32_f16 v9, v85, v77, v9
	;;#ASMEND
	;;#ASMSTART
	v_dot2_f32_f16 v17, v82, v78, v17
	;;#ASMEND
	;;#ASMSTART
	v_dot2_f32_f16 v17, v83, v79, v17
	;;#ASMEND
	;;#ASMSTART
	v_dot2_f32_f16 v17, v84, v80, v17
	;;#ASMEND
	;;#ASMSTART
	v_dot2_f32_f16 v17, v85, v81, v17
	;;#ASMEND
	ds_load_b128 v[10:13], v52 offset:32
	ds_load_b128 v[74:77], v55 offset:32
	ds_load_b128 v[78:81], v55 offset:288
	ds_load_b128 v[82:85], v52 offset:4640
	;; [unrolled: 55-line block ×7, first 2 shown]
	s_waitcnt lgkmcnt(2)
	;;#ASMSTART
	v_dot2_f32_f16 v8, v10, v74, v8
	;;#ASMEND
	;;#ASMSTART
	v_dot2_f32_f16 v8, v11, v75, v8
	;;#ASMEND
	;;#ASMSTART
	v_dot2_f32_f16 v8, v12, v76, v8
	;;#ASMEND
	;;#ASMSTART
	v_dot2_f32_f16 v8, v13, v77, v8
	;;#ASMEND
	s_waitcnt lgkmcnt(1)
	;;#ASMSTART
	v_dot2_f32_f16 v16, v10, v78, v16
	;;#ASMEND
	;;#ASMSTART
	v_dot2_f32_f16 v16, v11, v79, v16
	;;#ASMEND
	;;#ASMSTART
	v_dot2_f32_f16 v16, v12, v80, v16
	;;#ASMEND
	;;#ASMSTART
	v_dot2_f32_f16 v16, v13, v81, v16
	;;#ASMEND
	;; [unrolled: 13-line block ×3, first 2 shown]
	;;#ASMSTART
	v_dot2_f32_f16 v17, v82, v78, v17
	;;#ASMEND
	;;#ASMSTART
	v_dot2_f32_f16 v17, v83, v79, v17
	;;#ASMEND
	;; [unrolled: 3-line block ×4, first 2 shown]
	s_barrier
	buffer_gl0_inv
	s_clause 0x3
	global_load_b128 v[10:13], v[0:1], off offset:128
	global_load_b128 v[0:3], v[2:3], off offset:128
	;; [unrolled: 1-line block ×4, first 2 shown]
	s_waitcnt vmcnt(3)
	ds_store_b128 v56, v[10:13]
	s_waitcnt vmcnt(2)
	ds_store_b128 v57, v[0:3]
	;; [unrolled: 2-line block ×4, first 2 shown]
	s_waitcnt lgkmcnt(0)
	s_barrier
	buffer_gl0_inv
	ds_load_b128 v[0:3], v52
	ds_load_b128 v[4:7], v55 offset:128
	ds_load_b128 v[10:13], v55 offset:384
	ds_load_b128 v[74:77], v52 offset:4608
	s_waitcnt lgkmcnt(2)
	;;#ASMSTART
	v_dot2_f32_f16 v8, v0, v4, v8
	;;#ASMEND
	;;#ASMSTART
	v_dot2_f32_f16 v8, v1, v5, v8
	;;#ASMEND
	;;#ASMSTART
	v_dot2_f32_f16 v8, v2, v6, v8
	;;#ASMEND
	;;#ASMSTART
	v_dot2_f32_f16 v8, v3, v7, v8
	;;#ASMEND
	s_waitcnt lgkmcnt(1)
	;;#ASMSTART
	v_dot2_f32_f16 v16, v0, v10, v16
	;;#ASMEND
	;;#ASMSTART
	v_dot2_f32_f16 v16, v1, v11, v16
	;;#ASMEND
	;;#ASMSTART
	v_dot2_f32_f16 v16, v2, v12, v16
	;;#ASMEND
	;;#ASMSTART
	v_dot2_f32_f16 v16, v3, v13, v16
	;;#ASMEND
	s_waitcnt lgkmcnt(0)
	;;#ASMSTART
	v_dot2_f32_f16 v9, v74, v4, v9
	;;#ASMEND
	;;#ASMSTART
	v_dot2_f32_f16 v9, v75, v5, v9
	;;#ASMEND
	;;#ASMSTART
	v_dot2_f32_f16 v9, v76, v6, v9
	;;#ASMEND
	;;#ASMSTART
	v_dot2_f32_f16 v9, v77, v7, v9
	;;#ASMEND
	;;#ASMSTART
	v_dot2_f32_f16 v17, v74, v10, v17
	;;#ASMEND
	;;#ASMSTART
	v_dot2_f32_f16 v17, v75, v11, v17
	;;#ASMEND
	;;#ASMSTART
	v_dot2_f32_f16 v17, v76, v12, v17
	;;#ASMEND
	;;#ASMSTART
	v_dot2_f32_f16 v17, v77, v13, v17
	;;#ASMEND
	ds_load_b128 v[0:3], v52 offset:16
	ds_load_b128 v[4:7], v55 offset:144
	ds_load_b128 v[10:13], v55 offset:400
	ds_load_b128 v[74:77], v52 offset:4624
	s_waitcnt lgkmcnt(2)
	;;#ASMSTART
	v_dot2_f32_f16 v8, v0, v4, v8
	;;#ASMEND
	;;#ASMSTART
	v_dot2_f32_f16 v8, v1, v5, v8
	;;#ASMEND
	;;#ASMSTART
	v_dot2_f32_f16 v8, v2, v6, v8
	;;#ASMEND
	;;#ASMSTART
	v_dot2_f32_f16 v8, v3, v7, v8
	;;#ASMEND
	s_waitcnt lgkmcnt(1)
	;;#ASMSTART
	v_dot2_f32_f16 v16, v0, v10, v16
	;;#ASMEND
	;;#ASMSTART
	v_dot2_f32_f16 v16, v1, v11, v16
	;;#ASMEND
	;;#ASMSTART
	v_dot2_f32_f16 v16, v2, v12, v16
	;;#ASMEND
	;;#ASMSTART
	v_dot2_f32_f16 v16, v3, v13, v16
	;;#ASMEND
	s_waitcnt lgkmcnt(0)
	;;#ASMSTART
	v_dot2_f32_f16 v9, v74, v4, v9
	;;#ASMEND
	;;#ASMSTART
	v_dot2_f32_f16 v9, v75, v5, v9
	;;#ASMEND
	;;#ASMSTART
	v_dot2_f32_f16 v9, v76, v6, v9
	;;#ASMEND
	;;#ASMSTART
	v_dot2_f32_f16 v9, v77, v7, v9
	;;#ASMEND
	;;#ASMSTART
	v_dot2_f32_f16 v17, v74, v10, v17
	;;#ASMEND
	;;#ASMSTART
	v_dot2_f32_f16 v17, v75, v11, v17
	;;#ASMEND
	;;#ASMSTART
	v_dot2_f32_f16 v17, v76, v12, v17
	;;#ASMEND
	;;#ASMSTART
	v_dot2_f32_f16 v17, v77, v13, v17
	;;#ASMEND
	ds_load_b128 v[0:3], v52 offset:32
	;; [unrolled: 55-line block ×7, first 2 shown]
	ds_load_b128 v[10:13], v55 offset:240
	ds_load_b128 v[74:77], v55 offset:496
	;; [unrolled: 1-line block ×3, first 2 shown]
	v_dual_mov_b32 v3, 0 :: v_dual_add_nc_u32 v2, s6, v38
	s_waitcnt lgkmcnt(2)
	;;#ASMSTART
	v_dot2_f32_f16 v8, v4, v10, v8
	;;#ASMEND
	;;#ASMSTART
	v_dot2_f32_f16 v8, v5, v11, v8
	;;#ASMEND
	s_delay_alu instid0(VALU_DEP_1)
	v_add_nc_u32_e32 v0, v2, v60
	;;#ASMSTART
	v_dot2_f32_f16 v8, v6, v12, v8
	;;#ASMEND
	;;#ASMSTART
	v_dot2_f32_f16 v8, v7, v13, v8
	;;#ASMEND
	s_waitcnt lgkmcnt(1)
	;;#ASMSTART
	v_dot2_f32_f16 v16, v4, v74, v16
	;;#ASMEND
	;;#ASMSTART
	v_dot2_f32_f16 v16, v5, v75, v16
	;;#ASMEND
	;; [unrolled: 3-line block ×4, first 2 shown]
	s_waitcnt lgkmcnt(0)
	;;#ASMSTART
	v_dot2_f32_f16 v9, v78, v10, v9
	;;#ASMEND
	v_ashrrev_i32_e32 v1, 31, v0
	;;#ASMSTART
	v_dot2_f32_f16 v9, v79, v11, v9
	;;#ASMEND
	;;#ASMSTART
	v_dot2_f32_f16 v9, v80, v12, v9
	;;#ASMEND
	;; [unrolled: 3-line block ×7, first 2 shown]
	s_cbranch_vccnz .LBB62_10
; %bb.9:                                ;   in Loop: Header=BB62_8 Depth=1
	v_lshlrev_b64 v[3:4], 1, v[0:1]
	s_delay_alu instid0(VALU_DEP_1) | instskip(NEXT) | instid1(VALU_DEP_2)
	v_add_co_u32 v3, vcc_lo, s40, v3
	v_add_co_ci_u32_e32 v4, vcc_lo, s41, v4, vcc_lo
	flat_load_u16 v3, v[3:4]
	s_waitcnt vmcnt(0) lgkmcnt(0)
	v_cvt_f32_f16_e32 v3, v3
	s_delay_alu instid0(VALU_DEP_1)
	v_mul_f32_e32 v3, v47, v3
.LBB62_10:                              ;   in Loop: Header=BB62_8 Depth=1
	v_mov_b32_e32 v80, 0
	v_mov_b32_e32 v4, 0
	s_and_not1_b32 vcc_lo, exec_lo, s13
	s_cbranch_vccnz .LBB62_12
; %bb.11:                               ;   in Loop: Header=BB62_8 Depth=1
	v_lshlrev_b64 v[0:1], 1, v[0:1]
	s_delay_alu instid0(VALU_DEP_1) | instskip(NEXT) | instid1(VALU_DEP_2)
	v_add_co_u32 v0, vcc_lo, s18, v0
	v_add_co_ci_u32_e32 v1, vcc_lo, s19, v1, vcc_lo
	flat_load_u16 v0, v[0:1]
	s_waitcnt vmcnt(0) lgkmcnt(0)
	v_cvt_f32_f16_e32 v0, v0
	s_delay_alu instid0(VALU_DEP_1)
	v_mul_f32_e32 v4, v47, v0
.LBB62_12:                              ;   in Loop: Header=BB62_8 Depth=1
	v_xor_b32_e32 v0, 16, v69
	s_delay_alu instid0(VALU_DEP_2) | instskip(NEXT) | instid1(VALU_DEP_2)
	v_dual_add_f32 v77, v8, v3 :: v_dual_add_f32 v78, v9, v4
	v_cmp_gt_i32_e32 vcc_lo, 32, v0
	s_delay_alu instid0(VALU_DEP_2) | instskip(NEXT) | instid1(VALU_DEP_3)
	v_add_f32_e32 v1, 0x40051340, v77
	v_dual_add_f32 v3, 0x40051340, v78 :: v_dual_cndmask_b32 v0, v69, v0
	s_delay_alu instid0(VALU_DEP_1) | instskip(NEXT) | instid1(VALU_DEP_2)
	v_lshlrev_b32_e32 v81, 2, v0
	v_max3_f32 v0, v72, v1, v3
	v_xor_b32_e32 v3, 8, v69
	ds_bpermute_b32 v1, v81, v0
	v_cmp_gt_i32_e32 vcc_lo, 32, v3
	v_cndmask_b32_e32 v3, v69, v3, vcc_lo
	s_delay_alu instid0(VALU_DEP_1) | instskip(SKIP_1) | instid1(VALU_DEP_1)
	v_lshlrev_b32_e32 v82, 2, v3
	v_xor_b32_e32 v3, 4, v69
	v_cmp_gt_i32_e32 vcc_lo, 32, v3
	s_waitcnt lgkmcnt(0)
	v_max_f32_e32 v1, v1, v1
	s_delay_alu instid0(VALU_DEP_1) | instskip(NEXT) | instid1(VALU_DEP_1)
	v_dual_cndmask_b32 v3, v69, v3 :: v_dual_max_f32 v0, v0, v1
	v_lshlrev_b32_e32 v83, 2, v3
	v_xor_b32_e32 v3, 2, v69
	ds_bpermute_b32 v1, v82, v0
	v_cmp_gt_i32_e32 vcc_lo, 32, v3
	v_cndmask_b32_e32 v3, v69, v3, vcc_lo
	s_delay_alu instid0(VALU_DEP_1) | instskip(SKIP_1) | instid1(VALU_DEP_1)
	v_lshlrev_b32_e32 v74, 2, v3
	v_xor_b32_e32 v3, 1, v69
	v_cmp_gt_i32_e32 vcc_lo, 32, v3
	s_waitcnt lgkmcnt(0)
	v_max_f32_e32 v1, v1, v1
	s_delay_alu instid0(VALU_DEP_1) | instskip(SKIP_1) | instid1(VALU_DEP_1)
	v_dual_cndmask_b32 v3, v69, v3 :: v_dual_max_f32 v0, v0, v1
	s_and_not1_b32 vcc_lo, exec_lo, s13
	v_lshlrev_b32_e32 v79, 2, v3
	ds_bpermute_b32 v1, v83, v0
	s_waitcnt lgkmcnt(0)
	v_max_f32_e32 v1, v1, v1
	s_delay_alu instid0(VALU_DEP_1) | instskip(SKIP_3) | instid1(VALU_DEP_1)
	v_max_f32_e32 v0, v0, v1
	ds_bpermute_b32 v1, v74, v0
	s_waitcnt lgkmcnt(0)
	v_max_f32_e32 v1, v1, v1
	v_dual_max_f32 v75, v0, v1 :: v_dual_add_nc_u32 v0, v2, v62
	ds_bpermute_b32 v76, v79, v75
	v_ashrrev_i32_e32 v1, 31, v0
	s_cbranch_vccnz .LBB62_14
; %bb.13:                               ;   in Loop: Header=BB62_8 Depth=1
	s_delay_alu instid0(VALU_DEP_1) | instskip(NEXT) | instid1(VALU_DEP_1)
	v_lshlrev_b64 v[2:3], 1, v[0:1]
	v_add_co_u32 v2, vcc_lo, s40, v2
	s_delay_alu instid0(VALU_DEP_2) | instskip(SKIP_3) | instid1(VALU_DEP_1)
	v_add_co_ci_u32_e32 v3, vcc_lo, s41, v3, vcc_lo
	flat_load_u16 v2, v[2:3]
	s_waitcnt vmcnt(0) lgkmcnt(0)
	v_cvt_f32_f16_e32 v2, v2
	v_mul_f32_e32 v80, v47, v2
.LBB62_14:                              ;   in Loop: Header=BB62_8 Depth=1
	s_and_not1_b32 vcc_lo, exec_lo, s13
	s_cbranch_vccnz .LBB62_16
; %bb.15:                               ;   in Loop: Header=BB62_8 Depth=1
	s_delay_alu instid0(VALU_DEP_1) | instskip(NEXT) | instid1(VALU_DEP_1)
	v_lshlrev_b64 v[0:1], 1, v[0:1]
	v_add_co_u32 v0, vcc_lo, s18, v0
	s_delay_alu instid0(VALU_DEP_2) | instskip(SKIP_3) | instid1(VALU_DEP_1)
	v_add_co_ci_u32_e32 v1, vcc_lo, s19, v1, vcc_lo
	flat_load_u16 v0, v[0:1]
	s_waitcnt vmcnt(0) lgkmcnt(0)
	v_cvt_f32_f16_e32 v0, v0
	v_mul_f32_e32 v84, v47, v0
	s_branch .LBB62_17
.LBB62_16:                              ;   in Loop: Header=BB62_8 Depth=1
	v_mov_b32_e32 v84, 0
.LBB62_17:                              ;   in Loop: Header=BB62_8 Depth=1
	s_mul_hi_i32 s21, s6, s16
	s_mul_i32 s20, s6, s16
	s_waitcnt lgkmcnt(0)
	s_lshl_b64 s[20:21], s[20:21], 2
	s_barrier
	s_add_u32 s20, s7, s20
	s_addc_u32 s21, s17, s21
	v_add_co_u32 v0, vcc_lo, s20, v26
	v_add_co_ci_u32_e32 v1, vcc_lo, s21, v27, vcc_lo
	v_add_co_u32 v2, vcc_lo, s20, v28
	v_add_co_ci_u32_e32 v3, vcc_lo, s21, v29, vcc_lo
	s_delay_alu instid0(VALU_DEP_4) | instskip(NEXT) | instid1(VALU_DEP_4)
	v_add_co_u32 v0, vcc_lo, v0, v68
	v_add_co_ci_u32_e32 v1, vcc_lo, 0, v1, vcc_lo
	s_delay_alu instid0(VALU_DEP_4) | instskip(NEXT) | instid1(VALU_DEP_4)
	v_add_co_u32 v4, vcc_lo, v2, v68
	v_add_co_ci_u32_e32 v5, vcc_lo, 0, v3, vcc_lo
	v_add_co_u32 v2, vcc_lo, s20, v30
	v_add_co_ci_u32_e32 v3, vcc_lo, s21, v31, vcc_lo
	;; [unrolled: 2-line block ×3, first 2 shown]
	s_delay_alu instid0(VALU_DEP_4) | instskip(NEXT) | instid1(VALU_DEP_4)
	v_add_co_u32 v8, vcc_lo, v2, v68
	v_add_co_ci_u32_e32 v9, vcc_lo, 0, v3, vcc_lo
	s_delay_alu instid0(VALU_DEP_4) | instskip(NEXT) | instid1(VALU_DEP_4)
	v_add_co_u32 v12, vcc_lo, v6, v68
	v_add_co_ci_u32_e32 v13, vcc_lo, 0, v7, vcc_lo
	buffer_gl0_inv
	s_clause 0x3
	global_load_b128 v[0:3], v[0:1], off
	global_load_b128 v[4:7], v[4:5], off
	;; [unrolled: 1-line block ×4, first 2 shown]
	v_add_f32_e32 v80, v16, v80
	v_add_f32_e32 v84, v17, v84
	s_or_b32 s20, s6, 32
	s_delay_alu instid0(SALU_CYCLE_1) | instskip(NEXT) | instid1(VALU_DEP_2)
	s_mul_hi_i32 s21, s20, s16
	v_add_f32_e32 v16, 0x40051340, v80
	s_delay_alu instid0(VALU_DEP_2) | instskip(SKIP_1) | instid1(SALU_CYCLE_1)
	v_add_f32_e32 v17, 0x40051340, v84
	s_mul_i32 s20, s20, s16
	s_lshl_b64 s[20:21], s[20:21], 2
	s_delay_alu instid0(VALU_DEP_1)
	v_max3_f32 v16, v73, v16, v17
	s_add_u32 s20, s7, s20
	s_addc_u32 s21, s17, s21
	ds_bpermute_b32 v17, v81, v16
	v_dual_max_f32 v81, v76, v76 :: v_dual_add_nc_u32 v76, 0x800, v41
	s_waitcnt lgkmcnt(0)
	v_max_f32_e32 v17, v17, v17
	s_delay_alu instid0(VALU_DEP_1) | instskip(SKIP_3) | instid1(VALU_DEP_1)
	v_max_f32_e32 v16, v16, v17
	ds_bpermute_b32 v17, v82, v16
	s_waitcnt lgkmcnt(0)
	v_dual_max_f32 v82, v75, v75 :: v_dual_max_f32 v17, v17, v17
	v_max_f32_e32 v16, v16, v17
	ds_bpermute_b32 v17, v83, v16
	v_add_nc_u32_e32 v83, v63, v37
	s_waitcnt lgkmcnt(0)
	v_max_f32_e32 v17, v17, v17
	s_delay_alu instid0(VALU_DEP_1) | instskip(SKIP_3) | instid1(VALU_DEP_1)
	v_max_f32_e32 v16, v16, v17
	ds_bpermute_b32 v17, v74, v16
	s_waitcnt lgkmcnt(0)
	v_max_f32_e32 v17, v17, v17
	v_max_f32_e32 v17, v16, v17
	;; [unrolled: 1-line block ×3, first 2 shown]
	v_add_co_u32 v81, vcc_lo, s20, v26
	v_add_co_ci_u32_e32 v82, vcc_lo, s21, v27, vcc_lo
	ds_bpermute_b32 v79, v79, v17
	v_sub_f32_e32 v78, v78, v16
	v_add_co_u32 v85, vcc_lo, s20, v28
	v_add_co_ci_u32_e32 v86, vcc_lo, s21, v29, vcc_lo
	s_delay_alu instid0(VALU_DEP_3) | instskip(SKIP_2) | instid1(VALU_DEP_3)
	v_mul_f32_e32 v89, 0x3fb8aa3b, v78
	v_add_co_u32 v87, vcc_lo, s20, v30
	v_add_co_ci_u32_e32 v88, vcc_lo, s21, v31, vcc_lo
	v_rndne_f32_e32 v93, v89
	v_add_co_u32 v91, vcc_lo, s20, v32
	v_add_co_ci_u32_e32 v92, vcc_lo, s21, v33, vcc_lo
	v_add_co_u32 v165, vcc_lo, v81, v68
	v_add_co_ci_u32_e32 v166, vcc_lo, 0, v82, vcc_lo
	s_waitcnt lgkmcnt(0)
	v_max_f32_e32 v79, v79, v79
	v_cmp_ngt_f32_e32 vcc_lo, 0xc2ce8ed0, v78
	s_delay_alu instid0(VALU_DEP_2) | instskip(SKIP_1) | instid1(VALU_DEP_1)
	v_max_f32_e32 v17, v17, v79
	v_fma_f32 v79, 0x3fb8aa3b, v78, -v89
	v_dual_sub_f32 v84, v84, v17 :: v_dual_fmac_f32 v79, 0x32a5705f, v78
	v_dual_sub_f32 v77, v77, v16 :: v_dual_add_nc_u32 v74, 0x1800, v41
	s_delay_alu instid0(VALU_DEP_2) | instskip(SKIP_2) | instid1(VALU_DEP_3)
	v_dual_sub_f32 v96, v80, v17 :: v_dual_mul_f32 v97, 0x3fb8aa3b, v84
	v_sub_f32_e32 v80, v89, v93
	v_cvt_i32_f32_e32 v93, v93
	v_dual_mul_f32 v90, 0x3fb8aa3b, v77 :: v_dual_mul_f32 v89, 0x3fb8aa3b, v96
	s_delay_alu instid0(VALU_DEP_4) | instskip(NEXT) | instid1(VALU_DEP_4)
	v_rndne_f32_e32 v100, v97
	v_add_f32_e32 v79, v80, v79
	s_delay_alu instid0(VALU_DEP_3) | instskip(SKIP_2) | instid1(VALU_DEP_4)
	v_fma_f32 v94, 0x3fb8aa3b, v77, -v90
	v_rndne_f32_e32 v95, v90
	v_rndne_f32_e32 v98, v89
	v_exp_f32_e32 v79, v79
	v_fma_f32 v80, 0x3fb8aa3b, v96, -v89
	v_fmac_f32_e32 v94, 0x32a5705f, v77
	s_delay_alu instid0(VALU_DEP_3) | instskip(SKIP_3) | instid1(VALU_DEP_4)
	v_dual_sub_f32 v90, v90, v95 :: v_dual_sub_f32 v89, v89, v98
	v_fma_f32 v99, 0x3fb8aa3b, v84, -v97
	v_add_nc_u32_e32 v75, 0x1000, v41
	v_fmac_f32_e32 v80, 0x32a5705f, v96
	v_add_f32_e32 v90, v90, v94
	v_cvt_i32_f32_e32 v95, v95
	v_fmac_f32_e32 v99, 0x32a5705f, v84
	v_ldexp_f32 v79, v79, v93
	v_sub_f32_e32 v94, v97, v100
	v_exp_f32_e32 v90, v90
	s_delay_alu instid0(VALU_DEP_2) | instskip(NEXT) | instid1(VALU_DEP_2)
	v_dual_cndmask_b32 v79, 0, v79 :: v_dual_add_f32 v80, v89, v80
	v_add_f32_e32 v89, v94, v99
	v_cmp_ngt_f32_e32 vcc_lo, 0xc2ce8ed0, v77
	s_delay_alu instid0(VALU_DEP_3) | instskip(NEXT) | instid1(VALU_DEP_2)
	v_exp_f32_e32 v80, v80
	v_exp_f32_e32 v81, v89
	s_delay_alu instid0(TRANS32_DEP_3)
	v_ldexp_f32 v82, v90, v95
	v_cvt_i32_f32_e32 v90, v100
	v_cvt_i32_f32_e32 v89, v98
	s_waitcnt_depctr 0xfff
	v_ldexp_f32 v80, v80, v89
	v_ldexp_f32 v81, v81, v90
	v_cndmask_b32_e32 v82, 0, v82, vcc_lo
	v_cmp_nlt_f32_e32 vcc_lo, 0x42b17218, v78
	v_cndmask_b32_e32 v79, 0x7f800000, v79, vcc_lo
	v_cmp_ngt_f32_e32 vcc_lo, 0xc2ce8ed0, v96
	v_cndmask_b32_e32 v78, 0, v80, vcc_lo
	v_cmp_ngt_f32_e32 vcc_lo, 0xc2ce8ed0, v84
	v_cndmask_b32_e32 v81, 0, v81, vcc_lo
	v_cmp_nlt_f32_e32 vcc_lo, 0x42b17218, v77
	v_cndmask_b32_e32 v80, 0x7f800000, v82, vcc_lo
	v_cmp_nlt_f32_e32 vcc_lo, 0x42b17218, v96
	s_delay_alu instid0(VALU_DEP_2) | instskip(SKIP_2) | instid1(VALU_DEP_2)
	v_cvt_f16_f32_e32 v82, v80
	v_cndmask_b32_e32 v77, 0x7f800000, v78, vcc_lo
	v_cmp_nlt_f32_e32 vcc_lo, 0x42b17218, v84
	v_cvt_f16_f32_e32 v84, v77
	v_cndmask_b32_e32 v78, 0x7f800000, v81, vcc_lo
	v_add_co_u32 v169, vcc_lo, v85, v68
	v_cvt_f16_f32_e32 v81, v79
	v_add_co_ci_u32_e32 v170, vcc_lo, 0, v86, vcc_lo
	s_delay_alu instid0(VALU_DEP_4) | instskip(SKIP_3) | instid1(VALU_DEP_4)
	v_cvt_f16_f32_e32 v85, v78
	v_add_co_u32 v173, vcc_lo, v87, v68
	v_add_co_ci_u32_e32 v174, vcc_lo, 0, v88, vcc_lo
	v_pack_b32_f16 v82, v82, v84
	v_pack_b32_f16 v81, v81, v85
	v_add_co_u32 v177, vcc_lo, v91, v68
	v_add_co_ci_u32_e32 v178, vcc_lo, 0, v92, vcc_lo
	ds_store_2addr_b32 v83, v82, v81 offset1:32
	s_waitcnt vmcnt(3)
	ds_store_b128 v61, v[0:3]
	s_waitcnt vmcnt(2)
	ds_store_b128 v64, v[4:7]
	;; [unrolled: 2-line block ×4, first 2 shown]
	s_waitcnt lgkmcnt(0)
	s_barrier
	buffer_gl0_inv
	ds_load_2addr_b64 v[2:5], v41 offset1:32
	ds_load_b128 v[6:9], v63
	ds_load_b128 v[10:13], v63 offset:16
	ds_load_b128 v[81:84], v63 offset:32
	;; [unrolled: 1-line block ×3, first 2 shown]
	ds_load_2addr_b64 v[89:92], v41 offset0:64 offset1:96
	ds_load_2addr_b64 v[93:96], v41 offset0:128 offset1:160
	;; [unrolled: 1-line block ×3, first 2 shown]
	ds_load_2addr_b64 v[101:104], v76 offset1:32
	ds_load_2addr_b64 v[105:108], v76 offset0:64 offset1:96
	ds_load_2addr_b64 v[109:112], v76 offset0:128 offset1:160
	;; [unrolled: 1-line block ×3, first 2 shown]
	ds_load_2addr_b64 v[117:120], v75 offset1:32
	ds_load_2addr_b64 v[121:124], v75 offset0:64 offset1:96
	ds_load_2addr_b64 v[125:128], v75 offset0:128 offset1:160
	ds_load_b128 v[129:132], v63 offset:64
	ds_load_b128 v[133:136], v63 offset:80
	ds_load_2addr_b64 v[137:140], v75 offset0:192 offset1:224
	ds_load_2addr_b64 v[141:144], v74 offset1:32
	ds_load_2addr_b64 v[145:148], v74 offset0:64 offset1:96
	ds_load_2addr_b64 v[149:152], v74 offset0:128 offset1:160
	ds_load_b128 v[153:156], v63 offset:96
	ds_load_b128 v[157:160], v63 offset:112
	ds_load_2addr_b64 v[161:164], v74 offset0:192 offset1:224
	s_waitcnt lgkmcnt(0)
	s_barrier
	buffer_gl0_inv
	s_clause 0x3
	global_load_b128 v[165:168], v[165:166], off
	global_load_b128 v[169:172], v[169:170], off
	;; [unrolled: 1-line block ×4, first 2 shown]
	v_dual_sub_f32 v1, v72, v16 :: v_dual_sub_f32 v0, v73, v17
	s_waitcnt vmcnt(3)
	ds_store_b128 v61, v[165:168]
	s_waitcnt vmcnt(2)
	ds_store_b128 v64, v[169:172]
	;; [unrolled: 2-line block ×4, first 2 shown]
	v_mul_f32_e32 v15, 0x3fb8aa3b, v1
	v_cmp_ngt_f32_e32 vcc_lo, 0xc2ce8ed0, v0
	s_waitcnt lgkmcnt(0)
	s_barrier
	buffer_gl0_inv
	v_fma_f32 v181, 0x3fb8aa3b, v1, -v15
	v_rndne_f32_e32 v182, v15
	s_delay_alu instid0(VALU_DEP_2) | instskip(NEXT) | instid1(VALU_DEP_2)
	v_fmac_f32_e32 v181, 0x32a5705f, v1
	v_dual_sub_f32 v15, v15, v182 :: v_dual_mul_f32 v14, 0x3fb8aa3b, v0
	s_delay_alu instid0(VALU_DEP_1) | instskip(NEXT) | instid1(VALU_DEP_2)
	v_add_f32_e32 v15, v15, v181
	v_fma_f32 v72, 0x3fb8aa3b, v0, -v14
	v_rndne_f32_e32 v73, v14
	s_delay_alu instid0(VALU_DEP_3) | instskip(NEXT) | instid1(VALU_DEP_2)
	v_exp_f32_e32 v15, v15
	v_fmac_f32_e32 v72, 0x32a5705f, v0
	s_delay_alu instid0(VALU_DEP_2) | instskip(NEXT) | instid1(VALU_DEP_1)
	v_sub_f32_e32 v14, v14, v73
	v_add_f32_e32 v14, v14, v72
	v_cvt_i32_f32_e32 v72, v73
	v_cvt_i32_f32_e32 v73, v182
	s_delay_alu instid0(VALU_DEP_3)
	v_exp_f32_e32 v14, v14
	s_delay_alu instid0(TRANS32_DEP_2) | instid1(VALU_DEP_1)
	v_ldexp_f32 v15, v15, v73
	v_pk_mul_f16 v73, v3, v6 op_sel_hi:[1,0]
	s_waitcnt_depctr 0xfff
	v_ldexp_f32 v14, v14, v72
	v_pk_mul_f16 v72, v2, v6 op_sel_hi:[1,0]
	v_pk_mul_f16 v2, v2, v6 op_sel:[0,1]
	s_delay_alu instid0(VALU_DEP_3) | instskip(SKIP_3) | instid1(VALU_DEP_4)
	v_cndmask_b32_e32 v14, 0, v14, vcc_lo
	v_cmp_ngt_f32_e32 vcc_lo, 0xc2ce8ed0, v1
	v_cndmask_b32_e32 v15, 0, v15, vcc_lo
	v_cmp_nlt_f32_e32 vcc_lo, 0x42b17218, v0
	v_cndmask_b32_e32 v0, 0x7f800000, v14, vcc_lo
	v_cmp_nlt_f32_e32 vcc_lo, 0x42b17218, v1
	s_delay_alu instid0(VALU_DEP_2) | instskip(SKIP_1) | instid1(VALU_DEP_2)
	v_cvt_f16_f32_e32 v14, v0
	v_cndmask_b32_e32 v1, 0x7f800000, v15, vcc_lo
	v_pk_mul_f16 v42, v14, v42 op_sel_hi:[0,1]
	s_delay_alu instid0(VALU_DEP_2) | instskip(SKIP_1) | instid1(VALU_DEP_3)
	v_cvt_f16_f32_e32 v15, v1
	v_pk_fma_f16 v2, v14, v43, v2 op_sel_hi:[0,1,1]
	v_pk_fma_f16 v3, v3, v6, v42 op_sel:[0,1,0]
	s_delay_alu instid0(VALU_DEP_3) | instskip(SKIP_1) | instid1(VALU_DEP_4)
	v_pk_fma_f16 v6, v15, v44, v72 op_sel_hi:[0,1,1]
	v_pk_fma_f16 v14, v15, v45, v73 op_sel_hi:[0,1,1]
	v_pk_fma_f16 v2, v4, v7, v2 op_sel:[0,1,0]
	s_delay_alu instid0(VALU_DEP_4) | instskip(NEXT) | instid1(VALU_DEP_4)
	v_pk_fma_f16 v3, v5, v7, v3 op_sel:[0,1,0]
	v_pk_fma_f16 v6, v4, v7, v6 op_sel_hi:[1,0,1]
	s_delay_alu instid0(VALU_DEP_4) | instskip(NEXT) | instid1(VALU_DEP_4)
	v_pk_fma_f16 v4, v5, v7, v14 op_sel_hi:[1,0,1]
	v_pk_fma_f16 v2, v89, v8, v2 op_sel:[0,1,0]
	s_delay_alu instid0(VALU_DEP_4) | instskip(NEXT) | instid1(VALU_DEP_4)
	v_pk_fma_f16 v3, v90, v8, v3 op_sel:[0,1,0]
	v_pk_fma_f16 v5, v89, v8, v6 op_sel_hi:[1,0,1]
	s_delay_alu instid0(VALU_DEP_4) | instskip(NEXT) | instid1(VALU_DEP_4)
	;; [unrolled: 6-line block ×27, first 2 shown]
	v_pk_fma_f16 v11, v148, v156, v4 op_sel_hi:[1,0,1]
	v_pk_fma_f16 v10, v149, v157, v10 op_sel:[0,1,0]
	s_delay_alu instid0(VALU_DEP_4) | instskip(NEXT) | instid1(VALU_DEP_4)
	v_pk_fma_f16 v12, v150, v157, v3 op_sel:[0,1,0]
	v_pk_fma_f16 v13, v149, v157, v5 op_sel_hi:[1,0,1]
	ds_load_2addr_b64 v[2:5], v41 offset1:32
	ds_load_b128 v[6:9], v63 offset:128
	v_pk_fma_f16 v11, v150, v157, v11 op_sel_hi:[1,0,1]
	v_pk_fma_f16 v14, v151, v158, v10 op_sel:[0,1,0]
	v_pk_fma_f16 v12, v152, v158, v12 op_sel:[0,1,0]
	v_pk_fma_f16 v13, v151, v158, v13 op_sel_hi:[1,0,1]
	s_delay_alu instid0(VALU_DEP_4) | instskip(NEXT) | instid1(VALU_DEP_4)
	v_pk_fma_f16 v15, v152, v158, v11 op_sel_hi:[1,0,1]
	v_pk_fma_f16 v14, v161, v159, v14 op_sel:[0,1,0]
	s_delay_alu instid0(VALU_DEP_4) | instskip(NEXT) | instid1(VALU_DEP_4)
	v_pk_fma_f16 v42, v162, v159, v12 op_sel:[0,1,0]
	v_pk_fma_f16 v43, v161, v159, v13 op_sel_hi:[1,0,1]
	ds_load_2addr_b64 v[10:13], v41 offset0:64 offset1:96
	v_pk_fma_f16 v15, v162, v159, v15 op_sel_hi:[1,0,1]
	v_pk_fma_f16 v14, v163, v160, v14 op_sel:[0,1,0]
	v_pk_fma_f16 v72, v164, v160, v42 op_sel:[0,1,0]
	v_pk_fma_f16 v73, v163, v160, v43 op_sel_hi:[1,0,1]
	ds_load_b128 v[42:45], v63 offset:144
	ds_load_2addr_b64 v[81:84], v41 offset0:128 offset1:160
	v_pk_fma_f16 v15, v164, v160, v15 op_sel_hi:[1,0,1]
	ds_load_2addr_b64 v[85:88], v76 offset1:32
	ds_load_2addr_b64 v[89:92], v76 offset0:128 offset1:160
	ds_load_2addr_b64 v[93:96], v74 offset0:64 offset1:96
	s_waitcnt lgkmcnt(6)
	v_pk_fma_f16 v73, v2, v6, v73 op_sel_hi:[1,0,1]
	v_pk_fma_f16 v2, v2, v6, v14 op_sel:[0,1,0]
	v_pk_fma_f16 v14, v3, v6, v15 op_sel_hi:[1,0,1]
	v_pk_fma_f16 v3, v3, v6, v72 op_sel:[0,1,0]
	s_delay_alu instid0(VALU_DEP_4) | instskip(NEXT) | instid1(VALU_DEP_4)
	v_pk_fma_f16 v6, v4, v7, v73 op_sel_hi:[1,0,1]
	v_pk_fma_f16 v15, v4, v7, v2 op_sel:[0,1,0]
	s_delay_alu instid0(VALU_DEP_4) | instskip(NEXT) | instid1(VALU_DEP_4)
	v_pk_fma_f16 v14, v5, v7, v14 op_sel_hi:[1,0,1]
	v_pk_fma_f16 v7, v5, v7, v3 op_sel:[0,1,0]
	ds_load_2addr_b64 v[2:5], v41 offset0:192 offset1:224
	s_waitcnt lgkmcnt(6)
	v_pk_fma_f16 v6, v10, v8, v6 op_sel_hi:[1,0,1]
	v_pk_fma_f16 v10, v10, v8, v15 op_sel:[0,1,0]
	v_pk_fma_f16 v14, v11, v8, v14 op_sel_hi:[1,0,1]
	v_pk_fma_f16 v7, v11, v8, v7 op_sel:[0,1,0]
	s_delay_alu instid0(VALU_DEP_4) | instskip(NEXT) | instid1(VALU_DEP_4)
	v_pk_fma_f16 v6, v12, v9, v6 op_sel_hi:[1,0,1]
	v_pk_fma_f16 v10, v12, v9, v10 op_sel:[0,1,0]
	s_delay_alu instid0(VALU_DEP_4) | instskip(NEXT) | instid1(VALU_DEP_4)
	v_pk_fma_f16 v11, v13, v9, v14 op_sel_hi:[1,0,1]
	v_pk_fma_f16 v12, v13, v9, v7 op_sel:[0,1,0]
	s_waitcnt lgkmcnt(4)
	v_pk_fma_f16 v13, v81, v42, v6 op_sel_hi:[1,0,1]
	ds_load_b128 v[6:9], v63 offset:160
	v_pk_fma_f16 v14, v81, v42, v10 op_sel:[0,1,0]
	v_pk_fma_f16 v15, v82, v42, v11 op_sel_hi:[1,0,1]
	v_pk_fma_f16 v42, v82, v42, v12 op_sel:[0,1,0]
	v_pk_fma_f16 v72, v83, v43, v13 op_sel_hi:[1,0,1]
	ds_load_2addr_b64 v[10:13], v76 offset0:64 offset1:96
	v_pk_fma_f16 v14, v83, v43, v14 op_sel:[0,1,0]
	v_pk_fma_f16 v15, v84, v43, v15 op_sel_hi:[1,0,1]
	v_pk_fma_f16 v42, v84, v43, v42 op_sel:[0,1,0]
	ds_load_b128 v[81:84], v63 offset:176
	s_waitcnt lgkmcnt(3)
	v_pk_fma_f16 v43, v2, v44, v72 op_sel_hi:[1,0,1]
	v_pk_fma_f16 v2, v2, v44, v14 op_sel:[0,1,0]
	v_pk_fma_f16 v14, v3, v44, v15 op_sel_hi:[1,0,1]
	v_pk_fma_f16 v3, v3, v44, v42 op_sel:[0,1,0]
	s_delay_alu instid0(VALU_DEP_4) | instskip(NEXT) | instid1(VALU_DEP_4)
	v_pk_fma_f16 v15, v4, v45, v43 op_sel_hi:[1,0,1]
	v_pk_fma_f16 v2, v4, v45, v2 op_sel:[0,1,0]
	s_delay_alu instid0(VALU_DEP_4) | instskip(NEXT) | instid1(VALU_DEP_4)
	v_pk_fma_f16 v4, v5, v45, v14 op_sel_hi:[1,0,1]
	v_pk_fma_f16 v3, v5, v45, v3 op_sel:[0,1,0]
	ds_load_2addr_b64 v[42:45], v75 offset1:32
	s_waitcnt lgkmcnt(3)
	v_pk_fma_f16 v5, v85, v6, v15 op_sel_hi:[1,0,1]
	v_pk_fma_f16 v2, v85, v6, v2 op_sel:[0,1,0]
	v_pk_fma_f16 v4, v86, v6, v4 op_sel_hi:[1,0,1]
	v_pk_fma_f16 v3, v86, v6, v3 op_sel:[0,1,0]
	s_delay_alu instid0(VALU_DEP_4) | instskip(NEXT) | instid1(VALU_DEP_4)
	v_pk_fma_f16 v5, v87, v7, v5 op_sel_hi:[1,0,1]
	v_pk_fma_f16 v6, v87, v7, v2 op_sel:[0,1,0]
	s_delay_alu instid0(VALU_DEP_4) | instskip(NEXT) | instid1(VALU_DEP_4)
	v_pk_fma_f16 v14, v88, v7, v4 op_sel_hi:[1,0,1]
	v_pk_fma_f16 v7, v88, v7, v3 op_sel:[0,1,0]
	ds_load_2addr_b64 v[85:88], v75 offset0:128 offset1:160
	s_waitcnt lgkmcnt(3)
	v_pk_fma_f16 v15, v10, v8, v5 op_sel_hi:[1,0,1]
	ds_load_2addr_b64 v[2:5], v76 offset0:192 offset1:224
	v_pk_fma_f16 v6, v10, v8, v6 op_sel:[0,1,0]
	v_pk_fma_f16 v10, v11, v8, v14 op_sel_hi:[1,0,1]
	v_pk_fma_f16 v7, v11, v8, v7 op_sel:[0,1,0]
	v_pk_fma_f16 v8, v12, v9, v15 op_sel_hi:[1,0,1]
	s_delay_alu instid0(VALU_DEP_4) | instskip(NEXT) | instid1(VALU_DEP_4)
	v_pk_fma_f16 v11, v12, v9, v6 op_sel:[0,1,0]
	v_pk_fma_f16 v10, v13, v9, v10 op_sel_hi:[1,0,1]
	s_delay_alu instid0(VALU_DEP_4)
	v_pk_fma_f16 v12, v13, v9, v7 op_sel:[0,1,0]
	s_waitcnt lgkmcnt(3)
	v_pk_fma_f16 v13, v89, v81, v8 op_sel_hi:[1,0,1]
	ds_load_b128 v[6:9], v63 offset:192
	v_pk_fma_f16 v14, v89, v81, v11 op_sel:[0,1,0]
	v_pk_fma_f16 v15, v90, v81, v10 op_sel_hi:[1,0,1]
	v_pk_fma_f16 v72, v90, v81, v12 op_sel:[0,1,0]
	v_pk_fma_f16 v73, v91, v82, v13 op_sel_hi:[1,0,1]
	ds_load_2addr_b64 v[10:13], v75 offset0:64 offset1:96
	v_pk_fma_f16 v14, v91, v82, v14 op_sel:[0,1,0]
	v_pk_fma_f16 v15, v92, v82, v15 op_sel_hi:[1,0,1]
	v_pk_fma_f16 v72, v92, v82, v72 op_sel:[0,1,0]
	ds_load_b128 v[89:92], v63 offset:208
	s_waitcnt lgkmcnt(3)
	v_pk_fma_f16 v73, v2, v83, v73 op_sel_hi:[1,0,1]
	v_pk_fma_f16 v2, v2, v83, v14 op_sel:[0,1,0]
	v_pk_fma_f16 v14, v3, v83, v15 op_sel_hi:[1,0,1]
	v_pk_fma_f16 v3, v3, v83, v72 op_sel:[0,1,0]
	s_delay_alu instid0(VALU_DEP_4) | instskip(NEXT) | instid1(VALU_DEP_4)
	v_pk_fma_f16 v15, v4, v84, v73 op_sel_hi:[1,0,1]
	v_pk_fma_f16 v2, v4, v84, v2 op_sel:[0,1,0]
	s_delay_alu instid0(VALU_DEP_4) | instskip(NEXT) | instid1(VALU_DEP_4)
	v_pk_fma_f16 v4, v5, v84, v14 op_sel_hi:[1,0,1]
	v_pk_fma_f16 v3, v5, v84, v3 op_sel:[0,1,0]
	v_add_f32_e32 v5, v80, v79
	s_waitcnt lgkmcnt(2)
	v_pk_fma_f16 v14, v42, v6, v15 op_sel_hi:[1,0,1]
	v_pk_fma_f16 v2, v42, v6, v2 op_sel:[0,1,0]
	v_pk_fma_f16 v4, v43, v6, v4 op_sel_hi:[1,0,1]
	v_pk_fma_f16 v3, v43, v6, v3 op_sel:[0,1,0]
	ds_load_2addr_b64 v[79:82], v75 offset0:192 offset1:224
	v_pk_fma_f16 v6, v44, v7, v14 op_sel_hi:[1,0,1]
	v_pk_fma_f16 v2, v44, v7, v2 op_sel:[0,1,0]
	v_pk_fma_f16 v4, v45, v7, v4 op_sel_hi:[1,0,1]
	v_pk_fma_f16 v3, v45, v7, v3 op_sel:[0,1,0]
	ds_load_2addr_b64 v[42:45], v74 offset1:32
	s_waitcnt lgkmcnt(3)
	v_pk_fma_f16 v6, v10, v8, v6 op_sel_hi:[1,0,1]
	v_pk_fma_f16 v2, v10, v8, v2 op_sel:[0,1,0]
	v_pk_fma_f16 v4, v11, v8, v4 op_sel_hi:[1,0,1]
	v_pk_fma_f16 v3, v11, v8, v3 op_sel:[0,1,0]
	v_fmac_f32_e32 v5, v71, v1
	v_pk_fma_f16 v6, v12, v9, v6 op_sel_hi:[1,0,1]
	v_pk_fma_f16 v2, v12, v9, v2 op_sel:[0,1,0]
	v_pk_fma_f16 v4, v13, v9, v4 op_sel_hi:[1,0,1]
	v_pk_fma_f16 v3, v13, v9, v3 op_sel:[0,1,0]
	ds_load_2addr_b64 v[10:13], v74 offset0:128 offset1:160
	s_waitcnt lgkmcnt(3)
	v_pk_fma_f16 v14, v85, v89, v6 op_sel_hi:[1,0,1]
	ds_load_b128 v[6:9], v63 offset:224
	v_pk_fma_f16 v2, v85, v89, v2 op_sel:[0,1,0]
	v_pk_fma_f16 v4, v86, v89, v4 op_sel_hi:[1,0,1]
	v_pk_fma_f16 v3, v86, v89, v3 op_sel:[0,1,0]
	ds_load_b128 v[83:86], v63 offset:240
	v_pk_fma_f16 v14, v87, v90, v14 op_sel_hi:[1,0,1]
	v_pk_fma_f16 v2, v87, v90, v2 op_sel:[0,1,0]
	v_pk_fma_f16 v4, v88, v90, v4 op_sel_hi:[1,0,1]
	v_pk_fma_f16 v3, v88, v90, v3 op_sel:[0,1,0]
	ds_load_2addr_b64 v[72:75], v74 offset0:192 offset1:224
	s_waitcnt lgkmcnt(5)
	v_pk_fma_f16 v14, v79, v91, v14 op_sel_hi:[1,0,1]
	v_pk_fma_f16 v2, v79, v91, v2 op_sel:[0,1,0]
	v_pk_fma_f16 v4, v80, v91, v4 op_sel_hi:[1,0,1]
	v_pk_fma_f16 v3, v80, v91, v3 op_sel:[0,1,0]
	s_waitcnt lgkmcnt(0)
	v_pk_fma_f16 v14, v81, v92, v14 op_sel_hi:[1,0,1]
	v_pk_fma_f16 v2, v81, v92, v2 op_sel:[0,1,0]
	v_pk_fma_f16 v4, v82, v92, v4 op_sel_hi:[1,0,1]
	v_pk_fma_f16 v3, v82, v92, v3 op_sel:[0,1,0]
	s_barrier
	v_pk_fma_f16 v14, v42, v6, v14 op_sel_hi:[1,0,1]
	v_pk_fma_f16 v2, v42, v6, v2 op_sel:[0,1,0]
	v_pk_fma_f16 v4, v43, v6, v4 op_sel_hi:[1,0,1]
	v_pk_fma_f16 v3, v43, v6, v3 op_sel:[0,1,0]
	buffer_gl0_inv
	v_pk_fma_f16 v6, v44, v7, v14 op_sel_hi:[1,0,1]
	v_pk_fma_f16 v2, v44, v7, v2 op_sel:[0,1,0]
	v_pk_fma_f16 v4, v45, v7, v4 op_sel_hi:[1,0,1]
	v_pk_fma_f16 v3, v45, v7, v3 op_sel:[0,1,0]
	s_load_b32 s20, s[2:3], 0x4
	v_pk_fma_f16 v6, v93, v8, v6 op_sel_hi:[1,0,1]
	v_pk_fma_f16 v2, v93, v8, v2 op_sel:[0,1,0]
	v_pk_fma_f16 v4, v94, v8, v4 op_sel_hi:[1,0,1]
	v_pk_fma_f16 v3, v94, v8, v3 op_sel:[0,1,0]
	s_delay_alu instid0(VALU_DEP_4) | instskip(NEXT) | instid1(VALU_DEP_4)
	v_pk_fma_f16 v6, v95, v9, v6 op_sel_hi:[1,0,1]
	v_pk_fma_f16 v2, v95, v9, v2 op_sel:[0,1,0]
	s_delay_alu instid0(VALU_DEP_4) | instskip(NEXT) | instid1(VALU_DEP_4)
	;; [unrolled: 3-line block ×4, first 2 shown]
	v_pk_fma_f16 v4, v11, v83, v4 op_sel_hi:[1,0,1]
	v_pk_fma_f16 v3, v11, v83, v3 op_sel:[0,1,0]
	v_add_f32_e32 v6, v77, v78
	v_pk_fma_f16 v1, v12, v84, v1 op_sel_hi:[1,0,1]
	v_pk_fma_f16 v2, v12, v84, v2 op_sel:[0,1,0]
	v_pk_fma_f16 v4, v13, v84, v4 op_sel_hi:[1,0,1]
	v_pk_fma_f16 v3, v13, v84, v3 op_sel:[0,1,0]
	v_fmac_f32_e32 v6, v70, v0
	v_pk_fma_f16 v0, v72, v85, v1 op_sel_hi:[1,0,1]
	v_pk_fma_f16 v1, v72, v85, v2 op_sel:[0,1,0]
	v_pk_fma_f16 v2, v73, v85, v4 op_sel_hi:[1,0,1]
	v_pk_fma_f16 v3, v73, v85, v3 op_sel:[0,1,0]
	s_waitcnt lgkmcnt(0)
	s_lshl_b32 s20, s20, 6
	v_pk_fma_f16 v44, v74, v86, v0 op_sel_hi:[1,0,1]
	v_pk_fma_f16 v43, v74, v86, v1 op_sel:[0,1,0]
	v_pk_fma_f16 v45, v75, v86, v2 op_sel_hi:[1,0,1]
	v_pk_fma_f16 v42, v75, v86, v3 op_sel:[0,1,0]
	s_add_i32 s6, s20, s6
	s_delay_alu instid0(SALU_CYCLE_1)
	s_cmp_lt_i32 s6, s12
	s_cbranch_scc0 .LBB62_20
; %bb.18:                               ;   in Loop: Header=BB62_8 Depth=1
	v_dual_mov_b32 v72, v16 :: v_dual_mov_b32 v73, v17
	v_dual_mov_b32 v71, v5 :: v_dual_mov_b32 v70, v6
	s_branch .LBB62_8
.LBB62_19:
	s_mov_b32 s45, s44
	s_delay_alu instid0(SALU_CYCLE_1)
	v_dual_mov_b32 v16, s44 :: v_dual_mov_b32 v17, s45
	v_dual_mov_b32 v5, 0 :: v_dual_mov_b32 v42, 0
	v_mov_b32_e32 v45, 0
	v_mov_b32_e32 v43, 0
.LBB62_20:
	s_cmp_gt_i32 s42, s6
	s_cbranch_scc1 .LBB62_22
; %bb.21:
	v_mbcnt_lo_u32_b32 v0, -1, 0
	v_mov_b32_e32 v15, 32
	s_delay_alu instid0(VALU_DEP_2)
	v_xor_b32_e32 v11, 16, v0
	v_xor_b32_e32 v10, 8, v0
	;; [unrolled: 1-line block ×5, first 2 shown]
	s_cbranch_execz .LBB62_23
	s_branch .LBB62_43
.LBB62_22:
                                        ; implicit-def: $vgpr0
                                        ; implicit-def: $vgpr15
                                        ; implicit-def: $vgpr11
                                        ; implicit-def: $vgpr10
                                        ; implicit-def: $vgpr12
                                        ; implicit-def: $vgpr13
                                        ; implicit-def: $vgpr14
.LBB62_23:
	v_lshl_add_u32 v9, v46, 2, v53
	s_mul_hi_i32 s3, s6, s23
	s_mul_i32 s2, s6, s23
	s_sub_i32 s18, s42, s6
	s_lshl_b64 s[2:3], s[2:3], 2
	v_mul_lo_u32 v3, s23, v9
	s_mov_b32 s36, 0
	s_add_u32 s4, s4, s2
	s_addc_u32 s5, s5, s3
	s_mov_b32 s37, s36
	s_mov_b32 s38, s36
	v_lshlrev_b32_e32 v26, 2, v54
	v_cmp_gt_i32_e64 s2, s18, v9
	v_ashrrev_i32_e32 v4, 31, v3
	s_mov_b64 s[12:13], src_private_base
	s_lshl_b32 s12, s23, 4
	v_mov_b32_e32 v10, 0
	s_cmp_lg_u64 s[40:41], 0
	v_lshlrev_b64 v[0:1], 2, v[3:4]
	v_add_nc_u32_e32 v3, s12, v3
	s_delay_alu instid0(VALU_DEP_1) | instskip(NEXT) | instid1(VALU_DEP_3)
	v_ashrrev_i32_e32 v4, 31, v3
	v_add_co_u32 v0, vcc_lo, s4, v0
	s_delay_alu instid0(VALU_DEP_4) | instskip(NEXT) | instid1(VALU_DEP_2)
	v_add_co_ci_u32_e32 v1, vcc_lo, s5, v1, vcc_lo
	v_add_co_u32 v14, vcc_lo, v0, v26
	s_delay_alu instid0(VALU_DEP_2) | instskip(SKIP_2) | instid1(VALU_DEP_3)
	v_add_co_ci_u32_e32 v15, vcc_lo, 0, v1, vcc_lo
	v_dual_mov_b32 v0, s36 :: v_dual_mov_b32 v1, s37
	v_mov_b32_e32 v2, s38
	v_cndmask_b32_e64 v8, s13, v15, s2
	v_cndmask_b32_e64 v7, 0, v14, s2
	s_clause 0x1
	scratch_store_b32 off, v10, off
	scratch_store_b96 off, v[0:2], off offset:4
	v_mad_u32_u24 v11, 0x90, v9, v26
	flat_load_b128 v[18:21], v[7:8]
	v_lshlrev_b64 v[7:8], 2, v[3:4]
	v_add_nc_u32_e32 v3, s12, v3
	s_delay_alu instid0(VALU_DEP_2) | instskip(NEXT) | instid1(VALU_DEP_3)
	v_add_co_u32 v4, vcc_lo, s4, v7
	v_add_co_ci_u32_e32 v7, vcc_lo, s5, v8, vcc_lo
	v_add_nc_u32_e32 v8, 16, v9
	s_delay_alu instid0(VALU_DEP_3) | instskip(NEXT) | instid1(VALU_DEP_3)
	v_add_co_u32 v12, vcc_lo, v4, v26
	v_add_co_ci_u32_e32 v13, vcc_lo, 0, v7, vcc_lo
	s_delay_alu instid0(VALU_DEP_3) | instskip(SKIP_1) | instid1(VALU_DEP_3)
	v_cmp_gt_i32_e32 vcc_lo, s18, v8
	v_ashrrev_i32_e32 v4, 31, v3
	v_cndmask_b32_e32 v8, s13, v13, vcc_lo
	v_cndmask_b32_e32 v7, 0, v12, vcc_lo
	s_clause 0x1
	scratch_store_b32 off, v10, off
	scratch_store_b96 off, v[0:2], off offset:4
	s_waitcnt vmcnt(0) lgkmcnt(0)
	ds_store_b128 v11, v[18:21]
	flat_load_b128 v[20:23], v[7:8]
	v_lshlrev_b64 v[7:8], 2, v[3:4]
	s_clause 0x1
	scratch_store_b32 off, v10, off
	scratch_store_b96 off, v[0:2], off offset:4
	v_add_nc_u32_e32 v3, s12, v3
	v_add_co_u32 v4, s3, s4, v7
	s_delay_alu instid0(VALU_DEP_1) | instskip(SKIP_1) | instid1(VALU_DEP_3)
	v_add_co_ci_u32_e64 v7, s3, s5, v8, s3
	v_add_nc_u32_e32 v8, 32, v9
	v_add_co_u32 v18, s3, v4, v26
	s_delay_alu instid0(VALU_DEP_1) | instskip(NEXT) | instid1(VALU_DEP_3)
	v_add_co_ci_u32_e64 v19, s3, 0, v7, s3
	v_cmp_gt_i32_e64 s3, s18, v8
	v_ashrrev_i32_e32 v4, 31, v3
	s_delay_alu instid0(VALU_DEP_2) | instskip(SKIP_1) | instid1(VALU_DEP_3)
	v_cndmask_b32_e64 v8, s13, v19, s3
	v_cndmask_b32_e64 v7, 0, v18, s3
	v_lshlrev_b64 v[3:4], 2, v[3:4]
	s_delay_alu instid0(VALU_DEP_1) | instskip(NEXT) | instid1(VALU_DEP_1)
	v_add_co_u32 v3, s4, s4, v3
	v_add_co_ci_u32_e64 v4, s4, s5, v4, s4
	v_add_co_u32 v14, s5, 0x80, v14
	s_delay_alu instid0(VALU_DEP_1) | instskip(NEXT) | instid1(VALU_DEP_2)
	v_add_co_ci_u32_e64 v15, s5, 0, v15, s5
	v_cndmask_b32_e64 v14, 0, v14, s2
	s_delay_alu instid0(VALU_DEP_2) | instskip(SKIP_1) | instid1(VALU_DEP_1)
	v_cndmask_b32_e64 v15, s13, v15, s2
	v_add_co_u32 v12, s2, 0x80, v12
	v_add_co_ci_u32_e64 v13, s2, 0, v13, s2
	v_cmp_gt_i32_e64 s2, s18, v38
	s_delay_alu instid0(VALU_DEP_3) | instskip(NEXT) | instid1(VALU_DEP_3)
	v_cndmask_b32_e32 v12, 0, v12, vcc_lo
	v_cndmask_b32_e32 v13, s13, v13, vcc_lo
	v_add_co_u32 v18, vcc_lo, 0x80, v18
	v_add_co_ci_u32_e32 v19, vcc_lo, 0, v19, vcc_lo
	s_delay_alu instid0(VALU_DEP_2) | instskip(NEXT) | instid1(VALU_DEP_2)
	v_cndmask_b32_e64 v18, 0, v18, s3
	v_cndmask_b32_e64 v19, s13, v19, s3
	s_waitcnt vmcnt(0) lgkmcnt(0)
	ds_store_b128 v11, v[20:23] offset:2304
	flat_load_b128 v[22:25], v[7:8]
	v_dual_mov_b32 v8, 0 :: v_dual_add_nc_u32 v7, 48, v9
	v_add_co_u32 v20, s4, v3, v26
	s_delay_alu instid0(VALU_DEP_1) | instskip(NEXT) | instid1(VALU_DEP_3)
	v_add_co_ci_u32_e64 v21, s4, 0, v4, s4
	v_cmp_gt_i32_e64 s4, s18, v7
	s_clause 0x1
	scratch_store_b32 off, v10, off
	scratch_store_b96 off, v[0:2], off offset:4
	v_mov_b32_e32 v7, 0
	v_mov_b32_e32 v9, 0
	v_cndmask_b32_e64 v4, s13, v21, s4
	v_cndmask_b32_e64 v3, 0, v20, s4
	s_waitcnt vmcnt(0) lgkmcnt(0)
	ds_store_b128 v11, v[22:25] offset:4608
	flat_load_b128 v[22:25], v[3:4]
	v_dual_mov_b32 v4, 0 :: v_dual_lshlrev_b32 v3, 9, v46
	s_waitcnt vmcnt(0) lgkmcnt(0)
	ds_store_b128 v11, v[22:25] offset:6912
	s_waitcnt lgkmcnt(0)
	s_waitcnt_vscnt null, 0x0
	s_barrier
	buffer_gl0_inv
	ds_load_b128 v[22:25], v52
	ds_load_b128 v[26:29], v3 offset:9216
	ds_load_b128 v[30:33], v3 offset:9472
	ds_load_b128 v[53:56], v52 offset:4608
	s_waitcnt lgkmcnt(2)
	;;#ASMSTART
	v_dot2_f32_f16 v4, v22, v26, v4
	;;#ASMEND
	;;#ASMSTART
	v_dot2_f32_f16 v4, v23, v27, v4
	;;#ASMEND
	;;#ASMSTART
	v_dot2_f32_f16 v4, v24, v28, v4
	;;#ASMEND
	;;#ASMSTART
	v_dot2_f32_f16 v4, v25, v29, v4
	;;#ASMEND
	s_waitcnt lgkmcnt(1)
	;;#ASMSTART
	v_dot2_f32_f16 v7, v22, v30, v7
	;;#ASMEND
	;;#ASMSTART
	v_dot2_f32_f16 v7, v23, v31, v7
	;;#ASMEND
	;;#ASMSTART
	v_dot2_f32_f16 v7, v24, v32, v7
	;;#ASMEND
	;;#ASMSTART
	v_dot2_f32_f16 v7, v25, v33, v7
	;;#ASMEND
	s_waitcnt lgkmcnt(0)
	;;#ASMSTART
	v_dot2_f32_f16 v9, v53, v26, v9
	;;#ASMEND
	;;#ASMSTART
	v_dot2_f32_f16 v9, v54, v27, v9
	;;#ASMEND
	;;#ASMSTART
	v_dot2_f32_f16 v9, v55, v28, v9
	;;#ASMEND
	;;#ASMSTART
	v_dot2_f32_f16 v9, v56, v29, v9
	;;#ASMEND
	;;#ASMSTART
	v_dot2_f32_f16 v8, v53, v30, v8
	;;#ASMEND
	;;#ASMSTART
	v_dot2_f32_f16 v8, v54, v31, v8
	;;#ASMEND
	;;#ASMSTART
	v_dot2_f32_f16 v8, v55, v32, v8
	;;#ASMEND
	;;#ASMSTART
	v_dot2_f32_f16 v8, v56, v33, v8
	;;#ASMEND
	ds_load_b128 v[22:25], v52 offset:16
	ds_load_b128 v[26:29], v3 offset:9232
	ds_load_b128 v[30:33], v3 offset:9488
	ds_load_b128 v[53:56], v52 offset:4624
	s_waitcnt lgkmcnt(2)
	;;#ASMSTART
	v_dot2_f32_f16 v4, v22, v26, v4
	;;#ASMEND
	;;#ASMSTART
	v_dot2_f32_f16 v4, v23, v27, v4
	;;#ASMEND
	;;#ASMSTART
	v_dot2_f32_f16 v4, v24, v28, v4
	;;#ASMEND
	;;#ASMSTART
	v_dot2_f32_f16 v4, v25, v29, v4
	;;#ASMEND
	s_waitcnt lgkmcnt(1)
	;;#ASMSTART
	v_dot2_f32_f16 v7, v22, v30, v7
	;;#ASMEND
	;;#ASMSTART
	v_dot2_f32_f16 v7, v23, v31, v7
	;;#ASMEND
	;;#ASMSTART
	v_dot2_f32_f16 v7, v24, v32, v7
	;;#ASMEND
	;;#ASMSTART
	v_dot2_f32_f16 v7, v25, v33, v7
	;;#ASMEND
	s_waitcnt lgkmcnt(0)
	;;#ASMSTART
	v_dot2_f32_f16 v9, v53, v26, v9
	;;#ASMEND
	;;#ASMSTART
	v_dot2_f32_f16 v9, v54, v27, v9
	;;#ASMEND
	;;#ASMSTART
	v_dot2_f32_f16 v9, v55, v28, v9
	;;#ASMEND
	;;#ASMSTART
	v_dot2_f32_f16 v9, v56, v29, v9
	;;#ASMEND
	;;#ASMSTART
	v_dot2_f32_f16 v8, v53, v30, v8
	;;#ASMEND
	;;#ASMSTART
	v_dot2_f32_f16 v8, v54, v31, v8
	;;#ASMEND
	;;#ASMSTART
	v_dot2_f32_f16 v8, v55, v32, v8
	;;#ASMEND
	;;#ASMSTART
	v_dot2_f32_f16 v8, v56, v33, v8
	;;#ASMEND
	ds_load_b128 v[22:25], v52 offset:32
	ds_load_b128 v[26:29], v3 offset:9248
	ds_load_b128 v[30:33], v3 offset:9504
	ds_load_b128 v[53:56], v52 offset:4640
	s_waitcnt lgkmcnt(2)
	;;#ASMSTART
	v_dot2_f32_f16 v4, v22, v26, v4
	;;#ASMEND
	;;#ASMSTART
	v_dot2_f32_f16 v4, v23, v27, v4
	;;#ASMEND
	;;#ASMSTART
	v_dot2_f32_f16 v4, v24, v28, v4
	;;#ASMEND
	;;#ASMSTART
	v_dot2_f32_f16 v4, v25, v29, v4
	;;#ASMEND
	s_waitcnt lgkmcnt(1)
	;;#ASMSTART
	v_dot2_f32_f16 v7, v22, v30, v7
	;;#ASMEND
	;;#ASMSTART
	v_dot2_f32_f16 v7, v23, v31, v7
	;;#ASMEND
	;;#ASMSTART
	v_dot2_f32_f16 v7, v24, v32, v7
	;;#ASMEND
	;;#ASMSTART
	v_dot2_f32_f16 v7, v25, v33, v7
	;;#ASMEND
	s_waitcnt lgkmcnt(0)
	;;#ASMSTART
	v_dot2_f32_f16 v9, v53, v26, v9
	;;#ASMEND
	;;#ASMSTART
	v_dot2_f32_f16 v9, v54, v27, v9
	;;#ASMEND
	;;#ASMSTART
	v_dot2_f32_f16 v9, v55, v28, v9
	;;#ASMEND
	;;#ASMSTART
	v_dot2_f32_f16 v9, v56, v29, v9
	;;#ASMEND
	;;#ASMSTART
	v_dot2_f32_f16 v8, v53, v30, v8
	;;#ASMEND
	;;#ASMSTART
	v_dot2_f32_f16 v8, v54, v31, v8
	;;#ASMEND
	;;#ASMSTART
	v_dot2_f32_f16 v8, v55, v32, v8
	;;#ASMEND
	;;#ASMSTART
	v_dot2_f32_f16 v8, v56, v33, v8
	;;#ASMEND
	ds_load_b128 v[22:25], v52 offset:48
	ds_load_b128 v[26:29], v3 offset:9264
	ds_load_b128 v[30:33], v3 offset:9520
	ds_load_b128 v[53:56], v52 offset:4656
	s_waitcnt lgkmcnt(2)
	;;#ASMSTART
	v_dot2_f32_f16 v4, v22, v26, v4
	;;#ASMEND
	;;#ASMSTART
	v_dot2_f32_f16 v4, v23, v27, v4
	;;#ASMEND
	;;#ASMSTART
	v_dot2_f32_f16 v4, v24, v28, v4
	;;#ASMEND
	;;#ASMSTART
	v_dot2_f32_f16 v4, v25, v29, v4
	;;#ASMEND
	s_waitcnt lgkmcnt(1)
	;;#ASMSTART
	v_dot2_f32_f16 v7, v22, v30, v7
	;;#ASMEND
	;;#ASMSTART
	v_dot2_f32_f16 v7, v23, v31, v7
	;;#ASMEND
	;;#ASMSTART
	v_dot2_f32_f16 v7, v24, v32, v7
	;;#ASMEND
	;;#ASMSTART
	v_dot2_f32_f16 v7, v25, v33, v7
	;;#ASMEND
	s_waitcnt lgkmcnt(0)
	;;#ASMSTART
	v_dot2_f32_f16 v9, v53, v26, v9
	;;#ASMEND
	;;#ASMSTART
	v_dot2_f32_f16 v9, v54, v27, v9
	;;#ASMEND
	;;#ASMSTART
	v_dot2_f32_f16 v9, v55, v28, v9
	;;#ASMEND
	;;#ASMSTART
	v_dot2_f32_f16 v9, v56, v29, v9
	;;#ASMEND
	;;#ASMSTART
	v_dot2_f32_f16 v8, v53, v30, v8
	;;#ASMEND
	;;#ASMSTART
	v_dot2_f32_f16 v8, v54, v31, v8
	;;#ASMEND
	;;#ASMSTART
	v_dot2_f32_f16 v8, v55, v32, v8
	;;#ASMEND
	;;#ASMSTART
	v_dot2_f32_f16 v8, v56, v33, v8
	;;#ASMEND
	ds_load_b128 v[22:25], v52 offset:64
	ds_load_b128 v[26:29], v3 offset:9280
	ds_load_b128 v[30:33], v3 offset:9536
	ds_load_b128 v[53:56], v52 offset:4672
	s_waitcnt lgkmcnt(2)
	;;#ASMSTART
	v_dot2_f32_f16 v4, v22, v26, v4
	;;#ASMEND
	;;#ASMSTART
	v_dot2_f32_f16 v4, v23, v27, v4
	;;#ASMEND
	;;#ASMSTART
	v_dot2_f32_f16 v4, v24, v28, v4
	;;#ASMEND
	;;#ASMSTART
	v_dot2_f32_f16 v4, v25, v29, v4
	;;#ASMEND
	s_waitcnt lgkmcnt(1)
	;;#ASMSTART
	v_dot2_f32_f16 v7, v22, v30, v7
	;;#ASMEND
	;;#ASMSTART
	v_dot2_f32_f16 v7, v23, v31, v7
	;;#ASMEND
	;;#ASMSTART
	v_dot2_f32_f16 v7, v24, v32, v7
	;;#ASMEND
	;;#ASMSTART
	v_dot2_f32_f16 v7, v25, v33, v7
	;;#ASMEND
	s_waitcnt lgkmcnt(0)
	;;#ASMSTART
	v_dot2_f32_f16 v9, v53, v26, v9
	;;#ASMEND
	;;#ASMSTART
	v_dot2_f32_f16 v9, v54, v27, v9
	;;#ASMEND
	;;#ASMSTART
	v_dot2_f32_f16 v9, v55, v28, v9
	;;#ASMEND
	;;#ASMSTART
	v_dot2_f32_f16 v9, v56, v29, v9
	;;#ASMEND
	;;#ASMSTART
	v_dot2_f32_f16 v8, v53, v30, v8
	;;#ASMEND
	;;#ASMSTART
	v_dot2_f32_f16 v8, v54, v31, v8
	;;#ASMEND
	;;#ASMSTART
	v_dot2_f32_f16 v8, v55, v32, v8
	;;#ASMEND
	;;#ASMSTART
	v_dot2_f32_f16 v8, v56, v33, v8
	;;#ASMEND
	ds_load_b128 v[22:25], v52 offset:80
	ds_load_b128 v[26:29], v3 offset:9296
	ds_load_b128 v[30:33], v3 offset:9552
	ds_load_b128 v[53:56], v52 offset:4688
	s_waitcnt lgkmcnt(2)
	;;#ASMSTART
	v_dot2_f32_f16 v4, v22, v26, v4
	;;#ASMEND
	;;#ASMSTART
	v_dot2_f32_f16 v4, v23, v27, v4
	;;#ASMEND
	;;#ASMSTART
	v_dot2_f32_f16 v4, v24, v28, v4
	;;#ASMEND
	;;#ASMSTART
	v_dot2_f32_f16 v4, v25, v29, v4
	;;#ASMEND
	s_waitcnt lgkmcnt(1)
	;;#ASMSTART
	v_dot2_f32_f16 v7, v22, v30, v7
	;;#ASMEND
	;;#ASMSTART
	v_dot2_f32_f16 v7, v23, v31, v7
	;;#ASMEND
	;;#ASMSTART
	v_dot2_f32_f16 v7, v24, v32, v7
	;;#ASMEND
	;;#ASMSTART
	v_dot2_f32_f16 v7, v25, v33, v7
	;;#ASMEND
	s_waitcnt lgkmcnt(0)
	;;#ASMSTART
	v_dot2_f32_f16 v9, v53, v26, v9
	;;#ASMEND
	;;#ASMSTART
	v_dot2_f32_f16 v9, v54, v27, v9
	;;#ASMEND
	;;#ASMSTART
	v_dot2_f32_f16 v9, v55, v28, v9
	;;#ASMEND
	;;#ASMSTART
	v_dot2_f32_f16 v9, v56, v29, v9
	;;#ASMEND
	;;#ASMSTART
	v_dot2_f32_f16 v8, v53, v30, v8
	;;#ASMEND
	;;#ASMSTART
	v_dot2_f32_f16 v8, v54, v31, v8
	;;#ASMEND
	;;#ASMSTART
	v_dot2_f32_f16 v8, v55, v32, v8
	;;#ASMEND
	;;#ASMSTART
	v_dot2_f32_f16 v8, v56, v33, v8
	;;#ASMEND
	ds_load_b128 v[22:25], v52 offset:96
	ds_load_b128 v[26:29], v3 offset:9312
	ds_load_b128 v[30:33], v3 offset:9568
	ds_load_b128 v[53:56], v52 offset:4704
	s_waitcnt lgkmcnt(2)
	;;#ASMSTART
	v_dot2_f32_f16 v4, v22, v26, v4
	;;#ASMEND
	;;#ASMSTART
	v_dot2_f32_f16 v4, v23, v27, v4
	;;#ASMEND
	;;#ASMSTART
	v_dot2_f32_f16 v4, v24, v28, v4
	;;#ASMEND
	;;#ASMSTART
	v_dot2_f32_f16 v4, v25, v29, v4
	;;#ASMEND
	s_waitcnt lgkmcnt(1)
	;;#ASMSTART
	v_dot2_f32_f16 v7, v22, v30, v7
	;;#ASMEND
	;;#ASMSTART
	v_dot2_f32_f16 v7, v23, v31, v7
	;;#ASMEND
	;;#ASMSTART
	v_dot2_f32_f16 v7, v24, v32, v7
	;;#ASMEND
	;;#ASMSTART
	v_dot2_f32_f16 v7, v25, v33, v7
	;;#ASMEND
	s_waitcnt lgkmcnt(0)
	;;#ASMSTART
	v_dot2_f32_f16 v9, v53, v26, v9
	;;#ASMEND
	;;#ASMSTART
	v_dot2_f32_f16 v9, v54, v27, v9
	;;#ASMEND
	;;#ASMSTART
	v_dot2_f32_f16 v9, v55, v28, v9
	;;#ASMEND
	;;#ASMSTART
	v_dot2_f32_f16 v9, v56, v29, v9
	;;#ASMEND
	;;#ASMSTART
	v_dot2_f32_f16 v8, v53, v30, v8
	;;#ASMEND
	;;#ASMSTART
	v_dot2_f32_f16 v8, v54, v31, v8
	;;#ASMEND
	;;#ASMSTART
	v_dot2_f32_f16 v8, v55, v32, v8
	;;#ASMEND
	;;#ASMSTART
	v_dot2_f32_f16 v8, v56, v33, v8
	;;#ASMEND
	ds_load_b128 v[22:25], v52 offset:112
	ds_load_b128 v[26:29], v3 offset:9328
	ds_load_b128 v[30:33], v3 offset:9584
	;; [unrolled: 1-line block ×3, first 2 shown]
	s_waitcnt lgkmcnt(2)
	;;#ASMSTART
	v_dot2_f32_f16 v4, v22, v26, v4
	;;#ASMEND
	;;#ASMSTART
	v_dot2_f32_f16 v4, v23, v27, v4
	;;#ASMEND
	;;#ASMSTART
	v_dot2_f32_f16 v4, v24, v28, v4
	;;#ASMEND
	;;#ASMSTART
	v_dot2_f32_f16 v4, v25, v29, v4
	;;#ASMEND
	s_waitcnt lgkmcnt(1)
	;;#ASMSTART
	v_dot2_f32_f16 v7, v22, v30, v7
	;;#ASMEND
	;;#ASMSTART
	v_dot2_f32_f16 v7, v23, v31, v7
	;;#ASMEND
	;;#ASMSTART
	v_dot2_f32_f16 v7, v24, v32, v7
	;;#ASMEND
	;;#ASMSTART
	v_dot2_f32_f16 v7, v25, v33, v7
	;;#ASMEND
	;; [unrolled: 13-line block ×3, first 2 shown]
	;;#ASMSTART
	v_dot2_f32_f16 v8, v53, v30, v8
	;;#ASMEND
	;;#ASMSTART
	v_dot2_f32_f16 v8, v54, v31, v8
	;;#ASMEND
	;; [unrolled: 3-line block ×4, first 2 shown]
	s_barrier
	buffer_gl0_inv
	s_clause 0x1
	scratch_store_b32 off, v10, off
	scratch_store_b96 off, v[0:2], off offset:4
	flat_load_b128 v[22:25], v[14:15]
	s_clause 0x1
	scratch_store_b32 off, v10, off
	scratch_store_b96 off, v[0:2], off offset:4
	s_waitcnt vmcnt(0) lgkmcnt(0)
	ds_store_b128 v11, v[22:25]
	flat_load_b128 v[12:15], v[12:13]
	s_clause 0x1
	scratch_store_b32 off, v10, off
	scratch_store_b96 off, v[0:2], off offset:4
	s_waitcnt vmcnt(0) lgkmcnt(0)
	ds_store_b128 v11, v[12:15] offset:2304
	flat_load_b128 v[12:15], v[18:19]
	v_add_co_u32 v18, vcc_lo, 0x80, v20
	v_add_co_ci_u32_e32 v19, vcc_lo, 0, v21, vcc_lo
	s_clause 0x1
	scratch_store_b32 off, v10, off
	scratch_store_b96 off, v[0:2], off offset:4
	v_cndmask_b32_e64 v18, 0, v18, s4
	v_mov_b32_e32 v0, v16
	v_cndmask_b32_e64 v19, s13, v19, s4
	s_cselect_b32 s4, -1, 0
	v_mov_b32_e32 v1, v17
	s_waitcnt vmcnt(0) lgkmcnt(0)
	ds_store_b128 v11, v[12:15] offset:4608
	flat_load_b128 v[12:15], v[18:19]
	s_waitcnt vmcnt(0) lgkmcnt(0)
	ds_store_b128 v11, v[12:15] offset:6912
	s_waitcnt lgkmcnt(0)
	s_waitcnt_vscnt null, 0x0
	s_barrier
	buffer_gl0_inv
	ds_load_b128 v[11:14], v52
	ds_load_b128 v[18:21], v3 offset:9344
	ds_load_b128 v[22:25], v3 offset:9600
	ds_load_b128 v[26:29], v52 offset:4608
	s_waitcnt lgkmcnt(2)
	;;#ASMSTART
	v_dot2_f32_f16 v4, v11, v18, v4
	;;#ASMEND
	;;#ASMSTART
	v_dot2_f32_f16 v4, v12, v19, v4
	;;#ASMEND
	;;#ASMSTART
	v_dot2_f32_f16 v4, v13, v20, v4
	;;#ASMEND
	;;#ASMSTART
	v_dot2_f32_f16 v4, v14, v21, v4
	;;#ASMEND
	s_waitcnt lgkmcnt(1)
	;;#ASMSTART
	v_dot2_f32_f16 v7, v11, v22, v7
	;;#ASMEND
	;;#ASMSTART
	v_dot2_f32_f16 v7, v12, v23, v7
	;;#ASMEND
	;;#ASMSTART
	v_dot2_f32_f16 v7, v13, v24, v7
	;;#ASMEND
	;;#ASMSTART
	v_dot2_f32_f16 v7, v14, v25, v7
	;;#ASMEND
	s_waitcnt lgkmcnt(0)
	;;#ASMSTART
	v_dot2_f32_f16 v9, v26, v18, v9
	;;#ASMEND
	;;#ASMSTART
	v_dot2_f32_f16 v9, v27, v19, v9
	;;#ASMEND
	;;#ASMSTART
	v_dot2_f32_f16 v9, v28, v20, v9
	;;#ASMEND
	;;#ASMSTART
	v_dot2_f32_f16 v9, v29, v21, v9
	;;#ASMEND
	;;#ASMSTART
	v_dot2_f32_f16 v8, v26, v22, v8
	;;#ASMEND
	;;#ASMSTART
	v_dot2_f32_f16 v8, v27, v23, v8
	;;#ASMEND
	;;#ASMSTART
	v_dot2_f32_f16 v8, v28, v24, v8
	;;#ASMEND
	;;#ASMSTART
	v_dot2_f32_f16 v8, v29, v25, v8
	;;#ASMEND
	ds_load_b128 v[11:14], v52 offset:16
	ds_load_b128 v[18:21], v3 offset:9360
	ds_load_b128 v[22:25], v3 offset:9616
	ds_load_b128 v[26:29], v52 offset:4624
	s_waitcnt lgkmcnt(2)
	;;#ASMSTART
	v_dot2_f32_f16 v4, v11, v18, v4
	;;#ASMEND
	;;#ASMSTART
	v_dot2_f32_f16 v4, v12, v19, v4
	;;#ASMEND
	;;#ASMSTART
	v_dot2_f32_f16 v4, v13, v20, v4
	;;#ASMEND
	;;#ASMSTART
	v_dot2_f32_f16 v4, v14, v21, v4
	;;#ASMEND
	s_waitcnt lgkmcnt(1)
	;;#ASMSTART
	v_dot2_f32_f16 v7, v11, v22, v7
	;;#ASMEND
	;;#ASMSTART
	v_dot2_f32_f16 v7, v12, v23, v7
	;;#ASMEND
	;;#ASMSTART
	v_dot2_f32_f16 v7, v13, v24, v7
	;;#ASMEND
	;;#ASMSTART
	v_dot2_f32_f16 v7, v14, v25, v7
	;;#ASMEND
	s_waitcnt lgkmcnt(0)
	;;#ASMSTART
	v_dot2_f32_f16 v9, v26, v18, v9
	;;#ASMEND
	;;#ASMSTART
	v_dot2_f32_f16 v9, v27, v19, v9
	;;#ASMEND
	;;#ASMSTART
	v_dot2_f32_f16 v9, v28, v20, v9
	;;#ASMEND
	;;#ASMSTART
	v_dot2_f32_f16 v9, v29, v21, v9
	;;#ASMEND
	;;#ASMSTART
	v_dot2_f32_f16 v8, v26, v22, v8
	;;#ASMEND
	;;#ASMSTART
	v_dot2_f32_f16 v8, v27, v23, v8
	;;#ASMEND
	;;#ASMSTART
	v_dot2_f32_f16 v8, v28, v24, v8
	;;#ASMEND
	;;#ASMSTART
	v_dot2_f32_f16 v8, v29, v25, v8
	;;#ASMEND
	ds_load_b128 v[11:14], v52 offset:32
	;; [unrolled: 55-line block ×7, first 2 shown]
	ds_load_b128 v[19:22], v3 offset:9456
	ds_load_b128 v[23:26], v3 offset:9712
	ds_load_b128 v[27:30], v52 offset:4720
	s_waitcnt lgkmcnt(2)
	;;#ASMSTART
	v_dot2_f32_f16 v4, v11, v19, v4
	;;#ASMEND
	;;#ASMSTART
	v_dot2_f32_f16 v4, v12, v20, v4
	;;#ASMEND
	;; [unrolled: 3-line block ×4, first 2 shown]
	s_waitcnt lgkmcnt(1)
	;;#ASMSTART
	v_dot2_f32_f16 v7, v11, v23, v7
	;;#ASMEND
	v_mad_u64_u32 v[2:3], null, v51, s22, s[6:7]
	;;#ASMSTART
	v_dot2_f32_f16 v7, v12, v24, v7
	;;#ASMEND
	;;#ASMSTART
	v_dot2_f32_f16 v7, v13, v25, v7
	;;#ASMEND
	;; [unrolled: 3-line block ×3, first 2 shown]
	s_waitcnt lgkmcnt(0)
	;;#ASMSTART
	v_dot2_f32_f16 v9, v27, v19, v9
	;;#ASMEND
	v_cndmask_b32_e64 v18, 0, 1, s4
	;;#ASMSTART
	v_dot2_f32_f16 v9, v28, v20, v9
	;;#ASMEND
	;;#ASMSTART
	v_dot2_f32_f16 v9, v29, v21, v9
	;;#ASMEND
	;; [unrolled: 3-line block ×7, first 2 shown]
	s_and_saveexec_b32 s3, s2
	s_cbranch_execz .LBB62_27
; %bb.24:
	s_and_not1_b32 vcc_lo, exec_lo, s4
	s_cbranch_vccnz .LBB62_26
; %bb.25:
	v_add_nc_u32_e32 v0, v2, v38
	s_delay_alu instid0(VALU_DEP_1) | instskip(NEXT) | instid1(VALU_DEP_1)
	v_ashrrev_i32_e32 v1, 31, v0
	v_lshlrev_b64 v[0:1], 1, v[0:1]
	s_delay_alu instid0(VALU_DEP_1) | instskip(NEXT) | instid1(VALU_DEP_2)
	v_add_co_u32 v0, vcc_lo, s40, v0
	v_add_co_ci_u32_e32 v1, vcc_lo, s41, v1, vcc_lo
	flat_load_u16 v0, v[0:1]
	s_waitcnt vmcnt(0) lgkmcnt(0)
	v_cvt_f32_f16_e32 v0, v0
	s_delay_alu instid0(VALU_DEP_1)
	v_mul_f32_e32 v10, v47, v0
.LBB62_26:
	s_delay_alu instid0(VALU_DEP_1) | instskip(SKIP_1) | instid1(VALU_DEP_2)
	v_add_f32_e32 v4, v4, v10
	v_max_f32_e32 v0, v16, v16
	v_add_f32_e32 v1, 0x40051340, v4
	s_delay_alu instid0(VALU_DEP_1)
	v_dual_max_f32 v0, v0, v1 :: v_dual_mov_b32 v1, v17
.LBB62_27:
	s_or_b32 exec_lo, exec_lo, s3
	v_add_nc_u32_e32 v20, 32, v38
	s_delay_alu instid0(VALU_DEP_1) | instskip(NEXT) | instid1(VALU_DEP_1)
	v_cmp_gt_i32_e64 s3, s18, v20
	s_and_saveexec_b32 s4, s3
	s_cbranch_execz .LBB62_32
; %bb.28:
	v_cmp_ne_u32_e32 vcc_lo, 1, v18
	s_cbranch_vccnz .LBB62_30
; %bb.29:
	v_ashrrev_i32_e32 v3, 31, v2
	v_add_co_u32 v2, vcc_lo, v2, v38
	s_delay_alu instid0(VALU_DEP_2) | instskip(NEXT) | instid1(VALU_DEP_1)
	v_add_co_ci_u32_e32 v3, vcc_lo, 0, v3, vcc_lo
	v_lshlrev_b64 v[2:3], 1, v[2:3]
	s_delay_alu instid0(VALU_DEP_1) | instskip(NEXT) | instid1(VALU_DEP_2)
	v_add_co_u32 v2, vcc_lo, s40, v2
	v_add_co_ci_u32_e32 v3, vcc_lo, s41, v3, vcc_lo
	flat_load_u16 v2, v[2:3] offset:64
	s_waitcnt vmcnt(0) lgkmcnt(0)
	v_cvt_f32_f16_e32 v2, v2
	s_delay_alu instid0(VALU_DEP_1)
	v_mul_f32_e32 v2, v47, v2
	s_branch .LBB62_31
.LBB62_30:
	v_mov_b32_e32 v2, 0
.LBB62_31:
	s_delay_alu instid0(VALU_DEP_1) | instskip(NEXT) | instid1(VALU_DEP_1)
	v_dual_add_f32 v9, v9, v2 :: v_dual_max_f32 v0, v0, v0
	v_add_f32_e32 v2, 0x40051340, v9
	s_delay_alu instid0(VALU_DEP_1)
	v_max_f32_e32 v0, v0, v2
.LBB62_32:
	s_or_b32 exec_lo, exec_lo, s4
	v_xor_b32_e32 v11, 16, v40
	v_xor_b32_e32 v10, 8, v40
	v_mul_hi_u32 v24, s8, v50
	v_max_f32_e32 v12, v0, v0
	s_delay_alu instid0(VALU_DEP_4) | instskip(SKIP_2) | instid1(VALU_DEP_2)
	v_cmp_gt_i32_e32 vcc_lo, 32, v11
	v_cndmask_b32_e32 v2, v40, v11, vcc_lo
	v_cmp_gt_i32_e32 vcc_lo, 32, v10
	v_lshlrev_b32_e32 v19, 2, v2
	v_cndmask_b32_e32 v3, v40, v10, vcc_lo
	ds_bpermute_b32 v2, v19, v0
	s_waitcnt lgkmcnt(0)
	v_max_f32_e32 v2, v2, v2
	s_delay_alu instid0(VALU_DEP_1) | instskip(SKIP_1) | instid1(VALU_DEP_1)
	v_max_f32_e32 v2, v12, v2
	v_xor_b32_e32 v12, 4, v40
	v_cmp_gt_i32_e32 vcc_lo, 32, v12
	v_cndmask_b32_e32 v13, v40, v12, vcc_lo
	s_delay_alu instid0(VALU_DEP_1) | instskip(SKIP_1) | instid1(VALU_DEP_1)
	v_lshlrev_b32_e32 v21, 2, v13
	v_xor_b32_e32 v13, 2, v40
	v_cmp_gt_i32_e32 vcc_lo, 32, v13
	v_cndmask_b32_e32 v14, v40, v13, vcc_lo
	s_delay_alu instid0(VALU_DEP_1) | instskip(SKIP_1) | instid1(VALU_DEP_1)
	v_lshlrev_b32_e32 v22, 2, v14
	v_xor_b32_e32 v14, 1, v40
	v_cmp_gt_i32_e32 vcc_lo, 32, v14
	v_dual_cndmask_b32 v15, v40, v14 :: v_dual_lshlrev_b32 v0, 2, v3
	ds_bpermute_b32 v3, v0, v2
	v_lshlrev_b32_e32 v23, 2, v15
	s_waitcnt lgkmcnt(0)
	v_max_f32_e32 v3, v3, v3
	s_delay_alu instid0(VALU_DEP_1) | instskip(SKIP_3) | instid1(VALU_DEP_1)
	v_max_f32_e32 v2, v2, v3
	ds_bpermute_b32 v3, v21, v2
	s_waitcnt lgkmcnt(0)
	v_max_f32_e32 v3, v3, v3
	v_max_f32_e32 v2, v2, v3
	ds_bpermute_b32 v3, v22, v2
	s_waitcnt lgkmcnt(0)
	v_max_f32_e32 v3, v3, v3
	s_delay_alu instid0(VALU_DEP_1) | instskip(SKIP_3) | instid1(VALU_DEP_1)
	v_max_f32_e32 v25, v2, v3
	v_add_nc_u32_e32 v2, v50, v24
	ds_bpermute_b32 v3, v23, v25
	v_lshrrev_b32_e32 v2, s9, v2
	v_mul_lo_u32 v2, v2, s10
	s_delay_alu instid0(VALU_DEP_1) | instskip(SKIP_2) | instid1(VALU_DEP_2)
	v_sub_nc_u32_e32 v15, v50, v2
	s_waitcnt lgkmcnt(0)
	v_max_f32_e32 v24, v3, v3
	v_mad_u64_u32 v[2:3], null, v15, s22, s[6:7]
	v_mov_b32_e32 v15, 32
	s_delay_alu instid0(VALU_DEP_3)
	v_max_f32_e32 v3, v25, v24
	s_and_saveexec_b32 s4, s2
	s_cbranch_execz .LBB62_37
; %bb.33:
	v_cmp_ne_u32_e32 vcc_lo, 1, v18
	s_cbranch_vccnz .LBB62_35
; %bb.34:
	s_delay_alu instid0(VALU_DEP_4) | instskip(NEXT) | instid1(VALU_DEP_1)
	v_add_nc_u32_e32 v24, v2, v38
	v_ashrrev_i32_e32 v25, 31, v24
	s_delay_alu instid0(VALU_DEP_1) | instskip(NEXT) | instid1(VALU_DEP_1)
	v_lshlrev_b64 v[24:25], 1, v[24:25]
	v_add_co_u32 v24, vcc_lo, s40, v24
	s_delay_alu instid0(VALU_DEP_2) | instskip(SKIP_3) | instid1(VALU_DEP_1)
	v_add_co_ci_u32_e32 v25, vcc_lo, s41, v25, vcc_lo
	flat_load_u16 v24, v[24:25]
	s_waitcnt vmcnt(0) lgkmcnt(0)
	v_cvt_f32_f16_e32 v24, v24
	v_mul_f32_e32 v24, v47, v24
	s_branch .LBB62_36
.LBB62_35:
	v_mov_b32_e32 v24, 0
.LBB62_36:
	s_delay_alu instid0(VALU_DEP_1) | instskip(NEXT) | instid1(VALU_DEP_1)
	v_add_f32_e32 v7, v7, v24
	v_dual_max_f32 v1, v1, v1 :: v_dual_add_f32 v24, 0x40051340, v7
	s_delay_alu instid0(VALU_DEP_1)
	v_max_f32_e32 v1, v1, v24
.LBB62_37:
	s_or_b32 exec_lo, exec_lo, s4
	s_and_saveexec_b32 s2, s3
	s_cbranch_execz .LBB62_42
; %bb.38:
	v_cmp_ne_u32_e32 vcc_lo, 1, v18
	s_cbranch_vccnz .LBB62_40
; %bb.39:
	v_ashrrev_i32_e32 v18, 31, v2
	v_add_co_u32 v24, vcc_lo, v2, v38
	s_delay_alu instid0(VALU_DEP_2) | instskip(NEXT) | instid1(VALU_DEP_1)
	v_add_co_ci_u32_e32 v25, vcc_lo, 0, v18, vcc_lo
	v_lshlrev_b64 v[24:25], 1, v[24:25]
	s_delay_alu instid0(VALU_DEP_1) | instskip(NEXT) | instid1(VALU_DEP_2)
	v_add_co_u32 v24, vcc_lo, s40, v24
	v_add_co_ci_u32_e32 v25, vcc_lo, s41, v25, vcc_lo
	flat_load_u16 v2, v[24:25] offset:64
	s_waitcnt vmcnt(0) lgkmcnt(0)
	v_cvt_f32_f16_e32 v2, v2
	s_delay_alu instid0(VALU_DEP_1)
	v_mul_f32_e32 v2, v47, v2
	s_branch .LBB62_41
.LBB62_40:
	v_mov_b32_e32 v2, 0
.LBB62_41:
	s_delay_alu instid0(VALU_DEP_1) | instskip(NEXT) | instid1(VALU_DEP_1)
	v_dual_add_f32 v8, v8, v2 :: v_dual_max_f32 v1, v1, v1
	v_add_f32_e32 v2, 0x40051340, v8
	s_delay_alu instid0(VALU_DEP_1)
	v_max_f32_e32 v1, v1, v2
.LBB62_42:
	s_or_b32 exec_lo, exec_lo, s2
	ds_bpermute_b32 v2, v19, v1
	v_max_f32_e32 v1, v1, v1
	s_mov_b32 s20, 0
	s_mul_hi_i32 s3, s6, s16
	s_mov_b32 s21, s20
	s_mov_b32 s22, s20
	v_sub_f32_e32 v25, v9, v3
	s_mul_i32 s2, s6, s16
	s_mov_b64 s[4:5], src_private_base
	s_lshl_b64 s[2:3], s[2:3], 2
	s_lshl_b32 s4, s16, 3
	s_add_u32 s8, s7, s2
	s_addc_u32 s9, s17, s3
	s_waitcnt lgkmcnt(0)
	s_barrier
	buffer_gl0_inv
	v_dual_sub_f32 v24, v4, v3 :: v_dual_lshlrev_b32 v9, 8, v46
	v_max_f32_e32 v2, v2, v2
	s_delay_alu instid0(VALU_DEP_2) | instskip(SKIP_1) | instid1(VALU_DEP_3)
	v_mul_f32_e32 v26, 0x3fb8aa3b, v24
	v_cmp_ngt_f32_e32 vcc_lo, 0xc2ce8ed0, v24
	v_max_f32_e32 v1, v1, v2
	s_delay_alu instid0(VALU_DEP_3) | instskip(SKIP_4) | instid1(VALU_DEP_1)
	v_rndne_f32_e32 v30, v26
	ds_bpermute_b32 v0, v0, v1
	v_cvt_i32_f32_e32 v50, v30
	s_waitcnt lgkmcnt(0)
	v_max_f32_e32 v0, v0, v0
	v_max_f32_e32 v0, v1, v0
	ds_bpermute_b32 v1, v21, v0
	v_lshlrev_b32_e32 v21, 2, v49
	s_waitcnt lgkmcnt(0)
	v_max_f32_e32 v1, v1, v1
	s_delay_alu instid0(VALU_DEP_1) | instskip(SKIP_3) | instid1(VALU_DEP_1)
	v_max_f32_e32 v0, v0, v1
	ds_bpermute_b32 v1, v22, v0
	s_waitcnt lgkmcnt(0)
	v_dual_mov_b32 v22, 0 :: v_dual_max_f32 v1, v1, v1
	v_max_f32_e32 v18, v0, v1
	v_mov_b32_e32 v0, s20
	v_cmp_nlt_f32_e64 s2, 0x42b17218, v25
	v_dual_mov_b32 v1, s21 :: v_dual_mov_b32 v2, s22
	ds_bpermute_b32 v19, v23, v18
	v_mul_f32_e32 v27, 0x3fb8aa3b, v25
	v_add_nc_u32_e32 v23, v48, v36
	s_clause 0x1
	scratch_store_b32 off, v22, off
	scratch_store_b96 off, v[0:2], off offset:4
	v_mul_lo_u32 v28, s16, v23
	v_lshl_or_b32 v145, v23, 8, v21
	v_add_nc_u32_e32 v144, 8, v23
	v_add_nc_u32_e32 v146, 16, v23
	s_delay_alu instid0(VALU_DEP_2) | instskip(NEXT) | instid1(VALU_DEP_2)
	v_lshl_or_b32 v147, v144, 8, v21
	v_lshl_or_b32 v148, v146, 8, v21
	s_waitcnt lgkmcnt(0)
	v_max_f32_e32 v4, v19, v19
	v_fma_f32 v19, 0x3fb8aa3b, v24, -v26
	v_rndne_f32_e32 v32, v27
	s_delay_alu instid0(VALU_DEP_2) | instskip(NEXT) | instid1(VALU_DEP_4)
	v_fmac_f32_e32 v19, 0x32a5705f, v24
	v_dual_max_f32 v4, v18, v4 :: v_dual_add_nc_u32 v31, 0x2c00, v9
	v_fma_f32 v18, 0x3fb8aa3b, v25, -v27
	s_delay_alu instid0(VALU_DEP_4) | instskip(NEXT) | instid1(VALU_DEP_3)
	v_dual_sub_f32 v26, v26, v30 :: v_dual_sub_f32 v27, v27, v32
	v_add_nc_u32_e32 v33, v31, v37
	s_delay_alu instid0(VALU_DEP_3) | instskip(NEXT) | instid1(VALU_DEP_3)
	v_dual_sub_f32 v7, v7, v4 :: v_dual_fmac_f32 v18, 0x32a5705f, v25
	v_dual_sub_f32 v8, v8, v4 :: v_dual_add_f32 v19, v26, v19
	v_cvt_i32_f32_e32 v32, v32
	s_delay_alu instid0(VALU_DEP_3) | instskip(NEXT) | instid1(VALU_DEP_3)
	v_mul_f32_e32 v26, 0x3fb8aa3b, v7
	v_dual_add_f32 v18, v27, v18 :: v_dual_mul_f32 v29, 0x3fb8aa3b, v8
	s_delay_alu instid0(VALU_DEP_4) | instskip(SKIP_1) | instid1(VALU_DEP_3)
	v_exp_f32_e32 v19, v19
	v_cmp_nlt_f32_e64 s3, 0x42b17218, v7
	v_fma_f32 v27, 0x3fb8aa3b, v7, -v26
	v_rndne_f32_e32 v46, v26
	v_exp_f32_e32 v18, v18
	v_fma_f32 v47, 0x3fb8aa3b, v8, -v29
	v_rndne_f32_e32 v48, v29
	s_delay_alu instid0(VALU_DEP_3) | instskip(NEXT) | instid1(TRANS32_DEP_2)
	v_dual_fmac_f32 v27, 0x32a5705f, v7 :: v_dual_sub_f32 v26, v26, v46
	v_ldexp_f32 v19, v19, v50
	s_delay_alu instid0(VALU_DEP_2)
	v_dual_fmac_f32 v47, 0x32a5705f, v8 :: v_dual_add_f32 v26, v26, v27
	s_waitcnt_depctr 0xfff
	v_ldexp_f32 v18, v18, v32
	v_cndmask_b32_e32 v19, 0, v19, vcc_lo
	v_cmp_ngt_f32_e32 vcc_lo, 0xc2ce8ed0, v25
	v_sub_f32_e32 v49, v29, v48
	v_exp_f32_e32 v26, v26
	v_cvt_i32_f32_e32 v32, v46
	v_cvt_i32_f32_e32 v46, v48
	s_delay_alu instid0(VALU_DEP_3) | instskip(SKIP_2) | instid1(VALU_DEP_3)
	v_dual_cndmask_b32 v18, 0, v18 :: v_dual_add_f32 v27, v49, v47
	v_cmp_nlt_f32_e32 vcc_lo, 0x42b17218, v24
	v_ashrrev_i32_e32 v29, 31, v28
	v_cndmask_b32_e64 v25, 0x7f800000, v18, s2
	s_delay_alu instid0(VALU_DEP_4) | instskip(NEXT) | instid1(TRANS32_DEP_2)
	v_exp_f32_e32 v27, v27
	v_ldexp_f32 v24, v26, v32
	v_cmp_ngt_f32_e64 s2, 0xc2ce8ed0, v7
	v_lshlrev_b64 v[29:30], 2, v[28:29]
	v_cndmask_b32_e32 v19, 0x7f800000, v19, vcc_lo
	v_cmp_gt_u32_e32 vcc_lo, s18, v38
	s_delay_alu instid0(VALU_DEP_4) | instskip(SKIP_1) | instid1(TRANS32_DEP_1)
	v_cndmask_b32_e64 v18, 0, v24, s2
	v_cmp_ngt_f32_e64 s2, 0xc2ce8ed0, v8
	v_ldexp_f32 v26, v27, v46
	s_delay_alu instid0(VALU_DEP_3) | instskip(SKIP_2) | instid1(VALU_DEP_4)
	v_cndmask_b32_e64 v7, 0x7f800000, v18, s3
	v_cmp_nlt_f32_e64 s3, 0x42b17218, v8
	v_cndmask_b32_e32 v18, 0, v19, vcc_lo
	v_cndmask_b32_e64 v24, 0, v26, s2
	v_cmp_gt_u32_e64 s2, s18, v20
	v_cndmask_b32_e32 v7, 0, v7, vcc_lo
	v_lshl_add_u32 v20, v20, 2, v31
	v_add_nc_u32_e32 v31, s4, v28
	v_cndmask_b32_e64 v8, 0x7f800000, v24, s3
	v_add_co_u32 v24, s3, s8, v29
	s_delay_alu instid0(VALU_DEP_1) | instskip(SKIP_1) | instid1(VALU_DEP_4)
	v_add_co_ci_u32_e64 v26, s3, s9, v30, s3
	v_cndmask_b32_e64 v19, 0, v25, s2
	v_cndmask_b32_e64 v8, 0, v8, s2
	s_delay_alu instid0(VALU_DEP_4) | instskip(NEXT) | instid1(VALU_DEP_4)
	v_add_co_u32 v24, vcc_lo, v24, v21
	v_add_co_ci_u32_e32 v25, vcc_lo, 0, v26, vcc_lo
	v_cvt_f16_f32_e32 v26, v18
	v_cvt_f16_f32_e32 v32, v7
	;; [unrolled: 1-line block ×4, first 2 shown]
	v_cmp_gt_i32_e32 vcc_lo, s18, v23
	s_or_b32 s2, s6, 32
	v_pack_b32_f16 v26, v26, v32
	v_ashrrev_i32_e32 v32, 31, v31
	v_pack_b32_f16 v27, v27, v46
	v_cndmask_b32_e32 v25, s5, v25, vcc_lo
	v_cndmask_b32_e32 v24, 0, v24, vcc_lo
	ds_store_b32 v33, v26
	ds_store_b32 v20, v27
	v_lshlrev_b64 v[138:139], 2, v[31:32]
	v_add_nc_u32_e32 v31, s4, v31
	flat_load_b128 v[24:27], v[24:25]
	s_clause 0x1
	scratch_store_b32 off, v22, off
	scratch_store_b96 off, v[0:2], off offset:4
	s_mul_hi_i32 s3, s2, s16
	s_mul_i32 s2, s2, s16
	v_add_co_u32 v20, vcc_lo, s8, v138
	v_add_co_ci_u32_e32 v28, vcc_lo, s9, v139, vcc_lo
	s_lshl_b64 s[2:3], s[2:3], 2
	s_delay_alu instid0(VALU_DEP_2) | instskip(NEXT) | instid1(VALU_DEP_2)
	v_add_co_u32 v20, vcc_lo, v20, v21
	v_add_co_ci_u32_e32 v28, vcc_lo, 0, v28, vcc_lo
	v_cmp_gt_i32_e32 vcc_lo, s18, v144
	s_add_u32 s2, s7, s2
	s_addc_u32 s3, s17, s3
	s_delay_alu instid0(VALU_DEP_2)
	v_cndmask_b32_e32 v33, s5, v28, vcc_lo
	v_cndmask_b32_e32 v32, 0, v20, vcc_lo
	s_waitcnt vmcnt(0) lgkmcnt(0)
	ds_store_b128 v145, v[24:27]
	flat_load_b128 v[24:27], v[32:33]
	v_ashrrev_i32_e32 v32, 31, v31
	s_clause 0x1
	scratch_store_b32 off, v22, off
	scratch_store_b96 off, v[0:2], off offset:4
	v_lshlrev_b64 v[140:141], 2, v[31:32]
	v_add_nc_u32_e32 v31, s4, v31
	s_sub_i32 s4, s18, 32
	s_delay_alu instid0(VALU_DEP_2) | instskip(NEXT) | instid1(VALU_DEP_3)
	v_add_co_u32 v20, vcc_lo, s8, v140
	v_add_co_ci_u32_e32 v28, vcc_lo, s9, v141, vcc_lo
	s_delay_alu instid0(VALU_DEP_2) | instskip(NEXT) | instid1(VALU_DEP_2)
	v_add_co_u32 v20, vcc_lo, v20, v21
	v_add_co_ci_u32_e32 v28, vcc_lo, 0, v28, vcc_lo
	v_cmp_gt_i32_e32 vcc_lo, s18, v146
	s_delay_alu instid0(VALU_DEP_2) | instskip(NEXT) | instid1(VALU_DEP_4)
	v_cndmask_b32_e32 v33, s5, v28, vcc_lo
	v_cndmask_b32_e32 v32, 0, v20, vcc_lo
	v_add_f32_e32 v7, v7, v8
	s_waitcnt vmcnt(0) lgkmcnt(0)
	ds_store_b128 v147, v[24:27]
	flat_load_b128 v[24:27], v[32:33]
	v_ashrrev_i32_e32 v32, 31, v31
	s_clause 0x1
	scratch_store_b32 off, v22, off
	scratch_store_b96 off, v[0:2], off offset:4
	v_lshlrev_b64 v[142:143], 2, v[31:32]
	s_delay_alu instid0(VALU_DEP_1) | instskip(NEXT) | instid1(VALU_DEP_2)
	v_add_co_u32 v20, vcc_lo, s8, v142
	v_add_co_ci_u32_e32 v28, vcc_lo, s9, v143, vcc_lo
	s_delay_alu instid0(VALU_DEP_2) | instskip(NEXT) | instid1(VALU_DEP_2)
	v_add_co_u32 v20, vcc_lo, v20, v21
	v_add_co_ci_u32_e32 v28, vcc_lo, 0, v28, vcc_lo
	v_add_nc_u32_e32 v33, 24, v23
	s_delay_alu instid0(VALU_DEP_1) | instskip(NEXT) | instid1(VALU_DEP_3)
	v_cmp_gt_i32_e32 vcc_lo, s18, v33
	v_cndmask_b32_e32 v32, s5, v28, vcc_lo
	v_cndmask_b32_e32 v31, 0, v20, vcc_lo
	v_add_co_u32 v20, vcc_lo, s2, v29
	v_add_co_ci_u32_e32 v29, vcc_lo, s3, v30, vcc_lo
	v_lshl_or_b32 v149, v33, 8, v21
	s_delay_alu instid0(VALU_DEP_3) | instskip(NEXT) | instid1(VALU_DEP_3)
	v_add_co_u32 v30, vcc_lo, v20, v21
	v_add_co_ci_u32_e32 v29, vcc_lo, 0, v29, vcc_lo
	v_cmp_gt_i32_e32 vcc_lo, s4, v23
	v_add_nc_u32_e32 v23, 0x1000, v41
	v_add_nc_u32_e32 v20, 0x1800, v41
	s_delay_alu instid0(VALU_DEP_4) | instskip(SKIP_3) | instid1(VALU_DEP_2)
	v_cndmask_b32_e32 v135, s5, v29, vcc_lo
	v_cndmask_b32_e32 v134, 0, v30, vcc_lo
	v_add_co_u32 v138, vcc_lo, s2, v138
	v_add_co_ci_u32_e32 v139, vcc_lo, s3, v139, vcc_lo
	v_add_co_u32 v138, vcc_lo, v138, v21
	s_delay_alu instid0(VALU_DEP_2) | instskip(SKIP_1) | instid1(VALU_DEP_2)
	v_add_co_ci_u32_e32 v139, vcc_lo, 0, v139, vcc_lo
	v_cmp_gt_i32_e32 vcc_lo, s4, v144
	v_cndmask_b32_e32 v139, s5, v139, vcc_lo
	s_delay_alu instid0(VALU_DEP_4)
	v_cndmask_b32_e32 v138, 0, v138, vcc_lo
	s_waitcnt vmcnt(0) lgkmcnt(0)
	ds_store_b128 v148, v[24:27]
	v_add_nc_u32_e32 v24, 0x800, v41
	flat_load_b128 v[25:28], v[31:32]
	s_waitcnt vmcnt(0) lgkmcnt(0)
	ds_store_b128 v149, v[25:28]
	s_waitcnt lgkmcnt(0)
	s_waitcnt_vscnt null, 0x0
	s_barrier
	buffer_gl0_inv
	ds_load_2addr_b64 v[25:28], v41 offset1:32
	ds_load_b128 v[29:32], v9 offset:11264
	ds_load_b128 v[46:49], v9 offset:11280
	;; [unrolled: 1-line block ×4, first 2 shown]
	ds_load_2addr_b64 v[58:61], v41 offset0:64 offset1:96
	ds_load_2addr_b64 v[62:65], v41 offset0:128 offset1:160
	;; [unrolled: 1-line block ×3, first 2 shown]
	ds_load_2addr_b64 v[70:73], v24 offset1:32
	ds_load_2addr_b64 v[74:77], v24 offset0:64 offset1:96
	ds_load_2addr_b64 v[78:81], v24 offset0:128 offset1:160
	;; [unrolled: 1-line block ×3, first 2 shown]
	ds_load_2addr_b64 v[86:89], v23 offset1:32
	ds_load_2addr_b64 v[90:93], v23 offset0:64 offset1:96
	ds_load_2addr_b64 v[94:97], v23 offset0:128 offset1:160
	ds_load_b128 v[98:101], v9 offset:11328
	ds_load_b128 v[102:105], v9 offset:11344
	ds_load_2addr_b64 v[106:109], v23 offset0:192 offset1:224
	ds_load_2addr_b64 v[110:113], v20 offset1:32
	ds_load_2addr_b64 v[114:117], v20 offset0:64 offset1:96
	ds_load_2addr_b64 v[118:121], v20 offset0:128 offset1:160
	ds_load_b128 v[122:125], v9 offset:11360
	ds_load_b128 v[126:129], v9 offset:11376
	ds_load_2addr_b64 v[130:133], v20 offset0:192 offset1:224
	s_waitcnt lgkmcnt(0)
	s_barrier
	buffer_gl0_inv
	s_clause 0x1
	scratch_store_b32 off, v22, off
	scratch_store_b96 off, v[0:2], off offset:4
	flat_load_b128 v[134:137], v[134:135]
	s_clause 0x1
	scratch_store_b32 off, v22, off
	scratch_store_b96 off, v[0:2], off offset:4
	s_waitcnt vmcnt(0) lgkmcnt(0)
	ds_store_b128 v145, v[134:137]
	flat_load_b128 v[134:137], v[138:139]
	v_add_co_u32 v138, vcc_lo, s2, v140
	v_add_co_ci_u32_e32 v139, vcc_lo, s3, v141, vcc_lo
	s_clause 0x1
	scratch_store_b32 off, v22, off
	scratch_store_b96 off, v[0:2], off offset:4
	v_add_co_u32 v138, vcc_lo, v138, v21
	v_add_co_ci_u32_e32 v139, vcc_lo, 0, v139, vcc_lo
	v_cmp_gt_i32_e32 vcc_lo, s4, v146
	s_delay_alu instid0(VALU_DEP_2) | instskip(NEXT) | instid1(VALU_DEP_4)
	v_cndmask_b32_e32 v139, s5, v139, vcc_lo
	v_cndmask_b32_e32 v138, 0, v138, vcc_lo
	s_waitcnt vmcnt(0) lgkmcnt(0)
	ds_store_b128 v147, v[134:137]
	flat_load_b128 v[134:137], v[138:139]
	v_add_co_u32 v138, vcc_lo, s2, v142
	v_add_co_ci_u32_e32 v139, vcc_lo, s3, v143, vcc_lo
	s_clause 0x1
	scratch_store_b32 off, v22, off
	scratch_store_b96 off, v[0:2], off offset:4
	v_sub_f32_e32 v0, v17, v4
	v_add_co_u32 v21, vcc_lo, v138, v21
	v_add_co_ci_u32_e32 v138, vcc_lo, 0, v139, vcc_lo
	v_cmp_gt_i32_e32 vcc_lo, s4, v33
	s_delay_alu instid0(VALU_DEP_4) | instskip(NEXT) | instid1(VALU_DEP_3)
	v_dual_mul_f32 v2, 0x3fb8aa3b, v0 :: v_dual_sub_f32 v1, v16, v3
	v_cndmask_b32_e32 v139, s5, v138, vcc_lo
	s_delay_alu instid0(VALU_DEP_2) | instskip(SKIP_1) | instid1(VALU_DEP_4)
	v_fma_f32 v17, 0x3fb8aa3b, v0, -v2
	v_cndmask_b32_e32 v138, 0, v21, vcc_lo
	v_mul_f32_e32 v16, 0x3fb8aa3b, v1
	v_rndne_f32_e32 v21, v2
	v_cmp_ngt_f32_e32 vcc_lo, 0xc2ce8ed0, v0
	v_fmac_f32_e32 v17, 0x32a5705f, v0
	s_delay_alu instid0(VALU_DEP_4) | instskip(SKIP_2) | instid1(VALU_DEP_3)
	v_fma_f32 v22, 0x3fb8aa3b, v1, -v16
	v_rndne_f32_e32 v33, v16
	v_sub_f32_e32 v2, v2, v21
	v_fmac_f32_e32 v22, 0x32a5705f, v1
	s_delay_alu instid0(VALU_DEP_3) | instskip(NEXT) | instid1(VALU_DEP_3)
	v_sub_f32_e32 v16, v16, v33
	v_add_f32_e32 v2, v2, v17
	v_cvt_i32_f32_e32 v17, v21
	v_cvt_i32_f32_e32 v21, v33
	s_delay_alu instid0(VALU_DEP_4) | instskip(NEXT) | instid1(VALU_DEP_4)
	v_add_f32_e32 v16, v16, v22
	v_exp_f32_e32 v2, v2
	v_pk_mul_f16 v22, v25, v29 op_sel:[0,1]
	s_delay_alu instid0(VALU_DEP_2) | instskip(SKIP_3) | instid1(VALU_DEP_2)
	v_exp_f32_e32 v16, v16
	s_waitcnt_depctr 0xfff
	v_ldexp_f32 v2, v2, v17
	v_ldexp_f32 v16, v16, v21
	v_cndmask_b32_e32 v2, 0, v2, vcc_lo
	v_cmp_ngt_f32_e32 vcc_lo, 0xc2ce8ed0, v1
	v_pk_mul_f16 v21, v25, v29 op_sel_hi:[1,0]
	v_pk_mul_f16 v25, v26, v29 op_sel_hi:[1,0]
	v_cndmask_b32_e32 v16, 0, v16, vcc_lo
	v_cmp_nlt_f32_e32 vcc_lo, 0x42b17218, v0
	v_cndmask_b32_e32 v0, 0x7f800000, v2, vcc_lo
	v_cmp_nlt_f32_e32 vcc_lo, 0x42b17218, v1
	s_delay_alu instid0(VALU_DEP_2) | instskip(SKIP_2) | instid1(VALU_DEP_3)
	v_cvt_f16_f32_e32 v2, v0
	v_fmac_f32_e32 v7, v6, v0
	v_cndmask_b32_e32 v1, 0x7f800000, v16, vcc_lo
	v_pk_mul_f16 v17, v2, v42 op_sel_hi:[0,1]
	s_delay_alu instid0(VALU_DEP_3) | instskip(NEXT) | instid1(VALU_DEP_3)
	v_mov_b32_e32 v6, v7
	v_cvt_f16_f32_e32 v16, v1
	v_pk_fma_f16 v2, v2, v43, v22 op_sel_hi:[0,1,1]
	s_delay_alu instid0(VALU_DEP_4) | instskip(NEXT) | instid1(VALU_DEP_3)
	v_pk_fma_f16 v17, v26, v29, v17 op_sel:[0,1,0]
	v_pk_fma_f16 v21, v16, v44, v21 op_sel_hi:[0,1,1]
	v_pk_fma_f16 v16, v16, v45, v25 op_sel_hi:[0,1,1]
	s_delay_alu instid0(VALU_DEP_4) | instskip(NEXT) | instid1(VALU_DEP_4)
	v_pk_fma_f16 v2, v27, v30, v2 op_sel:[0,1,0]
	v_pk_fma_f16 v17, v28, v30, v17 op_sel:[0,1,0]
	s_delay_alu instid0(VALU_DEP_4) | instskip(NEXT) | instid1(VALU_DEP_4)
	v_pk_fma_f16 v21, v27, v30, v21 op_sel_hi:[1,0,1]
	v_pk_fma_f16 v16, v28, v30, v16 op_sel_hi:[1,0,1]
	s_delay_alu instid0(VALU_DEP_4) | instskip(NEXT) | instid1(VALU_DEP_4)
	v_pk_fma_f16 v2, v58, v31, v2 op_sel:[0,1,0]
	v_pk_fma_f16 v17, v59, v31, v17 op_sel:[0,1,0]
	s_delay_alu instid0(VALU_DEP_4) | instskip(NEXT) | instid1(VALU_DEP_4)
	;; [unrolled: 6-line block ×31, first 2 shown]
	v_pk_fma_f16 v21, v132, v129, v21 op_sel_hi:[1,0,1]
	v_pk_fma_f16 v16, v133, v129, v16 op_sel_hi:[1,0,1]
	s_waitcnt vmcnt(0) lgkmcnt(0)
	ds_store_b128 v148, v[134:137]
	flat_load_b128 v[134:137], v[138:139]
	s_waitcnt vmcnt(0) lgkmcnt(0)
	ds_store_b128 v149, v[134:137]
	s_waitcnt lgkmcnt(0)
	s_waitcnt_vscnt null, 0x0
	s_barrier
	buffer_gl0_inv
	ds_load_2addr_b64 v[25:28], v41 offset1:32
	ds_load_b128 v[29:32], v9 offset:11392
	ds_load_2addr_b64 v[42:45], v41 offset0:64 offset1:96
	ds_load_b128 v[46:49], v9 offset:11408
	ds_load_2addr_b64 v[50:53], v41 offset0:128 offset1:160
	ds_load_2addr_b64 v[54:57], v24 offset1:32
	s_waitcnt lgkmcnt(4)
	v_pk_fma_f16 v21, v25, v29, v21 op_sel_hi:[1,0,1]
	v_pk_fma_f16 v2, v25, v29, v2 op_sel:[0,1,0]
	v_pk_fma_f16 v16, v26, v29, v16 op_sel_hi:[1,0,1]
	v_pk_fma_f16 v17, v26, v29, v17 op_sel:[0,1,0]
	s_delay_alu instid0(VALU_DEP_4) | instskip(NEXT) | instid1(VALU_DEP_4)
	v_pk_fma_f16 v21, v27, v30, v21 op_sel_hi:[1,0,1]
	v_pk_fma_f16 v2, v27, v30, v2 op_sel:[0,1,0]
	s_delay_alu instid0(VALU_DEP_4) | instskip(NEXT) | instid1(VALU_DEP_4)
	v_pk_fma_f16 v16, v28, v30, v16 op_sel_hi:[1,0,1]
	v_pk_fma_f16 v17, v28, v30, v17 op_sel:[0,1,0]
	ds_load_2addr_b64 v[25:28], v41 offset0:192 offset1:224
	s_waitcnt lgkmcnt(4)
	v_pk_fma_f16 v21, v42, v31, v21 op_sel_hi:[1,0,1]
	v_pk_fma_f16 v2, v42, v31, v2 op_sel:[0,1,0]
	v_pk_fma_f16 v16, v43, v31, v16 op_sel_hi:[1,0,1]
	v_pk_fma_f16 v17, v43, v31, v17 op_sel:[0,1,0]
	s_delay_alu instid0(VALU_DEP_4) | instskip(NEXT) | instid1(VALU_DEP_4)
	v_pk_fma_f16 v21, v44, v32, v21 op_sel_hi:[1,0,1]
	v_pk_fma_f16 v2, v44, v32, v2 op_sel:[0,1,0]
	s_delay_alu instid0(VALU_DEP_4) | instskip(NEXT) | instid1(VALU_DEP_4)
	v_pk_fma_f16 v16, v45, v32, v16 op_sel_hi:[1,0,1]
	v_pk_fma_f16 v17, v45, v32, v17 op_sel:[0,1,0]
	ds_load_b128 v[29:32], v9 offset:11424
	s_waitcnt lgkmcnt(3)
	v_pk_fma_f16 v21, v50, v46, v21 op_sel_hi:[1,0,1]
	v_pk_fma_f16 v2, v50, v46, v2 op_sel:[0,1,0]
	v_pk_fma_f16 v16, v51, v46, v16 op_sel_hi:[1,0,1]
	v_pk_fma_f16 v17, v51, v46, v17 op_sel:[0,1,0]
	ds_load_2addr_b64 v[41:44], v24 offset0:64 offset1:96
	v_pk_fma_f16 v21, v52, v47, v21 op_sel_hi:[1,0,1]
	v_pk_fma_f16 v2, v52, v47, v2 op_sel:[0,1,0]
	v_pk_fma_f16 v16, v53, v47, v16 op_sel_hi:[1,0,1]
	v_pk_fma_f16 v17, v53, v47, v17 op_sel:[0,1,0]
	ds_load_b128 v[50:53], v9 offset:11440
	s_waitcnt lgkmcnt(3)
	v_pk_fma_f16 v21, v25, v48, v21 op_sel_hi:[1,0,1]
	v_pk_fma_f16 v2, v25, v48, v2 op_sel:[0,1,0]
	v_pk_fma_f16 v16, v26, v48, v16 op_sel_hi:[1,0,1]
	v_pk_fma_f16 v17, v26, v48, v17 op_sel:[0,1,0]
	ds_load_2addr_b64 v[45:48], v24 offset0:128 offset1:160
	v_pk_fma_f16 v21, v27, v49, v21 op_sel_hi:[1,0,1]
	v_pk_fma_f16 v2, v27, v49, v2 op_sel:[0,1,0]
	v_pk_fma_f16 v16, v28, v49, v16 op_sel_hi:[1,0,1]
	v_pk_fma_f16 v17, v28, v49, v17 op_sel:[0,1,0]
	ds_load_2addr_b64 v[24:27], v24 offset0:192 offset1:224
	s_waitcnt lgkmcnt(4)
	v_pk_fma_f16 v21, v54, v29, v21 op_sel_hi:[1,0,1]
	v_pk_fma_f16 v2, v54, v29, v2 op_sel:[0,1,0]
	v_pk_fma_f16 v16, v55, v29, v16 op_sel_hi:[1,0,1]
	v_pk_fma_f16 v17, v55, v29, v17 op_sel:[0,1,0]
	s_delay_alu instid0(VALU_DEP_4) | instskip(NEXT) | instid1(VALU_DEP_4)
	v_pk_fma_f16 v21, v56, v30, v21 op_sel_hi:[1,0,1]
	v_pk_fma_f16 v2, v56, v30, v2 op_sel:[0,1,0]
	s_delay_alu instid0(VALU_DEP_4) | instskip(NEXT) | instid1(VALU_DEP_4)
	v_pk_fma_f16 v16, v57, v30, v16 op_sel_hi:[1,0,1]
	v_pk_fma_f16 v17, v57, v30, v17 op_sel:[0,1,0]
	ds_load_2addr_b64 v[54:57], v23 offset0:64 offset1:96
	s_waitcnt lgkmcnt(4)
	v_pk_fma_f16 v21, v41, v31, v21 op_sel_hi:[1,0,1]
	v_pk_fma_f16 v2, v41, v31, v2 op_sel:[0,1,0]
	v_pk_fma_f16 v16, v42, v31, v16 op_sel_hi:[1,0,1]
	v_pk_fma_f16 v17, v42, v31, v17 op_sel:[0,1,0]
	ds_load_2addr_b64 v[28:31], v23 offset1:32
	v_pk_fma_f16 v21, v43, v32, v21 op_sel_hi:[1,0,1]
	v_pk_fma_f16 v2, v43, v32, v2 op_sel:[0,1,0]
	v_pk_fma_f16 v16, v44, v32, v16 op_sel_hi:[1,0,1]
	v_pk_fma_f16 v17, v44, v32, v17 op_sel:[0,1,0]
	ds_load_b128 v[41:44], v9 offset:11456
	s_waitcnt lgkmcnt(4)
	v_pk_fma_f16 v21, v45, v50, v21 op_sel_hi:[1,0,1]
	v_pk_fma_f16 v2, v45, v50, v2 op_sel:[0,1,0]
	v_pk_fma_f16 v16, v46, v50, v16 op_sel_hi:[1,0,1]
	v_pk_fma_f16 v17, v46, v50, v17 op_sel:[0,1,0]
	s_delay_alu instid0(VALU_DEP_4) | instskip(NEXT) | instid1(VALU_DEP_4)
	v_pk_fma_f16 v21, v47, v51, v21 op_sel_hi:[1,0,1]
	v_pk_fma_f16 v2, v47, v51, v2 op_sel:[0,1,0]
	s_delay_alu instid0(VALU_DEP_4) | instskip(NEXT) | instid1(VALU_DEP_4)
	v_pk_fma_f16 v16, v48, v51, v16 op_sel_hi:[1,0,1]
	v_pk_fma_f16 v17, v48, v51, v17 op_sel:[0,1,0]
	ds_load_2addr_b64 v[45:48], v23 offset0:128 offset1:160
	s_waitcnt lgkmcnt(4)
	v_pk_fma_f16 v21, v24, v52, v21 op_sel_hi:[1,0,1]
	v_pk_fma_f16 v2, v24, v52, v2 op_sel:[0,1,0]
	v_pk_fma_f16 v16, v25, v52, v16 op_sel_hi:[1,0,1]
	v_pk_fma_f16 v17, v25, v52, v17 op_sel:[0,1,0]
	ds_load_b128 v[49:52], v9 offset:11472
	v_pk_fma_f16 v21, v26, v53, v21 op_sel_hi:[1,0,1]
	v_pk_fma_f16 v2, v26, v53, v2 op_sel:[0,1,0]
	v_pk_fma_f16 v16, v27, v53, v16 op_sel_hi:[1,0,1]
	v_pk_fma_f16 v17, v27, v53, v17 op_sel:[0,1,0]
	s_waitcnt lgkmcnt(2)
	v_pk_fma_f16 v21, v28, v41, v21 op_sel_hi:[1,0,1]
	v_pk_fma_f16 v2, v28, v41, v2 op_sel:[0,1,0]
	v_pk_fma_f16 v16, v29, v41, v16 op_sel_hi:[1,0,1]
	v_pk_fma_f16 v17, v29, v41, v17 op_sel:[0,1,0]
	s_delay_alu instid0(VALU_DEP_4) | instskip(NEXT) | instid1(VALU_DEP_4)
	v_pk_fma_f16 v21, v30, v42, v21 op_sel_hi:[1,0,1]
	v_pk_fma_f16 v2, v30, v42, v2 op_sel:[0,1,0]
	s_delay_alu instid0(VALU_DEP_4) | instskip(NEXT) | instid1(VALU_DEP_4)
	v_pk_fma_f16 v16, v31, v42, v16 op_sel_hi:[1,0,1]
	v_pk_fma_f16 v17, v31, v42, v17 op_sel:[0,1,0]
	s_delay_alu instid0(VALU_DEP_4)
	v_pk_fma_f16 v25, v54, v43, v21 op_sel_hi:[1,0,1]
	ds_load_2addr_b64 v[21:24], v23 offset0:192 offset1:224
	v_pk_fma_f16 v2, v54, v43, v2 op_sel:[0,1,0]
	v_pk_fma_f16 v16, v55, v43, v16 op_sel_hi:[1,0,1]
	v_pk_fma_f16 v17, v55, v43, v17 op_sel:[0,1,0]
	v_pk_fma_f16 v29, v56, v44, v25 op_sel_hi:[1,0,1]
	ds_load_2addr_b64 v[25:28], v20 offset1:32
	v_pk_fma_f16 v2, v56, v44, v2 op_sel:[0,1,0]
	v_pk_fma_f16 v16, v57, v44, v16 op_sel_hi:[1,0,1]
	v_pk_fma_f16 v17, v57, v44, v17 op_sel:[0,1,0]
	s_waitcnt lgkmcnt(2)
	v_pk_fma_f16 v33, v45, v49, v29 op_sel_hi:[1,0,1]
	ds_load_b128 v[29:32], v9 offset:11488
	v_pk_fma_f16 v2, v45, v49, v2 op_sel:[0,1,0]
	v_pk_fma_f16 v16, v46, v49, v16 op_sel_hi:[1,0,1]
	v_pk_fma_f16 v17, v46, v49, v17 op_sel:[0,1,0]
	v_pk_fma_f16 v33, v47, v50, v33 op_sel_hi:[1,0,1]
	v_add_f32_e32 v45, v18, v19
	v_pk_fma_f16 v2, v47, v50, v2 op_sel:[0,1,0]
	v_pk_fma_f16 v41, v48, v50, v16 op_sel_hi:[1,0,1]
	v_pk_fma_f16 v42, v48, v50, v17 op_sel:[0,1,0]
	ds_load_2addr_b64 v[16:19], v20 offset0:64 offset1:96
	s_waitcnt lgkmcnt(3)
	v_pk_fma_f16 v33, v21, v51, v33 op_sel_hi:[1,0,1]
	v_pk_fma_f16 v2, v21, v51, v2 op_sel:[0,1,0]
	v_pk_fma_f16 v21, v22, v51, v41 op_sel_hi:[1,0,1]
	v_pk_fma_f16 v22, v22, v51, v42 op_sel:[0,1,0]
	ds_load_2addr_b64 v[41:44], v20 offset0:128 offset1:160
	v_pk_fma_f16 v33, v23, v52, v33 op_sel_hi:[1,0,1]
	v_pk_fma_f16 v2, v23, v52, v2 op_sel:[0,1,0]
	v_pk_fma_f16 v46, v24, v52, v21 op_sel_hi:[1,0,1]
	v_pk_fma_f16 v47, v24, v52, v22 op_sel:[0,1,0]
	ds_load_b128 v[21:24], v9 offset:11504
	s_waitcnt lgkmcnt(3)
	v_pk_fma_f16 v9, v25, v29, v33 op_sel_hi:[1,0,1]
	v_pk_fma_f16 v2, v25, v29, v2 op_sel:[0,1,0]
	v_pk_fma_f16 v25, v26, v29, v46 op_sel_hi:[1,0,1]
	v_pk_fma_f16 v26, v26, v29, v47 op_sel:[0,1,0]
	v_fmac_f32_e32 v45, v5, v1
	v_pk_fma_f16 v1, v27, v30, v9 op_sel_hi:[1,0,1]
	v_pk_fma_f16 v2, v27, v30, v2 op_sel:[0,1,0]
	v_pk_fma_f16 v5, v28, v30, v25 op_sel_hi:[1,0,1]
	v_pk_fma_f16 v9, v28, v30, v26 op_sel:[0,1,0]
	ds_load_2addr_b64 v[25:28], v20 offset0:192 offset1:224
	s_waitcnt lgkmcnt(3)
	v_pk_fma_f16 v1, v16, v31, v1 op_sel_hi:[1,0,1]
	v_pk_fma_f16 v2, v16, v31, v2 op_sel:[0,1,0]
	v_pk_fma_f16 v16, v17, v31, v5 op_sel_hi:[1,0,1]
	v_pk_fma_f16 v9, v17, v31, v9 op_sel:[0,1,0]
	v_mov_b32_e32 v5, v45
	v_pk_fma_f16 v1, v18, v32, v1 op_sel_hi:[1,0,1]
	v_pk_fma_f16 v2, v18, v32, v2 op_sel:[0,1,0]
	v_pk_fma_f16 v18, v19, v32, v16 op_sel_hi:[1,0,1]
	v_pk_fma_f16 v9, v19, v32, v9 op_sel:[0,1,0]
	v_dual_mov_b32 v17, v4 :: v_dual_mov_b32 v16, v3
	s_waitcnt lgkmcnt(1)
	v_pk_fma_f16 v1, v41, v21, v1 op_sel_hi:[1,0,1]
	v_pk_fma_f16 v2, v41, v21, v2 op_sel:[0,1,0]
	v_pk_fma_f16 v3, v42, v21, v18 op_sel_hi:[1,0,1]
	v_pk_fma_f16 v4, v42, v21, v9 op_sel:[0,1,0]
	s_waitcnt lgkmcnt(0)
	v_pk_fma_f16 v1, v43, v22, v1 op_sel_hi:[1,0,1]
	v_pk_fma_f16 v2, v43, v22, v2 op_sel:[0,1,0]
	v_pk_fma_f16 v3, v44, v22, v3 op_sel_hi:[1,0,1]
	v_pk_fma_f16 v4, v44, v22, v4 op_sel:[0,1,0]
	s_barrier
	v_pk_fma_f16 v0, v25, v23, v1 op_sel_hi:[1,0,1]
	v_pk_fma_f16 v1, v25, v23, v2 op_sel:[0,1,0]
	v_pk_fma_f16 v2, v26, v23, v3 op_sel_hi:[1,0,1]
	v_pk_fma_f16 v3, v26, v23, v4 op_sel:[0,1,0]
	buffer_gl0_inv
	v_pk_fma_f16 v44, v27, v24, v0 op_sel_hi:[1,0,1]
	v_pk_fma_f16 v43, v27, v24, v1 op_sel:[0,1,0]
	v_pk_fma_f16 v45, v28, v24, v2 op_sel_hi:[1,0,1]
	v_pk_fma_f16 v42, v28, v24, v3 op_sel:[0,1,0]
	v_mov_b32_e32 v0, v40
.LBB62_43:
	v_cmp_lt_i32_e32 vcc_lo, v11, v15
	s_cmp_eq_u64 s[24:25], 0
	s_cselect_b32 s2, -1, 0
	s_cmp_lg_u32 s14, 0
	v_cndmask_b32_e32 v1, v0, v11, vcc_lo
	v_cmp_lt_i32_e32 vcc_lo, v10, v15
	s_cselect_b32 s3, -1, 0
	s_delay_alu instid0(SALU_CYCLE_1) | instskip(NEXT) | instid1(VALU_DEP_2)
	s_or_b32 s2, s3, s2
	v_lshlrev_b32_e32 v1, 2, v1
	v_cndmask_b32_e32 v3, v0, v10, vcc_lo
	v_cmp_lt_i32_e32 vcc_lo, v12, v15
	ds_bpermute_b32 v2, v1, v5
	s_waitcnt lgkmcnt(0)
	v_dual_add_f32 v2, v5, v2 :: v_dual_lshlrev_b32 v3, 2, v3
	ds_bpermute_b32 v4, v3, v2
	s_waitcnt lgkmcnt(0)
	v_add_f32_e32 v2, v2, v4
	ds_bpermute_b32 v1, v1, v6
	v_cndmask_b32_e32 v5, v0, v12, vcc_lo
	v_cmp_lt_i32_e32 vcc_lo, v13, v15
	s_delay_alu instid0(VALU_DEP_2)
	v_lshlrev_b32_e32 v5, 2, v5
	s_waitcnt lgkmcnt(0)
	v_add_f32_e32 v1, v6, v1
	ds_bpermute_b32 v3, v3, v1
	s_waitcnt lgkmcnt(0)
	v_add_f32_e32 v1, v1, v3
	ds_bpermute_b32 v3, v5, v2
	ds_bpermute_b32 v4, v5, v1
	v_cndmask_b32_e32 v5, v0, v13, vcc_lo
	v_cmp_lt_i32_e32 vcc_lo, v14, v15
	s_delay_alu instid0(VALU_DEP_2) | instskip(SKIP_1) | instid1(VALU_DEP_1)
	v_dual_cndmask_b32 v0, v0, v14 :: v_dual_lshlrev_b32 v5, 2, v5
	s_and_b32 vcc_lo, exec_lo, s2
	v_lshlrev_b32_e32 v0, 2, v0
	s_waitcnt lgkmcnt(0)
	v_dual_add_f32 v2, v2, v3 :: v_dual_add_f32 v1, v1, v4
	ds_bpermute_b32 v3, v5, v2
	ds_bpermute_b32 v4, v5, v1
	s_waitcnt lgkmcnt(0)
	v_dual_add_f32 v2, v2, v3 :: v_dual_add_f32 v1, v1, v4
	ds_bpermute_b32 v3, v0, v2
	ds_bpermute_b32 v4, v0, v1
	s_waitcnt lgkmcnt(0)
	v_dual_add_f32 v0, v2, v3 :: v_dual_add_f32 v1, v1, v4
	s_cbranch_vccnz .LBB62_46
; %bb.44:
	s_lshl_b64 s[2:3], s[34:35], 2
	v_dual_mov_b32 v2, 0 :: v_dual_max_f32 v3, v16, v16
	s_add_u32 s2, s24, s2
	s_addc_u32 s3, s25, s3
	v_max_f32_e32 v6, v17, v17
	global_load_b32 v2, v2, s[2:3]
	s_waitcnt vmcnt(0)
	v_max_f32_e32 v5, v2, v2
	s_delay_alu instid0(VALU_DEP_1) | instskip(SKIP_1) | instid1(VALU_DEP_2)
	v_max_f32_e32 v4, v3, v5
	v_max_f32_e32 v5, v6, v5
	v_sub_f32_e32 v6, v2, v4
	s_delay_alu instid0(VALU_DEP_1) | instskip(SKIP_1) | instid1(VALU_DEP_2)
	v_dual_sub_f32 v8, v2, v5 :: v_dual_mul_f32 v9, 0x3fb8aa3b, v6
	v_sub_f32_e32 v3, v16, v4
	v_mul_f32_e32 v11, 0x3fb8aa3b, v8
	s_delay_alu instid0(VALU_DEP_3) | instskip(NEXT) | instid1(VALU_DEP_3)
	v_rndne_f32_e32 v15, v9
	v_dual_mul_f32 v2, 0x3fb8aa3b, v3 :: v_dual_sub_f32 v7, v17, v5
	v_fma_f32 v14, 0x3fb8aa3b, v6, -v9
	v_cmp_ngt_f32_e32 vcc_lo, 0xc2ce8ed0, v3
	v_rndne_f32_e32 v19, v11
	s_delay_alu instid0(VALU_DEP_4)
	v_fma_f32 v12, 0x3fb8aa3b, v3, -v2
	v_mul_f32_e32 v10, 0x3fb8aa3b, v7
	v_rndne_f32_e32 v13, v2
	v_fma_f32 v18, 0x3fb8aa3b, v8, -v11
	v_dual_fmac_f32 v14, 0x32a5705f, v6 :: v_dual_sub_f32 v11, v11, v19
	v_sub_f32_e32 v9, v9, v15
	v_fmac_f32_e32 v12, 0x32a5705f, v3
	v_sub_f32_e32 v2, v2, v13
	v_fma_f32 v16, 0x3fb8aa3b, v7, -v10
	v_rndne_f32_e32 v17, v10
	s_delay_alu instid0(VALU_DEP_3) | instskip(SKIP_2) | instid1(VALU_DEP_3)
	v_dual_add_f32 v9, v9, v14 :: v_dual_add_f32 v2, v2, v12
	v_cvt_i32_f32_e32 v12, v13
	v_cvt_i32_f32_e32 v13, v15
	v_exp_f32_e32 v9, v9
	v_cvt_i32_f32_e32 v15, v19
	v_exp_f32_e32 v2, v2
	v_cvt_i32_f32_e32 v14, v17
	s_waitcnt_depctr 0xfff
	v_ldexp_f32 v9, v9, v13
	v_ldexp_f32 v2, v2, v12
	s_delay_alu instid0(VALU_DEP_1) | instskip(SKIP_1) | instid1(VALU_DEP_4)
	v_cndmask_b32_e32 v2, 0, v2, vcc_lo
	v_cmp_ngt_f32_e32 vcc_lo, 0xc2ce8ed0, v6
	v_dual_fmac_f32 v18, 0x32a5705f, v8 :: v_dual_cndmask_b32 v9, 0, v9
	s_delay_alu instid0(VALU_DEP_1) | instskip(SKIP_1) | instid1(VALU_DEP_2)
	v_dual_fmac_f32 v16, 0x32a5705f, v7 :: v_dual_add_f32 v11, v11, v18
	v_cmp_ngt_f32_e32 vcc_lo, 0xc2ce8ed0, v7
	v_exp_f32_e32 v11, v11
	s_waitcnt_depctr 0xfff
	v_ldexp_f32 v11, v11, v15
	v_sub_f32_e32 v10, v10, v17
	s_delay_alu instid0(VALU_DEP_1) | instskip(SKIP_1) | instid1(VALU_DEP_2)
	v_dual_add_f32 v10, v10, v16 :: v_dual_mov_b32 v17, v5
	v_mov_b32_e32 v16, v4
	v_exp_f32_e32 v10, v10
	s_waitcnt_depctr 0xfff
	v_ldexp_f32 v10, v10, v14
	s_delay_alu instid0(VALU_DEP_1)
	v_cndmask_b32_e32 v10, 0, v10, vcc_lo
	v_cmp_ngt_f32_e32 vcc_lo, 0xc2ce8ed0, v8
	v_cndmask_b32_e32 v11, 0, v11, vcc_lo
	v_cmp_nlt_f32_e32 vcc_lo, 0x42b17218, v3
	v_cndmask_b32_e32 v12, 0x7f800000, v2, vcc_lo
	v_cmp_nlt_f32_e32 vcc_lo, 0x42b17218, v6
	;; [unrolled: 2-line block ×3, first 2 shown]
	s_delay_alu instid0(VALU_DEP_4) | instskip(NEXT) | instid1(VALU_DEP_3)
	v_cvt_f16_f32_e32 v7, v12
	v_fmac_f32_e32 v2, v0, v12
	v_cndmask_b32_e32 v6, 0x7f800000, v10, vcc_lo
	v_cmp_nlt_f32_e32 vcc_lo, 0x42b17218, v8
	s_delay_alu instid0(VALU_DEP_4) | instskip(SKIP_1) | instid1(VALU_DEP_4)
	v_pk_mul_f16 v44, v7, v44 op_sel_hi:[0,1]
	v_pk_mul_f16 v45, v7, v45 op_sel_hi:[0,1]
	v_cvt_f16_f32_e32 v8, v6
	v_cndmask_b32_e32 v3, 0x7f800000, v11, vcc_lo
	s_delay_alu instid0(VALU_DEP_2) | instskip(NEXT) | instid1(VALU_DEP_2)
	v_pk_mul_f16 v43, v8, v43 op_sel_hi:[0,1]
	v_fmac_f32_e32 v3, v1, v6
	v_mov_b32_e32 v0, v2
	v_pk_mul_f16 v42, v8, v42 op_sel_hi:[0,1]
	s_delay_alu instid0(VALU_DEP_3)
	v_mov_b32_e32 v1, v3
	s_mov_b32 s2, exec_lo
	v_cmpx_gt_i32_e64 s10, v39
	s_cbranch_execnz .LBB62_47
.LBB62_45:
	s_nop 0
	s_sendmsg sendmsg(MSG_DEALLOC_VGPRS)
	s_endpgm
.LBB62_46:
	s_delay_alu instid0(VALU_DEP_1)
	v_dual_mov_b32 v2, v0 :: v_dual_mov_b32 v3, v1
	s_mov_b32 s2, exec_lo
	v_cmpx_gt_i32_e64 s10, v39
	s_cbranch_execz .LBB62_45
.LBB62_47:
	s_load_b32 s1, s[0:1], 0xd4
	v_mov_b32_e32 v6, 1.0
	s_waitcnt lgkmcnt(0)
	s_cmp_lg_u32 s1, 1
	s_cselect_b32 s4, -1, 0
	s_cmp_eq_u32 s1, 1
	s_cselect_b32 s2, -1, 0
	s_and_b32 vcc_lo, exec_lo, s4
	s_cbranch_vccnz .LBB62_49
; %bb.48:
	v_div_scale_f32 v4, null, v2, v2, 1.0
	s_delay_alu instid0(VALU_DEP_1) | instskip(SKIP_2) | instid1(VALU_DEP_1)
	v_rcp_f32_e32 v5, v4
	s_waitcnt_depctr 0xfff
	v_fma_f32 v6, -v4, v5, 1.0
	v_fmac_f32_e32 v5, v6, v5
	v_div_scale_f32 v6, vcc_lo, 1.0, v2, 1.0
	s_delay_alu instid0(VALU_DEP_1) | instskip(NEXT) | instid1(VALU_DEP_1)
	v_mul_f32_e32 v7, v6, v5
	v_fma_f32 v8, -v4, v7, v6
	s_delay_alu instid0(VALU_DEP_1) | instskip(NEXT) | instid1(VALU_DEP_1)
	v_fmac_f32_e32 v7, v8, v5
	v_fma_f32 v4, -v4, v7, v6
	s_delay_alu instid0(VALU_DEP_1) | instskip(NEXT) | instid1(VALU_DEP_1)
	v_div_fmas_f32 v4, v4, v5, v7
	v_div_fixup_f32 v6, v4, v2, 1.0
.LBB62_49:
	s_mul_i32 s3, s33, s10
	v_cvt_f32_f16_e32 v9, v44
	s_add_i32 s3, s3, s15
	v_cvt_f32_f16_e32 v10, v45
	v_add_nc_u32_e32 v2, s3, v36
	v_cmp_eq_u32_e32 vcc_lo, 0, v38
	s_delay_alu instid0(VALU_DEP_2) | instskip(SKIP_2) | instid1(VALU_DEP_1)
	v_mad_u64_u32 v[7:8], null, v2, s11, s[34:35]
	v_mov_b32_e32 v8, 0
	v_lshrrev_b32_e32 v2, 16, v44
	v_cvt_f32_f16_e32 v2, v2
	s_delay_alu instid0(VALU_DEP_4) | instskip(SKIP_1) | instid1(VALU_DEP_1)
	v_mad_u64_u32 v[4:5], null, s1, v7, s[14:15]
	v_lshrrev_b32_e32 v5, 16, v45
	v_cvt_f32_f16_e32 v5, v5
	s_delay_alu instid0(VALU_DEP_3) | instskip(NEXT) | instid1(VALU_DEP_1)
	v_lshl_add_u32 v7, v4, 7, v37
	v_lshlrev_b64 v[11:12], 2, v[7:8]
	v_mul_f32_e32 v7, v6, v9
	v_mul_f32_e32 v9, v6, v10
	;; [unrolled: 1-line block ×4, first 2 shown]
	v_add_co_u32 v5, s0, s28, v11
	s_delay_alu instid0(VALU_DEP_1)
	v_add_co_ci_u32_e64 v6, s0, s29, v12, s0
	s_and_b32 s0, vcc_lo, s4
	global_store_b128 v[5:6], v[7:10], off
	s_and_saveexec_b32 s4, s0
	s_cbranch_execz .LBB62_51
; %bb.50:
	v_ashrrev_i32_e32 v5, 31, v4
	v_mov_b32_e32 v6, v16
	v_mov_b32_e32 v7, v0
	s_delay_alu instid0(VALU_DEP_3) | instskip(NEXT) | instid1(VALU_DEP_1)
	v_lshlrev_b64 v[4:5], 3, v[4:5]
	v_add_co_u32 v4, vcc_lo, s30, v4
	s_delay_alu instid0(VALU_DEP_2)
	v_add_co_ci_u32_e32 v5, vcc_lo, s31, v5, vcc_lo
	global_store_b64 v[4:5], v[6:7], off
.LBB62_51:
	s_or_b32 exec_lo, exec_lo, s4
	v_cmp_gt_i32_e32 vcc_lo, s10, v35
	s_and_b32 exec_lo, exec_lo, vcc_lo
	s_cbranch_execz .LBB62_45
; %bb.52:
	v_mov_b32_e32 v0, 1.0
	s_and_not1_b32 vcc_lo, exec_lo, s2
	s_cbranch_vccnz .LBB62_54
; %bb.53:
	v_div_scale_f32 v0, null, v3, v3, 1.0
	s_delay_alu instid0(VALU_DEP_1) | instskip(SKIP_2) | instid1(VALU_DEP_1)
	v_rcp_f32_e32 v2, v0
	s_waitcnt_depctr 0xfff
	v_fma_f32 v4, -v0, v2, 1.0
	v_fmac_f32_e32 v2, v4, v2
	v_div_scale_f32 v4, vcc_lo, 1.0, v3, 1.0
	s_delay_alu instid0(VALU_DEP_1) | instskip(NEXT) | instid1(VALU_DEP_1)
	v_mul_f32_e32 v5, v4, v2
	v_fma_f32 v6, -v0, v5, v4
	s_delay_alu instid0(VALU_DEP_1) | instskip(NEXT) | instid1(VALU_DEP_1)
	v_fmac_f32_e32 v5, v6, v2
	v_fma_f32 v0, -v0, v5, v4
	s_delay_alu instid0(VALU_DEP_1) | instskip(NEXT) | instid1(VALU_DEP_1)
	v_div_fmas_f32 v0, v0, v2, v5
	v_div_fixup_f32 v0, v0, v3, 1.0
.LBB62_54:
	v_cvt_f32_f16_e32 v9, v43
	v_add_nc_u32_e32 v2, s3, v34
	v_cvt_f32_f16_e32 v10, v42
	v_lshrrev_b32_e32 v6, 16, v42
	s_delay_alu instid0(VALU_DEP_3) | instskip(SKIP_1) | instid1(VALU_DEP_3)
	v_mad_u64_u32 v[4:5], null, v2, s11, s[34:35]
	v_lshrrev_b32_e32 v5, 16, v43
	v_cvt_f32_f16_e32 v6, v6
	s_delay_alu instid0(VALU_DEP_2) | instskip(NEXT) | instid1(VALU_DEP_4)
	v_cvt_f32_f16_e32 v11, v5
	v_mad_u64_u32 v[2:3], null, s1, v4, s[14:15]
	v_dual_mov_b32 v4, 0 :: v_dual_mul_f32 v5, v0, v10
	s_delay_alu instid0(VALU_DEP_4) | instskip(NEXT) | instid1(VALU_DEP_3)
	v_mul_f32_e32 v6, v0, v6
	v_lshl_add_u32 v3, v2, 7, v37
	s_delay_alu instid0(VALU_DEP_1) | instskip(SKIP_2) | instid1(VALU_DEP_3)
	v_lshlrev_b64 v[7:8], 2, v[3:4]
	v_mul_f32_e32 v3, v0, v9
	v_mul_f32_e32 v4, v0, v11
	v_add_co_u32 v7, vcc_lo, s28, v7
	s_delay_alu instid0(VALU_DEP_4)
	v_add_co_ci_u32_e32 v8, vcc_lo, s29, v8, vcc_lo
	global_store_b128 v[7:8], v[3:6], off
	s_and_b32 exec_lo, exec_lo, s0
	s_cbranch_execz .LBB62_45
; %bb.55:
	v_ashrrev_i32_e32 v3, 31, v2
	v_mov_b32_e32 v0, v17
	s_delay_alu instid0(VALU_DEP_2) | instskip(NEXT) | instid1(VALU_DEP_1)
	v_lshlrev_b64 v[2:3], 3, v[2:3]
	v_add_co_u32 v2, vcc_lo, s30, v2
	s_delay_alu instid0(VALU_DEP_2)
	v_add_co_ci_u32_e32 v3, vcc_lo, s31, v3, vcc_lo
	global_store_b64 v[2:3], v[0:1], off
	s_nop 0
	s_sendmsg sendmsg(MSG_DEALLOC_VGPRS)
	s_endpgm
	.section	.rodata,"a",@progbits
	.p2align	6, 0x0
	.amdhsa_kernel _ZL15flash_attn_tileILi128ELi128ELi8ELi1ELb0EEvPKcS1_S1_S1_S1_PKiPfP15HIP_vector_typeIfLj2EEffffjfiS5_IjLj3EEiiiiiiiiiiiliiliiiiil
		.amdhsa_group_segment_fixed_size 12288
		.amdhsa_private_segment_fixed_size 32
		.amdhsa_kernarg_size 464
		.amdhsa_user_sgpr_count 13
		.amdhsa_user_sgpr_dispatch_ptr 0
		.amdhsa_user_sgpr_queue_ptr 0
		.amdhsa_user_sgpr_kernarg_segment_ptr 1
		.amdhsa_user_sgpr_dispatch_id 0
		.amdhsa_user_sgpr_private_segment_size 0
		.amdhsa_wavefront_size32 1
		.amdhsa_uses_dynamic_stack 0
		.amdhsa_enable_private_segment 1
		.amdhsa_system_sgpr_workgroup_id_x 1
		.amdhsa_system_sgpr_workgroup_id_y 1
		.amdhsa_system_sgpr_workgroup_id_z 1
		.amdhsa_system_sgpr_workgroup_info 0
		.amdhsa_system_vgpr_workitem_id 1
		.amdhsa_next_free_vgpr 183
		.amdhsa_next_free_sgpr 47
		.amdhsa_reserve_vcc 1
		.amdhsa_float_round_mode_32 0
		.amdhsa_float_round_mode_16_64 0
		.amdhsa_float_denorm_mode_32 3
		.amdhsa_float_denorm_mode_16_64 3
		.amdhsa_dx10_clamp 1
		.amdhsa_ieee_mode 1
		.amdhsa_fp16_overflow 0
		.amdhsa_workgroup_processor_mode 1
		.amdhsa_memory_ordered 1
		.amdhsa_forward_progress 0
		.amdhsa_shared_vgpr_count 0
		.amdhsa_exception_fp_ieee_invalid_op 0
		.amdhsa_exception_fp_denorm_src 0
		.amdhsa_exception_fp_ieee_div_zero 0
		.amdhsa_exception_fp_ieee_overflow 0
		.amdhsa_exception_fp_ieee_underflow 0
		.amdhsa_exception_fp_ieee_inexact 0
		.amdhsa_exception_int_div_zero 0
	.end_amdhsa_kernel
	.section	.text._ZL15flash_attn_tileILi128ELi128ELi8ELi1ELb0EEvPKcS1_S1_S1_S1_PKiPfP15HIP_vector_typeIfLj2EEffffjfiS5_IjLj3EEiiiiiiiiiiiliiliiiiil,"axG",@progbits,_ZL15flash_attn_tileILi128ELi128ELi8ELi1ELb0EEvPKcS1_S1_S1_S1_PKiPfP15HIP_vector_typeIfLj2EEffffjfiS5_IjLj3EEiiiiiiiiiiiliiliiiiil,comdat
.Lfunc_end62:
	.size	_ZL15flash_attn_tileILi128ELi128ELi8ELi1ELb0EEvPKcS1_S1_S1_S1_PKiPfP15HIP_vector_typeIfLj2EEffffjfiS5_IjLj3EEiiiiiiiiiiiliiliiiiil, .Lfunc_end62-_ZL15flash_attn_tileILi128ELi128ELi8ELi1ELb0EEvPKcS1_S1_S1_S1_PKiPfP15HIP_vector_typeIfLj2EEffffjfiS5_IjLj3EEiiiiiiiiiiiliiliiiiil
                                        ; -- End function
	.section	.AMDGPU.csdata,"",@progbits
; Kernel info:
; codeLenInByte = 27716
; NumSgprs: 49
; NumVgprs: 183
; ScratchSize: 32
; MemoryBound: 0
; FloatMode: 240
; IeeeMode: 1
; LDSByteSize: 12288 bytes/workgroup (compile time only)
; SGPRBlocks: 6
; VGPRBlocks: 22
; NumSGPRsForWavesPerEU: 49
; NumVGPRsForWavesPerEU: 183
; Occupancy: 8
; WaveLimiterHint : 1
; COMPUTE_PGM_RSRC2:SCRATCH_EN: 1
; COMPUTE_PGM_RSRC2:USER_SGPR: 13
; COMPUTE_PGM_RSRC2:TRAP_HANDLER: 0
; COMPUTE_PGM_RSRC2:TGID_X_EN: 1
; COMPUTE_PGM_RSRC2:TGID_Y_EN: 1
; COMPUTE_PGM_RSRC2:TGID_Z_EN: 1
; COMPUTE_PGM_RSRC2:TIDIG_COMP_CNT: 1
	.section	.text._ZL33flash_attn_stream_k_fixup_uniformILi128ELi8ELi1EEvPfPK15HIP_vector_typeIfLj2EEiiiiiiS1_IjLj3EES5_S5_,"axG",@progbits,_ZL33flash_attn_stream_k_fixup_uniformILi128ELi8ELi1EEvPfPK15HIP_vector_typeIfLj2EEiiiiiiS1_IjLj3EES5_S5_,comdat
	.globl	_ZL33flash_attn_stream_k_fixup_uniformILi128ELi8ELi1EEvPfPK15HIP_vector_typeIfLj2EEiiiiiiS1_IjLj3EES5_S5_ ; -- Begin function _ZL33flash_attn_stream_k_fixup_uniformILi128ELi8ELi1EEvPfPK15HIP_vector_typeIfLj2EEiiiiiiS1_IjLj3EES5_S5_
	.p2align	8
	.type	_ZL33flash_attn_stream_k_fixup_uniformILi128ELi8ELi1EEvPfPK15HIP_vector_typeIfLj2EEiiiiiiS1_IjLj3EES5_S5_,@function
_ZL33flash_attn_stream_k_fixup_uniformILi128ELi8ELi1EEvPfPK15HIP_vector_typeIfLj2EEiiiiiiS1_IjLj3EES5_S5_: ; @_ZL33flash_attn_stream_k_fixup_uniformILi128ELi8ELi1EEvPfPK15HIP_vector_typeIfLj2EEiiiiiiS1_IjLj3EES5_S5_
; %bb.0:
	s_clause 0x1
	s_load_b256 s[4:11], s[0:1], 0x1c
	s_load_b128 s[16:19], s[0:1], 0x3c
	s_waitcnt lgkmcnt(0)
	s_mul_hi_u32 s2, s7, s13
	s_delay_alu instid0(SALU_CYCLE_1) | instskip(NEXT) | instid1(SALU_CYCLE_1)
	s_add_i32 s2, s13, s2
	s_lshr_b32 s2, s2, s8
	s_delay_alu instid0(SALU_CYCLE_1) | instskip(SKIP_2) | instid1(SALU_CYCLE_1)
	s_mul_i32 s3, s2, s9
	s_load_b64 s[8:9], s[0:1], 0x10
	s_sub_i32 s7, s13, s3
	s_mul_hi_u32 s3, s7, s10
	s_delay_alu instid0(SALU_CYCLE_1) | instskip(NEXT) | instid1(SALU_CYCLE_1)
	s_add_i32 s3, s7, s3
	s_lshr_b32 s3, s3, s11
	s_delay_alu instid0(SALU_CYCLE_1) | instskip(NEXT) | instid1(SALU_CYCLE_1)
	s_mul_i32 s10, s3, s16
	s_sub_i32 s10, s7, s10
	s_delay_alu instid0(SALU_CYCLE_1) | instskip(NEXT) | instid1(SALU_CYCLE_1)
	s_mul_hi_u32 s7, s10, s17
	s_add_i32 s7, s10, s7
	s_delay_alu instid0(SALU_CYCLE_1) | instskip(NEXT) | instid1(SALU_CYCLE_1)
	s_lshr_b32 s7, s7, s18
	s_mul_i32 s11, s7, s19
	s_delay_alu instid0(SALU_CYCLE_1) | instskip(NEXT) | instid1(SALU_CYCLE_1)
	s_sub_i32 s10, s10, s11
	s_lshl_b32 s11, s10, 3
	s_delay_alu instid0(SALU_CYCLE_1) | instskip(SKIP_4) | instid1(SALU_CYCLE_1)
	s_add_i32 s11, s11, s14
	s_waitcnt lgkmcnt(0)
	s_cmp_lt_i32 s11, s8
	s_cselect_b32 s11, -1, 0
	s_add_i32 s12, s7, s15
	s_cmp_lt_i32 s12, s5
	s_cselect_b32 s12, -1, 0
	s_delay_alu instid0(SALU_CYCLE_1) | instskip(NEXT) | instid1(SALU_CYCLE_1)
	s_and_b32 s11, s11, s12
	s_and_not1_b32 vcc_lo, exec_lo, s11
	s_cbranch_vccnz .LBB63_6
; %bb.1:
	s_mul_i32 s2, s2, s8
	s_mul_i32 s5, s3, s5
	s_add_i32 s2, s2, s14
	s_delay_alu instid0(SALU_CYCLE_1) | instskip(NEXT) | instid1(SALU_CYCLE_1)
	s_mul_i32 s2, s2, s9
	s_add_i32 s8, s2, s15
	s_load_b128 s[0:3], s[0:1], 0x0
	s_add_i32 s5, s8, s5
	s_mul_i32 s8, s9, s10
	s_add_i32 s5, s5, s7
	s_lshl_b32 s7, s8, 10
	s_lshl_b32 s5, s5, 7
	s_add_i32 s10, s14, s15
	s_add_i32 s7, s7, s5
	s_mul_i32 s5, s13, s6
	v_or_b32_e32 v1, s7, v0
	s_add_i32 s9, s5, s6
	s_delay_alu instid0(VALU_DEP_1) | instskip(NEXT) | instid1(VALU_DEP_1)
	v_ashrrev_i32_e32 v2, 31, v1
	v_lshlrev_b64 v[1:2], 2, v[1:2]
	s_waitcnt lgkmcnt(0)
	s_delay_alu instid0(VALU_DEP_1) | instskip(NEXT) | instid1(VALU_DEP_2)
	v_add_co_u32 v1, vcc_lo, s0, v1
	v_add_co_ci_u32_e32 v2, vcc_lo, s1, v2, vcc_lo
	s_lshl_b32 s0, s9, 3
	s_delay_alu instid0(SALU_CYCLE_1) | instskip(SKIP_2) | instid1(SALU_CYCLE_1)
	s_add_i32 s0, s10, s0
	global_load_b32 v5, v[1:2], off
	s_add_i32 s0, s0, -8
	s_ashr_i32 s1, s0, 31
	s_delay_alu instid0(SALU_CYCLE_1) | instskip(NEXT) | instid1(SALU_CYCLE_1)
	s_lshl_b64 s[0:1], s[0:1], 3
	s_add_u32 s0, s2, s0
	s_addc_u32 s1, s3, s1
	s_add_i32 s7, s9, -2
	s_load_b32 s11, s[0:1], 0x4
	s_cmp_lt_i32 s7, s5
	s_cbranch_scc1 .LBB63_4
; %bb.2:
	s_lshl_b32 s14, s4, 5
	s_load_b32 s12, s[0:1], 0x0
	s_ashr_i32 s15, s14, 31
	s_delay_alu instid0(SALU_CYCLE_1) | instskip(NEXT) | instid1(SALU_CYCLE_1)
	s_lshl_b64 s[0:1], s[14:15], 2
	s_add_u32 s7, s2, s0
	s_addc_u32 s8, s3, s1
	s_add_i32 s13, s13, 1
	s_lshl_b32 s1, s10, 7
	s_mul_i32 s0, s6, s13
	s_delay_alu instid0(SALU_CYCLE_1)
	s_lshl_b32 s6, s0, 10
	s_lshl_b32 s0, s0, 3
	s_add_i32 s1, s1, s6
	s_add_i32 s0, s10, s0
	v_or_b32_e32 v0, s1, v0
	s_lshl_b32 s1, s4, 3
	s_waitcnt lgkmcnt(0)
	v_mov_b32_e32 v6, s11
	s_add_i32 s0, s0, s1
	s_add_i32 s4, s9, -1
	v_dual_mov_b32 v0, s12 :: v_dual_add_nc_u32 v3, 0xfffff800, v0
	s_add_i32 s0, s0, -16
.LBB63_3:                               ; =>This Inner Loop Header: Depth=1
	s_delay_alu instid0(VALU_DEP_1) | instskip(SKIP_1) | instid1(SALU_CYCLE_1)
	v_ashrrev_i32_e32 v4, 31, v3
	s_ashr_i32 s1, s0, 31
	s_lshl_b64 s[10:11], s[0:1], 3
	s_delay_alu instid0(SALU_CYCLE_1) | instskip(NEXT) | instid1(VALU_DEP_1)
	s_add_u32 s10, s2, s10
	v_lshlrev_b64 v[7:8], 2, v[3:4]
	s_addc_u32 s11, s3, s11
	s_add_i32 s4, s4, -1
	s_add_i32 s0, s0, -8
	s_cmp_le_i32 s4, s5
	s_load_b64 s[10:11], s[10:11], 0x0
	v_add_co_u32 v7, vcc_lo, s7, v7
	v_add_co_ci_u32_e32 v8, vcc_lo, s8, v8, vcc_lo
	global_load_b32 v4, v[7:8], off
	v_max_f32_e32 v7, v0, v0
	s_waitcnt lgkmcnt(0)
	v_max_f32_e64 v8, s10, s10
	s_delay_alu instid0(VALU_DEP_1) | instskip(NEXT) | instid1(VALU_DEP_1)
	v_max_f32_e32 v7, v7, v8
	v_sub_f32_e32 v8, s10, v7
	s_delay_alu instid0(VALU_DEP_1) | instskip(NEXT) | instid1(VALU_DEP_1)
	v_dual_sub_f32 v0, v0, v7 :: v_dual_mul_f32 v9, 0x3fb8aa3b, v8
	v_fma_f32 v10, 0x3fb8aa3b, v8, -v9
	v_rndne_f32_e32 v11, v9
	s_delay_alu instid0(VALU_DEP_3) | instskip(NEXT) | instid1(VALU_DEP_2)
	v_mul_f32_e32 v12, 0x3fb8aa3b, v0
	v_dual_fmac_f32 v10, 0x32a5705f, v8 :: v_dual_sub_f32 v9, v9, v11
	v_cvt_i32_f32_e32 v11, v11
	s_delay_alu instid0(VALU_DEP_3) | instskip(SKIP_1) | instid1(VALU_DEP_4)
	v_fma_f32 v13, 0x3fb8aa3b, v0, -v12
	v_rndne_f32_e32 v14, v12
	v_add_f32_e32 v9, v9, v10
	v_cmp_ngt_f32_e32 vcc_lo, 0xc2ce8ed0, v8
	s_delay_alu instid0(VALU_DEP_3) | instskip(NEXT) | instid1(VALU_DEP_3)
	v_sub_f32_e32 v10, v12, v14
	v_exp_f32_e32 v9, v9
	s_waitcnt_depctr 0xfff
	v_ldexp_f32 v9, v9, v11
	v_cvt_i32_f32_e32 v11, v14
	s_delay_alu instid0(VALU_DEP_2) | instskip(SKIP_1) | instid1(VALU_DEP_2)
	v_cndmask_b32_e32 v9, 0, v9, vcc_lo
	v_cmp_nlt_f32_e32 vcc_lo, 0x42b17218, v8
	v_cndmask_b32_e32 v9, 0x7f800000, v9, vcc_lo
	v_cmp_ngt_f32_e32 vcc_lo, 0xc2ce8ed0, v0
	v_fmac_f32_e32 v13, 0x32a5705f, v0
	s_delay_alu instid0(VALU_DEP_1) | instskip(NEXT) | instid1(VALU_DEP_1)
	v_add_f32_e32 v10, v10, v13
	v_exp_f32_e32 v10, v10
	s_waitcnt_depctr 0xfff
	v_ldexp_f32 v10, v10, v11
	s_delay_alu instid0(VALU_DEP_1)
	v_dual_mov_b32 v11, v6 :: v_dual_cndmask_b32 v10, 0, v10
	v_cmp_le_f32_e32 vcc_lo, 0xc1a00000, v8
	s_waitcnt vmcnt(1)
	v_dual_cndmask_b32 v8, 0, v9 :: v_dual_mov_b32 v9, v5
	v_cmp_nlt_f32_e32 vcc_lo, 0x42b17218, v0
	v_cndmask_b32_e32 v5, 0x7f800000, v10, vcc_lo
	s_delay_alu instid0(VALU_DEP_3) | instskip(SKIP_2) | instid1(VALU_DEP_3)
	v_mul_f32_e32 v10, s11, v8
	v_cmp_le_f32_e32 vcc_lo, 0xc1a00000, v0
	v_mov_b32_e32 v0, v7
	v_mov_b32_e32 v6, v10
	s_waitcnt vmcnt(0)
	v_dual_cndmask_b32 v12, 0, v5 :: v_dual_mul_f32 v5, v4, v8
	s_delay_alu instid0(VALU_DEP_1) | instskip(NEXT) | instid1(VALU_DEP_2)
	v_dual_fmac_f32 v6, v11, v12 :: v_dual_add_nc_u32 v3, 0xfffffc00, v3
	v_fmac_f32_e32 v5, v9, v12
	s_cbranch_scc0 .LBB63_3
	s_branch .LBB63_5
.LBB63_4:
	s_waitcnt lgkmcnt(0)
	v_mov_b32_e32 v6, s11
.LBB63_5:
	s_waitcnt vmcnt(0)
	s_delay_alu instid0(VALU_DEP_1) | instskip(NEXT) | instid1(VALU_DEP_1)
	v_div_scale_f32 v0, null, v6, v6, v5
	v_rcp_f32_e32 v3, v0
	s_waitcnt_depctr 0xfff
	v_fma_f32 v4, -v0, v3, 1.0
	s_delay_alu instid0(VALU_DEP_1) | instskip(SKIP_1) | instid1(VALU_DEP_1)
	v_fmac_f32_e32 v3, v4, v3
	v_div_scale_f32 v4, vcc_lo, v5, v6, v5
	v_mul_f32_e32 v7, v4, v3
	s_delay_alu instid0(VALU_DEP_1) | instskip(NEXT) | instid1(VALU_DEP_1)
	v_fma_f32 v8, -v0, v7, v4
	v_fmac_f32_e32 v7, v8, v3
	s_delay_alu instid0(VALU_DEP_1) | instskip(NEXT) | instid1(VALU_DEP_1)
	v_fma_f32 v0, -v0, v7, v4
	v_div_fmas_f32 v0, v0, v3, v7
	s_delay_alu instid0(VALU_DEP_1)
	v_div_fixup_f32 v0, v0, v6, v5
	global_store_b32 v[1:2], v0, off
.LBB63_6:
	s_nop 0
	s_sendmsg sendmsg(MSG_DEALLOC_VGPRS)
	s_endpgm
	.section	.rodata,"a",@progbits
	.p2align	6, 0x0
	.amdhsa_kernel _ZL33flash_attn_stream_k_fixup_uniformILi128ELi8ELi1EEvPfPK15HIP_vector_typeIfLj2EEiiiiiiS1_IjLj3EES5_S5_
		.amdhsa_group_segment_fixed_size 0
		.amdhsa_private_segment_fixed_size 0
		.amdhsa_kernarg_size 76
		.amdhsa_user_sgpr_count 13
		.amdhsa_user_sgpr_dispatch_ptr 0
		.amdhsa_user_sgpr_queue_ptr 0
		.amdhsa_user_sgpr_kernarg_segment_ptr 1
		.amdhsa_user_sgpr_dispatch_id 0
		.amdhsa_user_sgpr_private_segment_size 0
		.amdhsa_wavefront_size32 1
		.amdhsa_uses_dynamic_stack 0
		.amdhsa_enable_private_segment 0
		.amdhsa_system_sgpr_workgroup_id_x 1
		.amdhsa_system_sgpr_workgroup_id_y 1
		.amdhsa_system_sgpr_workgroup_id_z 1
		.amdhsa_system_sgpr_workgroup_info 0
		.amdhsa_system_vgpr_workitem_id 0
		.amdhsa_next_free_vgpr 15
		.amdhsa_next_free_sgpr 20
		.amdhsa_reserve_vcc 1
		.amdhsa_float_round_mode_32 0
		.amdhsa_float_round_mode_16_64 0
		.amdhsa_float_denorm_mode_32 3
		.amdhsa_float_denorm_mode_16_64 3
		.amdhsa_dx10_clamp 1
		.amdhsa_ieee_mode 1
		.amdhsa_fp16_overflow 0
		.amdhsa_workgroup_processor_mode 1
		.amdhsa_memory_ordered 1
		.amdhsa_forward_progress 0
		.amdhsa_shared_vgpr_count 0
		.amdhsa_exception_fp_ieee_invalid_op 0
		.amdhsa_exception_fp_denorm_src 0
		.amdhsa_exception_fp_ieee_div_zero 0
		.amdhsa_exception_fp_ieee_overflow 0
		.amdhsa_exception_fp_ieee_underflow 0
		.amdhsa_exception_fp_ieee_inexact 0
		.amdhsa_exception_int_div_zero 0
	.end_amdhsa_kernel
	.section	.text._ZL33flash_attn_stream_k_fixup_uniformILi128ELi8ELi1EEvPfPK15HIP_vector_typeIfLj2EEiiiiiiS1_IjLj3EES5_S5_,"axG",@progbits,_ZL33flash_attn_stream_k_fixup_uniformILi128ELi8ELi1EEvPfPK15HIP_vector_typeIfLj2EEiiiiiiS1_IjLj3EES5_S5_,comdat
.Lfunc_end63:
	.size	_ZL33flash_attn_stream_k_fixup_uniformILi128ELi8ELi1EEvPfPK15HIP_vector_typeIfLj2EEiiiiiiS1_IjLj3EES5_S5_, .Lfunc_end63-_ZL33flash_attn_stream_k_fixup_uniformILi128ELi8ELi1EEvPfPK15HIP_vector_typeIfLj2EEiiiiiiS1_IjLj3EES5_S5_
                                        ; -- End function
	.section	.AMDGPU.csdata,"",@progbits
; Kernel info:
; codeLenInByte = 976
; NumSgprs: 22
; NumVgprs: 15
; ScratchSize: 0
; MemoryBound: 0
; FloatMode: 240
; IeeeMode: 1
; LDSByteSize: 0 bytes/workgroup (compile time only)
; SGPRBlocks: 2
; VGPRBlocks: 1
; NumSGPRsForWavesPerEU: 22
; NumVGPRsForWavesPerEU: 15
; Occupancy: 16
; WaveLimiterHint : 0
; COMPUTE_PGM_RSRC2:SCRATCH_EN: 0
; COMPUTE_PGM_RSRC2:USER_SGPR: 13
; COMPUTE_PGM_RSRC2:TRAP_HANDLER: 0
; COMPUTE_PGM_RSRC2:TGID_X_EN: 1
; COMPUTE_PGM_RSRC2:TGID_Y_EN: 1
; COMPUTE_PGM_RSRC2:TGID_Z_EN: 1
; COMPUTE_PGM_RSRC2:TIDIG_COMP_CNT: 0
	.section	.text._ZL33flash_attn_stream_k_fixup_generalILi128ELi8ELi1EEvPfPK15HIP_vector_typeIfLj2EEiiiiS1_IjLj3EES5_S5_S5_,"axG",@progbits,_ZL33flash_attn_stream_k_fixup_generalILi128ELi8ELi1EEvPfPK15HIP_vector_typeIfLj2EEiiiiS1_IjLj3EES5_S5_S5_,comdat
	.globl	_ZL33flash_attn_stream_k_fixup_generalILi128ELi8ELi1EEvPfPK15HIP_vector_typeIfLj2EEiiiiS1_IjLj3EES5_S5_S5_ ; -- Begin function _ZL33flash_attn_stream_k_fixup_generalILi128ELi8ELi1EEvPfPK15HIP_vector_typeIfLj2EEiiiiS1_IjLj3EES5_S5_S5_
	.p2align	8
	.type	_ZL33flash_attn_stream_k_fixup_generalILi128ELi8ELi1EEvPfPK15HIP_vector_typeIfLj2EEiiiiS1_IjLj3EES5_S5_S5_,@function
_ZL33flash_attn_stream_k_fixup_generalILi128ELi8ELi1EEvPfPK15HIP_vector_typeIfLj2EEiiiiS1_IjLj3EES5_S5_S5_: ; @_ZL33flash_attn_stream_k_fixup_generalILi128ELi8ELi1EEvPfPK15HIP_vector_typeIfLj2EEiiiiS1_IjLj3EES5_S5_S5_
; %bb.0:
	s_clause 0x1
	s_load_b128 s[4:7], s[0:1], 0x10
	s_load_b32 s20, s[0:1], 0x50
	s_mov_b32 s2, 0
	s_waitcnt lgkmcnt(0)
	s_mul_hi_i32 s3, s7, s13
	s_mul_i32 s12, s7, s13
	s_cmp_lg_u64 s[2:3], 0
	s_cbranch_scc0 .LBB64_21
; %bb.1:
	v_cvt_f32_ubyte0_e32 v1, 0
	v_cvt_f32_u32_e32 v2, s20
	s_sub_u32 s10, 0, s20
	s_subb_u32 s11, 0, 0
	s_delay_alu instid0(VALU_DEP_1) | instskip(NEXT) | instid1(VALU_DEP_1)
	v_fmamk_f32 v1, v1, 0x4f800000, v2
	v_rcp_f32_e32 v1, v1
	s_waitcnt_depctr 0xfff
	v_mul_f32_e32 v1, 0x5f7ffffc, v1
	s_delay_alu instid0(VALU_DEP_1) | instskip(NEXT) | instid1(VALU_DEP_1)
	v_mul_f32_e32 v2, 0x2f800000, v1
	v_trunc_f32_e32 v2, v2
	s_delay_alu instid0(VALU_DEP_1) | instskip(SKIP_1) | instid1(VALU_DEP_2)
	v_fmamk_f32 v1, v2, 0xcf800000, v1
	v_cvt_u32_f32_e32 v2, v2
	v_cvt_u32_f32_e32 v1, v1
	s_delay_alu instid0(VALU_DEP_2) | instskip(NEXT) | instid1(VALU_DEP_2)
	v_readfirstlane_b32 s8, v2
	v_readfirstlane_b32 s9, v1
	s_delay_alu instid0(VALU_DEP_2) | instskip(NEXT) | instid1(VALU_DEP_1)
	s_mul_i32 s16, s10, s8
	s_mul_hi_u32 s18, s10, s9
	s_mul_i32 s17, s11, s9
	s_add_i32 s16, s18, s16
	s_mul_i32 s19, s10, s9
	s_add_i32 s16, s16, s17
	s_mul_hi_u32 s18, s9, s19
	s_mul_hi_u32 s21, s8, s19
	s_mul_i32 s17, s8, s19
	s_mul_hi_u32 s19, s9, s16
	s_mul_i32 s9, s9, s16
	s_mul_hi_u32 s22, s8, s16
	s_add_u32 s9, s18, s9
	s_addc_u32 s18, 0, s19
	s_add_u32 s9, s9, s17
	s_mul_i32 s16, s8, s16
	s_addc_u32 s9, s18, s21
	s_addc_u32 s17, s22, 0
	s_add_u32 s9, s9, s16
	s_addc_u32 s16, 0, s17
	v_add_co_u32 v1, s9, v1, s9
	s_delay_alu instid0(VALU_DEP_1) | instskip(SKIP_1) | instid1(VALU_DEP_1)
	s_cmp_lg_u32 s9, 0
	s_addc_u32 s8, s8, s16
	v_readfirstlane_b32 s9, v1
	s_mul_i32 s16, s10, s8
	s_delay_alu instid0(VALU_DEP_1)
	s_mul_hi_u32 s17, s10, s9
	s_mul_i32 s11, s11, s9
	s_add_i32 s16, s17, s16
	s_mul_i32 s10, s10, s9
	s_add_i32 s16, s16, s11
	s_mul_hi_u32 s17, s8, s10
	s_mul_i32 s18, s8, s10
	s_mul_hi_u32 s10, s9, s10
	s_mul_hi_u32 s19, s9, s16
	s_mul_i32 s9, s9, s16
	s_mul_hi_u32 s11, s8, s16
	s_add_u32 s9, s10, s9
	s_addc_u32 s10, 0, s19
	s_add_u32 s9, s9, s18
	s_mul_i32 s16, s8, s16
	s_addc_u32 s9, s10, s17
	s_addc_u32 s10, s11, 0
	s_add_u32 s9, s9, s16
	s_addc_u32 s10, 0, s10
	v_add_co_u32 v1, s9, v1, s9
	s_delay_alu instid0(VALU_DEP_1) | instskip(SKIP_2) | instid1(SALU_CYCLE_1)
	s_cmp_lg_u32 s9, 0
	s_addc_u32 s16, s8, s10
	s_ashr_i32 s8, s3, 31
	s_add_u32 s10, s12, s8
	s_addc_u32 s11, s3, s8
	v_readfirstlane_b32 s3, v1
	s_mov_b32 s9, s8
	s_delay_alu instid0(SALU_CYCLE_1) | instskip(NEXT) | instid1(SALU_CYCLE_1)
	s_xor_b64 s[10:11], s[10:11], s[8:9]
	s_mul_i32 s18, s10, s16
	s_delay_alu instid0(VALU_DEP_1)
	s_mul_hi_u32 s19, s10, s3
	s_mul_hi_u32 s17, s10, s16
	s_mul_hi_u32 s22, s11, s3
	s_mul_i32 s3, s11, s3
	s_add_u32 s18, s19, s18
	s_addc_u32 s17, 0, s17
	s_mul_hi_u32 s21, s11, s16
	s_add_u32 s3, s18, s3
	s_mul_i32 s16, s11, s16
	s_addc_u32 s3, s17, s22
	s_addc_u32 s17, s21, 0
	s_add_u32 s3, s3, s16
	s_addc_u32 s16, 0, s17
	s_mul_i32 s18, s20, s3
	s_add_u32 s17, s3, 1
	v_sub_co_u32 v1, s10, s10, s18
	s_mul_hi_u32 s18, s20, s3
	s_addc_u32 s19, s16, 0
	s_mul_i32 s21, s20, s16
	s_delay_alu instid0(VALU_DEP_1)
	v_sub_co_u32 v2, s22, v1, s20
	s_add_u32 s23, s3, 2
	s_addc_u32 s24, s16, 0
	s_add_i32 s18, s18, s21
	s_cmp_lg_u32 s10, 0
	v_readfirstlane_b32 s10, v2
	s_subb_u32 s11, s11, s18
	s_cmp_lg_u32 s22, 0
	s_subb_u32 s18, s11, 0
	s_delay_alu instid0(VALU_DEP_1) | instskip(SKIP_4) | instid1(SALU_CYCLE_1)
	s_cmp_ge_u32 s10, s20
	s_cselect_b32 s10, -1, 0
	s_cmp_eq_u32 s18, 0
	v_readfirstlane_b32 s18, v1
	s_cselect_b32 s10, s10, -1
	s_cmp_lg_u32 s10, 0
	s_cselect_b32 s10, s23, s17
	s_cselect_b32 s17, s24, s19
	s_cmp_ge_u32 s18, s20
	s_cselect_b32 s18, -1, 0
	s_cmp_eq_u32 s11, 0
	s_cselect_b32 s11, s18, -1
	s_delay_alu instid0(SALU_CYCLE_1) | instskip(SKIP_2) | instid1(SALU_CYCLE_1)
	s_cmp_lg_u32 s11, 0
	s_cselect_b32 s11, s17, s16
	s_cselect_b32 s10, s10, s3
	s_xor_b64 s[10:11], s[10:11], s[8:9]
	s_delay_alu instid0(SALU_CYCLE_1)
	s_sub_u32 s16, s10, s8
	s_load_b128 s[8:11], s[0:1], 0x44
	s_and_not1_b32 vcc_lo, exec_lo, s2
	s_cbranch_vccnz .LBB64_3
.LBB64_2:
	v_cvt_f32_u32_e32 v1, s20
	s_sub_i32 s3, 0, s20
	s_delay_alu instid0(VALU_DEP_1) | instskip(SKIP_2) | instid1(VALU_DEP_1)
	v_rcp_iflag_f32_e32 v1, v1
	s_waitcnt_depctr 0xfff
	v_mul_f32_e32 v1, 0x4f7ffffe, v1
	v_cvt_u32_f32_e32 v1, v1
	s_delay_alu instid0(VALU_DEP_1) | instskip(NEXT) | instid1(VALU_DEP_1)
	v_readfirstlane_b32 s2, v1
	s_mul_i32 s3, s3, s2
	s_delay_alu instid0(SALU_CYCLE_1) | instskip(NEXT) | instid1(SALU_CYCLE_1)
	s_mul_hi_u32 s3, s2, s3
	s_add_i32 s2, s2, s3
	s_delay_alu instid0(SALU_CYCLE_1) | instskip(NEXT) | instid1(SALU_CYCLE_1)
	s_mul_hi_u32 s2, s12, s2
	s_mul_i32 s3, s2, s20
	s_waitcnt lgkmcnt(0)
	s_add_i32 s11, s2, 1
	s_sub_i32 s3, s12, s3
	s_delay_alu instid0(SALU_CYCLE_1)
	s_sub_i32 s12, s3, s20
	s_cmp_ge_u32 s3, s20
	s_cselect_b32 s2, s11, s2
	s_cselect_b32 s3, s12, s3
	s_add_i32 s11, s2, 1
	s_cmp_ge_u32 s3, s20
	s_cselect_b32 s16, s11, s2
.LBB64_3:
	s_waitcnt lgkmcnt(0)
	s_add_i32 s11, s13, 1
	s_mov_b32 s2, 0
	s_mul_hi_i32 s3, s7, s11
	s_mul_i32 s11, s7, s11
	s_cmp_lg_u64 s[2:3], 0
	s_cbranch_scc0 .LBB64_22
; %bb.4:
	v_cvt_f32_ubyte0_e32 v1, 0
	v_cvt_f32_u32_e32 v2, s20
	s_sub_u32 s18, 0, s20
	s_subb_u32 s19, 0, 0
	s_delay_alu instid0(VALU_DEP_1) | instskip(NEXT) | instid1(VALU_DEP_1)
	v_fmamk_f32 v1, v1, 0x4f800000, v2
	v_rcp_f32_e32 v1, v1
	s_waitcnt_depctr 0xfff
	v_mul_f32_e32 v1, 0x5f7ffffc, v1
	s_delay_alu instid0(VALU_DEP_1) | instskip(NEXT) | instid1(VALU_DEP_1)
	v_mul_f32_e32 v2, 0x2f800000, v1
	v_trunc_f32_e32 v2, v2
	s_delay_alu instid0(VALU_DEP_1) | instskip(SKIP_1) | instid1(VALU_DEP_2)
	v_fmamk_f32 v1, v2, 0xcf800000, v1
	v_cvt_u32_f32_e32 v2, v2
	v_cvt_u32_f32_e32 v1, v1
	s_delay_alu instid0(VALU_DEP_2) | instskip(NEXT) | instid1(VALU_DEP_2)
	v_readfirstlane_b32 s12, v2
	v_readfirstlane_b32 s17, v1
	s_delay_alu instid0(VALU_DEP_2) | instskip(NEXT) | instid1(VALU_DEP_1)
	s_mul_i32 s21, s18, s12
	s_mul_hi_u32 s23, s18, s17
	s_mul_i32 s22, s19, s17
	s_add_i32 s21, s23, s21
	s_mul_i32 s24, s18, s17
	s_add_i32 s21, s21, s22
	s_mul_hi_u32 s23, s17, s24
	s_mul_hi_u32 s25, s12, s24
	s_mul_i32 s22, s12, s24
	s_mul_hi_u32 s24, s17, s21
	s_mul_i32 s17, s17, s21
	s_mul_hi_u32 s26, s12, s21
	s_add_u32 s17, s23, s17
	s_addc_u32 s23, 0, s24
	s_add_u32 s17, s17, s22
	s_mul_i32 s21, s12, s21
	s_addc_u32 s17, s23, s25
	s_addc_u32 s22, s26, 0
	s_add_u32 s17, s17, s21
	s_addc_u32 s21, 0, s22
	v_add_co_u32 v1, s17, v1, s17
	s_delay_alu instid0(VALU_DEP_1) | instskip(SKIP_1) | instid1(VALU_DEP_1)
	s_cmp_lg_u32 s17, 0
	s_addc_u32 s12, s12, s21
	v_readfirstlane_b32 s17, v1
	s_mul_i32 s21, s18, s12
	s_delay_alu instid0(VALU_DEP_1)
	s_mul_hi_u32 s22, s18, s17
	s_mul_i32 s19, s19, s17
	s_add_i32 s21, s22, s21
	s_mul_i32 s18, s18, s17
	s_add_i32 s21, s21, s19
	s_mul_hi_u32 s22, s12, s18
	s_mul_i32 s23, s12, s18
	s_mul_hi_u32 s18, s17, s18
	s_mul_hi_u32 s24, s17, s21
	s_mul_i32 s17, s17, s21
	s_mul_hi_u32 s19, s12, s21
	s_add_u32 s17, s18, s17
	s_addc_u32 s18, 0, s24
	s_add_u32 s17, s17, s23
	s_mul_i32 s21, s12, s21
	s_addc_u32 s17, s18, s22
	s_addc_u32 s18, s19, 0
	s_add_u32 s17, s17, s21
	s_addc_u32 s18, 0, s18
	v_add_co_u32 v1, s17, v1, s17
	s_delay_alu instid0(VALU_DEP_1) | instskip(SKIP_2) | instid1(SALU_CYCLE_1)
	s_cmp_lg_u32 s17, 0
	s_addc_u32 s12, s12, s18
	s_ashr_i32 s18, s3, 31
	s_add_u32 s22, s11, s18
	s_addc_u32 s23, s3, s18
	v_readfirstlane_b32 s3, v1
	s_mov_b32 s19, s18
	s_delay_alu instid0(SALU_CYCLE_1) | instskip(NEXT) | instid1(SALU_CYCLE_1)
	s_xor_b64 s[22:23], s[22:23], s[18:19]
	s_mul_i32 s21, s22, s12
	s_delay_alu instid0(VALU_DEP_1)
	s_mul_hi_u32 s24, s22, s3
	s_mul_hi_u32 s17, s22, s12
	;; [unrolled: 1-line block ×3, first 2 shown]
	s_mul_i32 s3, s23, s3
	s_add_u32 s21, s24, s21
	s_addc_u32 s17, 0, s17
	s_mul_hi_u32 s25, s23, s12
	s_add_u32 s3, s21, s3
	s_mul_i32 s12, s23, s12
	s_addc_u32 s3, s17, s26
	s_addc_u32 s17, s25, 0
	s_add_u32 s3, s3, s12
	s_addc_u32 s12, 0, s17
	s_mul_i32 s21, s20, s3
	s_add_u32 s17, s3, 1
	v_sub_co_u32 v1, s21, s22, s21
	s_mul_hi_u32 s22, s20, s3
	s_addc_u32 s24, s12, 0
	s_mul_i32 s25, s20, s12
	s_delay_alu instid0(VALU_DEP_1)
	v_sub_co_u32 v2, s26, v1, s20
	s_add_u32 s27, s3, 2
	s_addc_u32 s28, s12, 0
	s_add_i32 s22, s22, s25
	s_cmp_lg_u32 s21, 0
	v_readfirstlane_b32 s21, v2
	s_subb_u32 s22, s23, s22
	s_cmp_lg_u32 s26, 0
	s_subb_u32 s23, s22, 0
	s_delay_alu instid0(VALU_DEP_1) | instskip(SKIP_4) | instid1(SALU_CYCLE_1)
	s_cmp_ge_u32 s21, s20
	s_cselect_b32 s21, -1, 0
	s_cmp_eq_u32 s23, 0
	v_readfirstlane_b32 s23, v1
	s_cselect_b32 s21, s21, -1
	s_cmp_lg_u32 s21, 0
	s_cselect_b32 s17, s27, s17
	s_cselect_b32 s21, s28, s24
	s_cmp_ge_u32 s23, s20
	s_cselect_b32 s23, -1, 0
	s_cmp_eq_u32 s22, 0
	s_cselect_b32 s22, s23, -1
	s_delay_alu instid0(SALU_CYCLE_1) | instskip(SKIP_2) | instid1(SALU_CYCLE_1)
	s_cmp_lg_u32 s22, 0
	s_cselect_b32 s23, s21, s12
	s_cselect_b32 s22, s17, s3
	s_xor_b64 s[22:23], s[22:23], s[18:19]
	s_delay_alu instid0(SALU_CYCLE_1)
	s_sub_u32 s18, s22, s18
	s_and_not1_b32 vcc_lo, exec_lo, s2
	s_cbranch_vccnz .LBB64_6
.LBB64_5:
	v_cvt_f32_u32_e32 v1, s20
	s_sub_i32 s3, 0, s20
	s_delay_alu instid0(VALU_DEP_1) | instskip(SKIP_2) | instid1(VALU_DEP_1)
	v_rcp_iflag_f32_e32 v1, v1
	s_waitcnt_depctr 0xfff
	v_mul_f32_e32 v1, 0x4f7ffffe, v1
	v_cvt_u32_f32_e32 v1, v1
	s_delay_alu instid0(VALU_DEP_1) | instskip(NEXT) | instid1(VALU_DEP_1)
	v_readfirstlane_b32 s2, v1
	s_mul_i32 s3, s3, s2
	s_delay_alu instid0(SALU_CYCLE_1) | instskip(NEXT) | instid1(SALU_CYCLE_1)
	s_mul_hi_u32 s3, s2, s3
	s_add_i32 s2, s2, s3
	s_delay_alu instid0(SALU_CYCLE_1) | instskip(NEXT) | instid1(SALU_CYCLE_1)
	s_mul_hi_u32 s2, s11, s2
	s_mul_i32 s3, s2, s20
	s_delay_alu instid0(SALU_CYCLE_1)
	s_sub_i32 s3, s11, s3
	s_add_i32 s11, s2, 1
	s_sub_i32 s12, s3, s20
	s_cmp_ge_u32 s3, s20
	s_cselect_b32 s2, s11, s2
	s_cselect_b32 s3, s12, s3
	s_add_i32 s11, s2, 1
	s_cmp_ge_u32 s3, s20
	s_cselect_b32 s18, s11, s2
.LBB64_6:
	s_delay_alu instid0(SALU_CYCLE_1) | instskip(SKIP_3) | instid1(SALU_CYCLE_1)
	s_cmp_eq_u32 s16, s18
	s_mul_hi_u32 s2, s16, s8
	s_cselect_b32 s3, -1, 0
	s_add_i32 s2, s2, s16
	s_lshr_b32 s11, s2, s9
	s_delay_alu instid0(SALU_CYCLE_1) | instskip(NEXT) | instid1(SALU_CYCLE_1)
	s_mul_i32 s2, s11, s10
	s_cmp_eq_u32 s2, s16
	s_mul_hi_u32 s2, s18, s8
	s_cselect_b32 s12, -1, 0
	s_add_i32 s2, s2, s18
	s_delay_alu instid0(SALU_CYCLE_1) | instskip(NEXT) | instid1(SALU_CYCLE_1)
	s_lshr_b32 s2, s2, s9
	s_cmp_eq_u32 s11, s2
	s_mul_i32 s2, s2, s10
	s_cselect_b32 s17, -1, 0
	s_cmp_lg_u32 s2, s18
	s_cselect_b32 s2, -1, 0
	s_or_b32 s3, s3, s12
	s_and_b32 s2, s17, s2
	s_delay_alu instid0(SALU_CYCLE_1) | instskip(NEXT) | instid1(SALU_CYCLE_1)
	s_or_b32 s2, s3, s2
	s_and_b32 vcc_lo, exec_lo, s2
	s_cbranch_vccnz .LBB64_24
; %bb.7:
	s_load_b256 s[24:31], s[0:1], 0x20
	s_waitcnt lgkmcnt(0)
	s_mul_hi_u32 s2, s16, s24
	s_delay_alu instid0(SALU_CYCLE_1) | instskip(NEXT) | instid1(SALU_CYCLE_1)
	s_add_i32 s2, s2, s16
	s_lshr_b32 s18, s2, s25
	s_load_b32 s2, s[0:1], 0x40
	s_mul_i32 s3, s18, s26
	s_delay_alu instid0(SALU_CYCLE_1) | instskip(NEXT) | instid1(SALU_CYCLE_1)
	s_sub_i32 s3, s16, s3
	s_mul_hi_u32 s12, s3, s27
	s_delay_alu instid0(SALU_CYCLE_1) | instskip(NEXT) | instid1(SALU_CYCLE_1)
	s_add_i32 s12, s3, s12
	s_lshr_b32 s21, s12, s28
	s_delay_alu instid0(SALU_CYCLE_1) | instskip(NEXT) | instid1(SALU_CYCLE_1)
	s_mul_i32 s12, s21, s29
	s_sub_i32 s3, s3, s12
	s_delay_alu instid0(SALU_CYCLE_1) | instskip(NEXT) | instid1(SALU_CYCLE_1)
	s_mul_hi_u32 s12, s3, s30
	s_add_i32 s12, s3, s12
	s_delay_alu instid0(SALU_CYCLE_1) | instskip(SKIP_3) | instid1(SALU_CYCLE_1)
	s_lshr_b32 s22, s12, s31
	s_mov_b32 s12, 0
	s_waitcnt lgkmcnt(0)
	s_mul_i32 s2, s22, s2
	s_sub_i32 s2, s3, s2
	s_delay_alu instid0(SALU_CYCLE_1) | instskip(NEXT) | instid1(SALU_CYCLE_1)
	s_mul_hi_u32 s3, s2, s8
	s_add_i32 s2, s2, s3
	s_delay_alu instid0(SALU_CYCLE_1) | instskip(NEXT) | instid1(SALU_CYCLE_1)
	s_lshr_b32 s23, s2, s9
	s_lshl_b32 s2, s23, 3
	s_delay_alu instid0(SALU_CYCLE_1) | instskip(NEXT) | instid1(SALU_CYCLE_1)
	s_add_i32 s2, s2, s14
	s_cmp_lt_i32 s2, s4
	s_cselect_b32 s2, -1, 0
	s_add_i32 s3, s22, s15
	s_delay_alu instid0(SALU_CYCLE_1) | instskip(SKIP_1) | instid1(SALU_CYCLE_1)
	s_cmp_lt_i32 s3, s6
	s_cselect_b32 s3, -1, 0
	s_and_b32 s2, s2, s3
	s_delay_alu instid0(SALU_CYCLE_1)
	s_and_not1_b32 vcc_lo, exec_lo, s2
	s_cbranch_vccnz .LBB64_24
; %bb.8:
	s_load_b128 s[0:3], s[0:1], 0x0
	s_lshl_b32 s24, s20, 5
	s_mov_b32 s25, s12
	s_add_i32 s17, s14, s15
	s_lshl_b64 s[24:25], s[24:25], 2
	s_mul_i32 s4, s18, s4
	s_mul_i32 s21, s21, s6
	v_cvt_f32_ubyte0_e32 v4, 0
	v_cvt_f32_u32_e32 v5, s20
	s_waitcnt lgkmcnt(0)
	s_add_u32 s18, s2, s24
	s_addc_u32 s19, s3, s25
	s_add_i32 s4, s4, s14
	s_delay_alu instid0(SALU_CYCLE_1) | instskip(SKIP_4) | instid1(SALU_CYCLE_1)
	s_mul_i32 s4, s4, s5
	s_mul_i32 s5, s5, s23
	s_add_i32 s4, s4, s15
	s_lshl_b32 s5, s5, 10
	s_add_i32 s4, s4, s21
	s_add_i32 s4, s4, s22
	s_delay_alu instid0(SALU_CYCLE_1) | instskip(NEXT) | instid1(SALU_CYCLE_1)
	s_lshl_b32 s4, s4, 7
	s_add_i32 s5, s5, s4
	s_delay_alu instid0(SALU_CYCLE_1) | instskip(SKIP_1) | instid1(VALU_DEP_2)
	v_or_b32_e32 v1, s5, v0
	v_lshl_or_b32 v0, s17, 7, v0
	v_ashrrev_i32_e32 v2, 31, v1
	s_delay_alu instid0(VALU_DEP_1) | instskip(NEXT) | instid1(VALU_DEP_1)
	v_lshlrev_b64 v[1:2], 2, v[1:2]
	v_add_co_u32 v1, vcc_lo, s0, v1
	s_delay_alu instid0(VALU_DEP_2) | instskip(SKIP_1) | instid1(SALU_CYCLE_1)
	v_add_co_ci_u32_e32 v2, vcc_lo, s1, v2, vcc_lo
	s_lshl_b32 s0, s13, 3
	s_add_i32 s0, s0, s17
	global_load_b32 v3, v[1:2], off
	s_ashr_i32 s1, s0, 31
	s_delay_alu instid0(SALU_CYCLE_1) | instskip(NEXT) | instid1(SALU_CYCLE_1)
	s_lshl_b64 s[0:1], s[0:1], 3
	s_add_u32 s0, s2, s0
	s_addc_u32 s1, s3, s1
	s_add_i32 s14, s13, -1
	s_load_b64 s[0:1], s[0:1], 0x0
	v_fmac_f32_e32 v5, 0x4f800000, v4
	s_sub_i32 s6, 0, s20
	s_waitcnt lgkmcnt(0)
	v_mov_b32_e32 v8, s0
	s_delay_alu instid0(VALU_DEP_2) | instskip(SKIP_2) | instid1(VALU_DEP_2)
	v_rcp_f32_e32 v4, v5
	v_cvt_f32_u32_e32 v5, s20
	v_mov_b32_e32 v7, s1
	v_rcp_iflag_f32_e32 v5, v5
	s_waitcnt_depctr 0xfff
	v_mul_f32_e32 v4, 0x5f7ffffc, v4
	s_delay_alu instid0(VALU_DEP_1) | instskip(SKIP_1) | instid1(VALU_DEP_2)
	v_mul_f32_e32 v6, 0x2f800000, v4
	v_mul_f32_e32 v9, 0x4f7ffffe, v5
	v_trunc_f32_e32 v6, v6
	s_delay_alu instid0(VALU_DEP_1) | instskip(SKIP_1) | instid1(VALU_DEP_4)
	v_fmac_f32_e32 v4, 0xcf800000, v6
	v_cvt_u32_f32_e32 v5, v6
	v_cvt_u32_f32_e32 v6, v9
	s_delay_alu instid0(VALU_DEP_3)
	v_cvt_u32_f32_e32 v4, v4
.LBB64_9:                               ; =>This Inner Loop Header: Depth=1
	s_mul_hi_i32 s13, s14, s7
	s_mul_i32 s4, s14, s7
	s_cmp_lg_u64 s[12:13], 0
	s_mov_b32 s5, -1
                                        ; implicit-def: $sgpr0_sgpr1
	s_cbranch_scc0 .LBB64_11
; %bb.10:                               ;   in Loop: Header=BB64_9 Depth=1
	v_readfirstlane_b32 s0, v4
	v_readfirstlane_b32 s1, v5
	s_sub_u32 s5, 0, s20
	s_subb_u32 s15, 0, 0
	s_delay_alu instid0(VALU_DEP_2) | instskip(NEXT) | instid1(VALU_DEP_1)
	s_mul_hi_u32 s21, s5, s0
	s_mul_i32 s22, s5, s1
	s_mul_i32 s23, s15, s0
	s_add_i32 s21, s21, s22
	s_mul_i32 s22, s5, s0
	s_add_i32 s21, s21, s23
	s_mul_hi_u32 s23, s0, s22
	s_mul_i32 s24, s0, s21
	s_mul_hi_u32 s0, s0, s21
	s_add_u32 s23, s23, s24
	s_mul_i32 s25, s1, s22
	s_addc_u32 s0, 0, s0
	s_mul_hi_u32 s22, s1, s22
	s_mul_hi_u32 s24, s1, s21
	s_add_u32 s23, s23, s25
	s_addc_u32 s0, s0, s22
	s_mul_i32 s21, s1, s21
	s_addc_u32 s22, s24, 0
	s_add_u32 s0, s0, s21
	s_addc_u32 s21, 0, s22
	v_add_co_u32 v9, s0, v4, s0
	s_delay_alu instid0(VALU_DEP_1) | instskip(SKIP_1) | instid1(VALU_DEP_1)
	s_cmp_lg_u32 s0, 0
	s_addc_u32 s1, s1, s21
	v_readfirstlane_b32 s0, v9
	s_mul_i32 s21, s5, s1
	s_delay_alu instid0(VALU_DEP_1)
	s_mul_hi_u32 s22, s5, s0
	s_mul_i32 s15, s15, s0
	s_add_i32 s21, s22, s21
	s_mul_i32 s5, s5, s0
	s_add_i32 s21, s21, s15
	s_mul_hi_u32 s15, s1, s5
	s_mul_i32 s23, s1, s5
	s_mul_i32 s24, s0, s21
	s_mul_hi_u32 s5, s0, s5
	s_mul_hi_u32 s0, s0, s21
	s_add_u32 s5, s5, s24
	s_addc_u32 s0, 0, s0
	s_mul_hi_u32 s22, s1, s21
	s_add_u32 s5, s5, s23
	s_addc_u32 s0, s0, s15
	s_mul_i32 s5, s1, s21
	s_addc_u32 s15, s22, 0
	s_add_u32 s0, s0, s5
	s_addc_u32 s5, 0, s15
	v_add_co_u32 v9, s0, v9, s0
	s_delay_alu instid0(VALU_DEP_1) | instskip(SKIP_2) | instid1(SALU_CYCLE_1)
	s_cmp_lg_u32 s0, 0
	s_addc_u32 s5, s1, s5
	s_ashr_i32 s0, s13, 31
	s_add_u32 s22, s4, s0
	s_addc_u32 s23, s13, s0
	v_readfirstlane_b32 s13, v9
	s_mov_b32 s1, s0
	s_delay_alu instid0(SALU_CYCLE_1) | instskip(NEXT) | instid1(SALU_CYCLE_1)
	s_xor_b64 s[22:23], s[22:23], s[0:1]
	s_mul_i32 s15, s22, s5
	s_delay_alu instid0(VALU_DEP_1)
	s_mul_hi_u32 s21, s22, s13
	s_mul_hi_u32 s24, s22, s5
	s_add_u32 s15, s21, s15
	s_mul_i32 s25, s23, s13
	s_addc_u32 s21, 0, s24
	s_mul_hi_u32 s13, s23, s13
	s_mul_hi_u32 s24, s23, s5
	s_add_u32 s15, s15, s25
	s_addc_u32 s13, s21, s13
	s_mul_i32 s5, s23, s5
	s_addc_u32 s15, s24, 0
	s_add_u32 s5, s13, s5
	s_addc_u32 s13, 0, s15
	s_mul_i32 s21, s20, s5
	s_add_u32 s15, s5, 1
	v_sub_co_u32 v9, s21, s22, s21
	s_addc_u32 s22, s13, 0
	s_mul_i32 s25, s20, s13
	s_mul_hi_u32 s27, s20, s5
	s_delay_alu instid0(VALU_DEP_1)
	v_sub_co_u32 v10, s26, v9, s20
	s_add_u32 s24, s5, 2
	s_addc_u32 s28, s13, 0
	s_add_i32 s27, s27, s25
	s_cmp_lg_u32 s21, 0
	v_readfirstlane_b32 s21, v10
	s_subb_u32 s23, s23, s27
	s_cmp_lg_u32 s26, 0
	s_subb_u32 s25, s23, 0
	s_delay_alu instid0(VALU_DEP_1) | instskip(SKIP_4) | instid1(SALU_CYCLE_1)
	s_cmp_ge_u32 s21, s20
	s_cselect_b32 s21, -1, 0
	s_cmp_eq_u32 s25, 0
	v_readfirstlane_b32 s25, v9
	s_cselect_b32 s21, s21, -1
	s_cmp_lg_u32 s21, 0
	s_cselect_b32 s15, s24, s15
	s_cselect_b32 s21, s28, s22
	s_cmp_ge_u32 s25, s20
	s_cselect_b32 s22, -1, 0
	s_cmp_eq_u32 s23, 0
	s_cselect_b32 s22, s22, -1
	s_delay_alu instid0(SALU_CYCLE_1) | instskip(SKIP_4) | instid1(SALU_CYCLE_1)
	s_cmp_lg_u32 s22, 0
	s_cselect_b32 s23, s21, s13
	s_cselect_b32 s22, s15, s5
	s_mov_b32 s5, 0
	s_xor_b64 s[22:23], s[22:23], s[0:1]
	s_sub_u32 s0, s22, s0
.LBB64_11:                              ;   in Loop: Header=BB64_9 Depth=1
	s_and_not1_b32 vcc_lo, exec_lo, s5
	s_cbranch_vccnz .LBB64_13
; %bb.12:                               ;   in Loop: Header=BB64_9 Depth=1
	v_readfirstlane_b32 s0, v6
	s_delay_alu instid0(VALU_DEP_1) | instskip(NEXT) | instid1(SALU_CYCLE_1)
	s_mul_i32 s1, s6, s0
	s_mul_hi_u32 s1, s0, s1
	s_delay_alu instid0(SALU_CYCLE_1) | instskip(NEXT) | instid1(SALU_CYCLE_1)
	s_add_i32 s0, s0, s1
	s_mul_hi_u32 s0, s4, s0
	s_delay_alu instid0(SALU_CYCLE_1) | instskip(NEXT) | instid1(SALU_CYCLE_1)
	s_mul_i32 s1, s0, s20
	s_sub_i32 s1, s4, s1
	s_add_i32 s4, s0, 1
	s_sub_i32 s5, s1, s20
	s_cmp_ge_u32 s1, s20
	s_cselect_b32 s0, s4, s0
	s_cselect_b32 s1, s5, s1
	s_add_i32 s4, s0, 1
	s_cmp_ge_u32 s1, s20
	s_cselect_b32 s0, s4, s0
.LBB64_13:                              ;   in Loop: Header=BB64_9 Depth=1
	s_delay_alu instid0(SALU_CYCLE_1)
	s_cmp_lg_u32 s16, s0
	s_cbranch_scc0 .LBB64_17
; %bb.14:                               ;   in Loop: Header=BB64_9 Depth=1
	s_add_i32 s1, s14, s20
	s_mov_b32 s5, s12
	s_lshl_b32 s1, s1, 3
	s_mov_b32 s15, s16
	s_add_i32 s4, s1, s17
	s_mul_hi_u32 s1, s0, s8
	s_lshl_b64 s[4:5], s[4:5], 3
	s_delay_alu instid0(SALU_CYCLE_1) | instskip(SKIP_2) | instid1(SALU_CYCLE_1)
	s_add_u32 s4, s2, s4
	s_addc_u32 s5, s3, s5
	s_add_i32 s1, s1, s0
	s_lshr_b32 s1, s1, s9
	s_delay_alu instid0(SALU_CYCLE_1) | instskip(NEXT) | instid1(SALU_CYCLE_1)
	s_mul_i32 s13, s1, s10
	s_cmp_eq_u32 s13, s0
	s_cselect_b32 s13, -1, 0
	s_cmp_lt_u32 s1, s11
	s_cselect_b32 s1, -1, 0
	s_delay_alu instid0(SALU_CYCLE_1)
	s_or_b32 s1, s1, s13
	s_mov_b32 s13, -1
	s_and_b32 vcc_lo, exec_lo, s1
	s_mov_b32 s1, s14
	s_cbranch_vccnz .LBB64_16
; %bb.15:                               ;   in Loop: Header=BB64_9 Depth=1
	s_add_i32 s1, s14, -1
	s_mov_b32 s13, 0
	s_mov_b32 s15, s0
.LBB64_16:                              ;   in Loop: Header=BB64_9 Depth=1
	v_lshl_add_u32 v9, s14, 10, v0
	s_load_b64 s[4:5], s[4:5], 0x0
	s_delay_alu instid0(VALU_DEP_1) | instskip(NEXT) | instid1(VALU_DEP_1)
	v_ashrrev_i32_e32 v10, 31, v9
	v_lshlrev_b64 v[9:10], 2, v[9:10]
	s_delay_alu instid0(VALU_DEP_1) | instskip(NEXT) | instid1(VALU_DEP_2)
	v_add_co_u32 v9, vcc_lo, s18, v9
	v_add_co_ci_u32_e32 v10, vcc_lo, s19, v10, vcc_lo
	s_waitcnt lgkmcnt(0)
	v_max_f32_e64 v11, s4, s4
	global_load_b32 v10, v[9:10], off
	v_max_f32_e32 v9, v8, v8
	s_delay_alu instid0(VALU_DEP_1) | instskip(NEXT) | instid1(VALU_DEP_1)
	v_max_f32_e32 v9, v9, v11
	v_sub_f32_e32 v12, v8, v9
	s_delay_alu instid0(VALU_DEP_1) | instskip(NEXT) | instid1(VALU_DEP_1)
	v_dual_mul_f32 v14, 0x3fb8aa3b, v12 :: v_dual_sub_f32 v11, s4, v9
	v_rndne_f32_e32 v18, v14
	s_delay_alu instid0(VALU_DEP_2) | instskip(SKIP_2) | instid1(VALU_DEP_4)
	v_mul_f32_e32 v13, 0x3fb8aa3b, v11
	v_fma_f32 v17, 0x3fb8aa3b, v12, -v14
	v_cmp_ngt_f32_e32 vcc_lo, 0xc2ce8ed0, v11
	v_sub_f32_e32 v14, v14, v18
	s_delay_alu instid0(VALU_DEP_4) | instskip(SKIP_2) | instid1(VALU_DEP_3)
	v_fma_f32 v15, 0x3fb8aa3b, v11, -v13
	v_rndne_f32_e32 v16, v13
	v_fmac_f32_e32 v17, 0x32a5705f, v12
	v_fmac_f32_e32 v15, 0x32a5705f, v11
	s_delay_alu instid0(VALU_DEP_2) | instskip(NEXT) | instid1(VALU_DEP_1)
	v_dual_sub_f32 v13, v13, v16 :: v_dual_add_f32 v14, v14, v17
	v_add_f32_e32 v13, v13, v15
	s_delay_alu instid0(VALU_DEP_2) | instskip(SKIP_2) | instid1(VALU_DEP_3)
	v_exp_f32_e32 v14, v14
	v_cvt_i32_f32_e32 v15, v16
	v_cvt_i32_f32_e32 v16, v18
	v_exp_f32_e32 v13, v13
	s_waitcnt_depctr 0xfff
	v_ldexp_f32 v14, v14, v16
	v_ldexp_f32 v13, v13, v15
	s_delay_alu instid0(VALU_DEP_1) | instskip(SKIP_1) | instid1(VALU_DEP_4)
	v_cndmask_b32_e32 v13, 0, v13, vcc_lo
	v_cmp_ngt_f32_e32 vcc_lo, 0xc2ce8ed0, v12
	v_cndmask_b32_e32 v14, 0, v14, vcc_lo
	v_cmp_nlt_f32_e32 vcc_lo, 0x42b17218, v11
	s_delay_alu instid0(VALU_DEP_4) | instskip(SKIP_1) | instid1(VALU_DEP_4)
	v_cndmask_b32_e32 v13, 0x7f800000, v13, vcc_lo
	v_cmp_nlt_f32_e32 vcc_lo, 0x42b17218, v12
	v_cndmask_b32_e32 v14, 0x7f800000, v14, vcc_lo
	v_cmp_le_f32_e32 vcc_lo, 0xc1a00000, v11
	s_delay_alu instid0(VALU_DEP_4) | instskip(SKIP_1) | instid1(VALU_DEP_4)
	v_cndmask_b32_e32 v11, 0, v13, vcc_lo
	v_cmp_le_f32_e32 vcc_lo, 0xc1a00000, v12
	v_cndmask_b32_e32 v12, 0, v14, vcc_lo
	s_waitcnt vmcnt(0)
	s_delay_alu instid0(VALU_DEP_3) | instskip(NEXT) | instid1(VALU_DEP_1)
	v_mul_f32_e32 v10, v10, v11
	v_dual_mul_f32 v11, s5, v11 :: v_dual_fmac_f32 v10, v3, v12
	s_delay_alu instid0(VALU_DEP_1)
	v_fmac_f32_e32 v11, v7, v12
	s_cbranch_execz .LBB64_18
	s_branch .LBB64_19
.LBB64_17:                              ;   in Loop: Header=BB64_9 Depth=1
                                        ; implicit-def: $sgpr13
                                        ; implicit-def: $vgpr10
                                        ; implicit-def: $vgpr9
                                        ; implicit-def: $vgpr11
                                        ; implicit-def: $sgpr1
                                        ; implicit-def: $sgpr15
.LBB64_18:                              ;   in Loop: Header=BB64_9 Depth=1
	v_mov_b32_e32 v11, v7
	s_waitcnt vmcnt(0)
	v_dual_mov_b32 v9, v8 :: v_dual_mov_b32 v10, v3
	s_add_i32 s1, s14, -1
	s_mov_b32 s13, 0
	s_mov_b32 s15, s16
.LBB64_19:                              ;   in Loop: Header=BB64_9 Depth=1
	s_and_not1_b32 vcc_lo, exec_lo, s13
	s_cbranch_vccz .LBB64_23
; %bb.20:                               ;   in Loop: Header=BB64_9 Depth=1
	v_dual_mov_b32 v7, v11 :: v_dual_mov_b32 v8, v9
	s_waitcnt vmcnt(0)
	v_mov_b32_e32 v3, v10
	s_mov_b32 s16, s15
	s_mov_b32 s14, s1
	s_branch .LBB64_9
.LBB64_21:
                                        ; implicit-def: $sgpr16_sgpr17
	s_load_b128 s[8:11], s[0:1], 0x44
	s_branch .LBB64_2
.LBB64_22:
                                        ; implicit-def: $sgpr18_sgpr19
	s_branch .LBB64_5
.LBB64_23:
	v_div_scale_f32 v0, null, v11, v11, v10
	s_waitcnt vmcnt(0)
	s_delay_alu instid0(VALU_DEP_1) | instskip(SKIP_2) | instid1(VALU_DEP_1)
	v_rcp_f32_e32 v3, v0
	s_waitcnt_depctr 0xfff
	v_fma_f32 v4, -v0, v3, 1.0
	v_fmac_f32_e32 v3, v4, v3
	v_div_scale_f32 v4, vcc_lo, v10, v11, v10
	s_delay_alu instid0(VALU_DEP_1) | instskip(NEXT) | instid1(VALU_DEP_1)
	v_mul_f32_e32 v5, v4, v3
	v_fma_f32 v6, -v0, v5, v4
	s_delay_alu instid0(VALU_DEP_1) | instskip(NEXT) | instid1(VALU_DEP_1)
	v_fmac_f32_e32 v5, v6, v3
	v_fma_f32 v0, -v0, v5, v4
	s_delay_alu instid0(VALU_DEP_1) | instskip(NEXT) | instid1(VALU_DEP_1)
	v_div_fmas_f32 v0, v0, v3, v5
	v_div_fixup_f32 v0, v0, v11, v10
	global_store_b32 v[1:2], v0, off
.LBB64_24:
	s_nop 0
	s_sendmsg sendmsg(MSG_DEALLOC_VGPRS)
	s_endpgm
	.section	.rodata,"a",@progbits
	.p2align	6, 0x0
	.amdhsa_kernel _ZL33flash_attn_stream_k_fixup_generalILi128ELi8ELi1EEvPfPK15HIP_vector_typeIfLj2EEiiiiS1_IjLj3EES5_S5_S5_
		.amdhsa_group_segment_fixed_size 0
		.amdhsa_private_segment_fixed_size 0
		.amdhsa_kernarg_size 336
		.amdhsa_user_sgpr_count 13
		.amdhsa_user_sgpr_dispatch_ptr 0
		.amdhsa_user_sgpr_queue_ptr 0
		.amdhsa_user_sgpr_kernarg_segment_ptr 1
		.amdhsa_user_sgpr_dispatch_id 0
		.amdhsa_user_sgpr_private_segment_size 0
		.amdhsa_wavefront_size32 1
		.amdhsa_uses_dynamic_stack 0
		.amdhsa_enable_private_segment 0
		.amdhsa_system_sgpr_workgroup_id_x 1
		.amdhsa_system_sgpr_workgroup_id_y 1
		.amdhsa_system_sgpr_workgroup_id_z 1
		.amdhsa_system_sgpr_workgroup_info 0
		.amdhsa_system_vgpr_workitem_id 0
		.amdhsa_next_free_vgpr 19
		.amdhsa_next_free_sgpr 32
		.amdhsa_reserve_vcc 1
		.amdhsa_float_round_mode_32 0
		.amdhsa_float_round_mode_16_64 0
		.amdhsa_float_denorm_mode_32 3
		.amdhsa_float_denorm_mode_16_64 3
		.amdhsa_dx10_clamp 1
		.amdhsa_ieee_mode 1
		.amdhsa_fp16_overflow 0
		.amdhsa_workgroup_processor_mode 1
		.amdhsa_memory_ordered 1
		.amdhsa_forward_progress 0
		.amdhsa_shared_vgpr_count 0
		.amdhsa_exception_fp_ieee_invalid_op 0
		.amdhsa_exception_fp_denorm_src 0
		.amdhsa_exception_fp_ieee_div_zero 0
		.amdhsa_exception_fp_ieee_overflow 0
		.amdhsa_exception_fp_ieee_underflow 0
		.amdhsa_exception_fp_ieee_inexact 0
		.amdhsa_exception_int_div_zero 0
	.end_amdhsa_kernel
	.section	.text._ZL33flash_attn_stream_k_fixup_generalILi128ELi8ELi1EEvPfPK15HIP_vector_typeIfLj2EEiiiiS1_IjLj3EES5_S5_S5_,"axG",@progbits,_ZL33flash_attn_stream_k_fixup_generalILi128ELi8ELi1EEvPfPK15HIP_vector_typeIfLj2EEiiiiS1_IjLj3EES5_S5_S5_,comdat
.Lfunc_end64:
	.size	_ZL33flash_attn_stream_k_fixup_generalILi128ELi8ELi1EEvPfPK15HIP_vector_typeIfLj2EEiiiiS1_IjLj3EES5_S5_S5_, .Lfunc_end64-_ZL33flash_attn_stream_k_fixup_generalILi128ELi8ELi1EEvPfPK15HIP_vector_typeIfLj2EEiiiiS1_IjLj3EES5_S5_S5_
                                        ; -- End function
	.section	.AMDGPU.csdata,"",@progbits
; Kernel info:
; codeLenInByte = 3220
; NumSgprs: 34
; NumVgprs: 19
; ScratchSize: 0
; MemoryBound: 0
; FloatMode: 240
; IeeeMode: 1
; LDSByteSize: 0 bytes/workgroup (compile time only)
; SGPRBlocks: 4
; VGPRBlocks: 2
; NumSGPRsForWavesPerEU: 34
; NumVGPRsForWavesPerEU: 19
; Occupancy: 16
; WaveLimiterHint : 0
; COMPUTE_PGM_RSRC2:SCRATCH_EN: 0
; COMPUTE_PGM_RSRC2:USER_SGPR: 13
; COMPUTE_PGM_RSRC2:TRAP_HANDLER: 0
; COMPUTE_PGM_RSRC2:TGID_X_EN: 1
; COMPUTE_PGM_RSRC2:TGID_Y_EN: 1
; COMPUTE_PGM_RSRC2:TGID_Z_EN: 1
; COMPUTE_PGM_RSRC2:TIDIG_COMP_CNT: 0
	.section	.text._ZL15flash_attn_tileILi128ELi128ELi4ELi1ELb0EEvPKcS1_S1_S1_S1_PKiPfP15HIP_vector_typeIfLj2EEffffjfiS5_IjLj3EEiiiiiiiiiiiliiliiiiil,"axG",@progbits,_ZL15flash_attn_tileILi128ELi128ELi4ELi1ELb0EEvPKcS1_S1_S1_S1_PKiPfP15HIP_vector_typeIfLj2EEffffjfiS5_IjLj3EEiiiiiiiiiiiliiliiiiil,comdat
	.globl	_ZL15flash_attn_tileILi128ELi128ELi4ELi1ELb0EEvPKcS1_S1_S1_S1_PKiPfP15HIP_vector_typeIfLj2EEffffjfiS5_IjLj3EEiiiiiiiiiiiliiliiiiil ; -- Begin function _ZL15flash_attn_tileILi128ELi128ELi4ELi1ELb0EEvPKcS1_S1_S1_S1_PKiPfP15HIP_vector_typeIfLj2EEffffjfiS5_IjLj3EEiiiiiiiiiiiliiliiiiil
	.p2align	8
	.type	_ZL15flash_attn_tileILi128ELi128ELi4ELi1ELb0EEvPKcS1_S1_S1_S1_PKiPfP15HIP_vector_typeIfLj2EEffffjfiS5_IjLj3EEiiiiiiiiiiiliiliiiiil,@function
_ZL15flash_attn_tileILi128ELi128ELi4ELi1ELb0EEvPKcS1_S1_S1_S1_PKiPfP15HIP_vector_typeIfLj2EEffffjfiS5_IjLj3EEiiiiiiiiiiiliiliiiiil: ; @_ZL15flash_attn_tileILi128ELi128ELi4ELi1ELb0EEvPKcS1_S1_S1_S1_PKiPfP15HIP_vector_typeIfLj2EEffffjfiS5_IjLj3EEiiiiiiiiiiiliiliiiiil
; %bb.0:
	s_clause 0x3
	s_load_b128 s[8:11], s[0:1], 0x5c
	s_load_b64 s[42:43], s[0:1], 0x80
	s_load_b512 s[16:31], s[0:1], 0x0
	s_load_b64 s[44:45], s[0:1], 0xb8
	s_mov_b64 s[40:41], 0
	s_waitcnt lgkmcnt(0)
	v_cvt_f32_u32_e32 v1, s11
	s_sub_i32 s3, 0, s11
	s_delay_alu instid0(VALU_DEP_1) | instskip(SKIP_2) | instid1(VALU_DEP_1)
	v_rcp_iflag_f32_e32 v1, v1
	s_waitcnt_depctr 0xfff
	v_mul_f32_e32 v1, 0x4f7ffffe, v1
	v_cvt_u32_f32_e32 v1, v1
	s_delay_alu instid0(VALU_DEP_1) | instskip(NEXT) | instid1(VALU_DEP_1)
	v_readfirstlane_b32 s2, v1
	s_mul_i32 s3, s3, s2
	s_delay_alu instid0(SALU_CYCLE_1) | instskip(NEXT) | instid1(SALU_CYCLE_1)
	s_mul_hi_u32 s3, s2, s3
	s_add_i32 s2, s2, s3
	s_delay_alu instid0(SALU_CYCLE_1) | instskip(NEXT) | instid1(SALU_CYCLE_1)
	s_mul_hi_u32 s2, s15, s2
	s_mul_i32 s3, s2, s11
	s_add_i32 s4, s2, 1
	s_sub_i32 s3, s15, s3
	s_delay_alu instid0(SALU_CYCLE_1)
	s_sub_i32 s5, s3, s11
	s_cmp_ge_u32 s3, s11
	s_cselect_b32 s2, s4, s2
	s_cselect_b32 s3, s5, s3
	s_add_i32 s4, s2, 1
	s_cmp_ge_u32 s3, s11
	s_cselect_b32 s12, s4, s2
	s_abs_i32 s2, s43
	s_abs_i32 s6, s11
	v_cvt_f32_u32_e32 v1, s2
	s_sub_i32 s4, 0, s2
	s_mul_i32 s5, s12, s11
	s_delay_alu instid0(SALU_CYCLE_1) | instskip(NEXT) | instid1(VALU_DEP_1)
	s_sub_i32 s34, s15, s5
	v_rcp_iflag_f32_e32 v1, v1
	s_waitcnt_depctr 0xfff
	v_mul_f32_e32 v1, 0x4f7ffffe, v1
	s_delay_alu instid0(VALU_DEP_1) | instskip(NEXT) | instid1(VALU_DEP_1)
	v_cvt_u32_f32_e32 v1, v1
	v_readfirstlane_b32 s3, v1
	s_delay_alu instid0(VALU_DEP_1) | instskip(NEXT) | instid1(SALU_CYCLE_1)
	s_mul_i32 s4, s4, s3
	s_mul_hi_u32 s4, s3, s4
	s_delay_alu instid0(SALU_CYCLE_1) | instskip(SKIP_4) | instid1(SALU_CYCLE_1)
	s_add_i32 s3, s3, s4
	s_xor_b32 s4, s11, s43
	s_mul_hi_u32 s3, s6, s3
	s_ashr_i32 s4, s4, 31
	s_mul_i32 s5, s3, s2
	s_sub_i32 s5, s6, s5
	s_add_i32 s6, s3, 1
	s_sub_i32 s7, s5, s2
	s_cmp_ge_u32 s5, s2
	s_cselect_b32 s3, s6, s3
	s_cselect_b32 s5, s7, s5
	s_add_i32 s6, s3, 1
	s_cmp_ge_u32 s5, s2
	s_cselect_b32 s2, s6, s3
	s_abs_i32 s33, s34
	s_xor_b32 s2, s2, s4
	s_delay_alu instid0(SALU_CYCLE_1) | instskip(NEXT) | instid1(SALU_CYCLE_1)
	s_sub_i32 s5, s2, s4
	s_abs_i32 s15, s5
	s_delay_alu instid0(SALU_CYCLE_1) | instskip(SKIP_1) | instid1(VALU_DEP_1)
	v_cvt_f32_u32_e32 v1, s15
	s_sub_i32 s3, 0, s15
	v_rcp_iflag_f32_e32 v1, v1
	s_waitcnt_depctr 0xfff
	v_mul_f32_e32 v1, 0x4f7ffffe, v1
	s_delay_alu instid0(VALU_DEP_1) | instskip(NEXT) | instid1(VALU_DEP_1)
	v_cvt_u32_f32_e32 v1, v1
	v_readfirstlane_b32 s2, v1
	s_delay_alu instid0(VALU_DEP_1) | instskip(NEXT) | instid1(SALU_CYCLE_1)
	s_mul_i32 s3, s3, s2
	s_mul_hi_u32 s3, s2, s3
	s_delay_alu instid0(SALU_CYCLE_1)
	s_add_i32 s2, s2, s3
	s_cmp_eq_u64 s[22:23], 0
	s_cbranch_scc1 .LBB65_2
; %bb.1:
	s_abs_i32 s3, s44
	s_abs_i32 s35, s12
	v_cvt_f32_u32_e32 v1, s3
	s_sub_i32 s6, 0, s3
	s_delay_alu instid0(VALU_DEP_1) | instskip(SKIP_2) | instid1(VALU_DEP_1)
	v_rcp_iflag_f32_e32 v1, v1
	s_waitcnt_depctr 0xfff
	v_mul_f32_e32 v1, 0x4f7ffffe, v1
	v_cvt_u32_f32_e32 v1, v1
	s_delay_alu instid0(VALU_DEP_1) | instskip(NEXT) | instid1(VALU_DEP_1)
	v_readfirstlane_b32 s4, v1
	s_mul_i32 s6, s6, s4
	s_delay_alu instid0(SALU_CYCLE_1) | instskip(NEXT) | instid1(SALU_CYCLE_1)
	s_mul_hi_u32 s6, s4, s6
	s_add_i32 s4, s4, s6
	s_load_b64 s[6:7], s[0:1], 0xc8
	s_mul_hi_u32 s4, s35, s4
	s_delay_alu instid0(SALU_CYCLE_1) | instskip(NEXT) | instid1(SALU_CYCLE_1)
	s_mul_i32 s4, s4, s3
	s_sub_i32 s4, s35, s4
	s_ashr_i32 s35, s12, 31
	s_sub_i32 s36, s4, s3
	s_cmp_ge_u32 s4, s3
	s_cselect_b32 s4, s36, s4
	s_delay_alu instid0(SALU_CYCLE_1) | instskip(SKIP_2) | instid1(SALU_CYCLE_1)
	s_sub_i32 s36, s4, s3
	s_cmp_ge_u32 s4, s3
	s_cselect_b32 s3, s36, s4
	s_xor_b32 s3, s3, s35
	s_delay_alu instid0(SALU_CYCLE_1)
	s_sub_i32 s3, s3, s35
	s_waitcnt lgkmcnt(0)
	s_mul_i32 s4, s3, s7
	s_mul_hi_u32 s7, s3, s6
	s_ashr_i32 s35, s3, 31
	s_add_i32 s4, s7, s4
	s_mul_i32 s35, s35, s6
	s_mul_i32 s3, s3, s6
	s_add_i32 s4, s4, s35
	s_add_u32 s40, s22, s3
	s_addc_u32 s41, s23, s4
.LBB65_2:
	s_clause 0x1
	s_load_b128 s[36:39], s[0:1], 0x40
	s_load_b32 s3, s[0:1], 0x50
	v_mov_b32_e32 v29, 1.0
	s_mul_hi_u32 s22, s33, s2
	s_waitcnt lgkmcnt(0)
	v_cmp_le_f32_e64 s4, s37, 0
	s_delay_alu instid0(VALU_DEP_1)
	s_and_b32 vcc_lo, exec_lo, s4
	s_cbranch_vccnz .LBB65_4
; %bb.3:
	s_sub_i32 s2, s34, s3
	s_add_i32 s4, s34, 1
	s_lshl_b32 s2, s2, 1
	v_mov_b32_e32 v1, s38
	s_or_b32 s2, s2, 1
	s_cmp_lt_u32 s34, s3
	s_cselect_b32 vcc_lo, -1, 0
	s_delay_alu instid0(VALU_DEP_1)
	v_cndmask_b32_e32 v3, s39, v1, vcc_lo
	s_and_b32 s3, vcc_lo, exec_lo
	s_cselect_b32 s2, s4, s2
	s_mov_b32 s3, 0x3e76c4e1
	v_cvt_f32_i32_e32 v1, s2
	v_cmp_neq_f32_e32 vcc_lo, 1.0, v3
	s_delay_alu instid0(VALU_DEP_2) | instskip(NEXT) | instid1(VALU_DEP_1)
	v_cndmask_b32_e32 v4, 1.0, v1, vcc_lo
	v_cmp_eq_f32_e32 vcc_lo, 0, v4
	v_cndmask_b32_e64 v5, |v3|, 1.0, vcc_lo
	s_delay_alu instid0(VALU_DEP_1) | instskip(NEXT) | instid1(VALU_DEP_1)
	v_frexp_mant_f32_e32 v1, v5
	v_cmp_gt_f32_e64 s2, 0x3f2aaaab, v1
	s_delay_alu instid0(VALU_DEP_1) | instskip(NEXT) | instid1(VALU_DEP_1)
	v_cndmask_b32_e64 v2, 1.0, 2.0, s2
	v_mul_f32_e32 v1, v1, v2
	s_delay_alu instid0(VALU_DEP_1) | instskip(SKIP_1) | instid1(VALU_DEP_2)
	v_add_f32_e32 v2, 1.0, v1
	v_add_f32_e32 v7, -1.0, v1
	v_rcp_f32_e32 v6, v2
	s_waitcnt_depctr 0xfff
	v_mul_f32_e32 v8, v7, v6
	s_delay_alu instid0(VALU_DEP_1) | instskip(NEXT) | instid1(VALU_DEP_1)
	v_dual_add_f32 v9, -1.0, v2 :: v_dual_mul_f32 v10, v2, v8
	v_sub_f32_e32 v1, v1, v9
	v_cndmask_b32_e64 v3, v3, 1.0, vcc_lo
	s_delay_alu instid0(VALU_DEP_3) | instskip(NEXT) | instid1(VALU_DEP_2)
	v_fma_f32 v2, v8, v2, -v10
	v_cmp_eq_f32_e64 s4, 0, v3
	s_delay_alu instid0(VALU_DEP_2) | instskip(NEXT) | instid1(VALU_DEP_1)
	v_fmac_f32_e32 v2, v8, v1
	v_add_f32_e32 v1, v10, v2
	s_delay_alu instid0(VALU_DEP_1) | instskip(NEXT) | instid1(VALU_DEP_1)
	v_dual_sub_f32 v10, v1, v10 :: v_dual_sub_f32 v9, v7, v1
	v_dual_sub_f32 v2, v10, v2 :: v_dual_sub_f32 v7, v7, v9
	s_delay_alu instid0(VALU_DEP_1) | instskip(NEXT) | instid1(VALU_DEP_1)
	v_sub_f32_e32 v1, v7, v1
	v_add_f32_e32 v1, v2, v1
	s_delay_alu instid0(VALU_DEP_1) | instskip(NEXT) | instid1(VALU_DEP_1)
	v_add_f32_e32 v1, v9, v1
	v_mul_f32_e32 v1, v6, v1
	s_delay_alu instid0(VALU_DEP_1) | instskip(NEXT) | instid1(VALU_DEP_1)
	v_add_f32_e32 v6, v8, v1
	v_sub_f32_e32 v2, v6, v8
	v_mul_f32_e32 v7, v6, v6
	s_delay_alu instid0(VALU_DEP_2) | instskip(NEXT) | instid1(VALU_DEP_2)
	v_sub_f32_e32 v8, v1, v2
	v_fma_f32 v9, v6, v6, -v7
	s_delay_alu instid0(VALU_DEP_2) | instskip(NEXT) | instid1(VALU_DEP_1)
	v_add_f32_e32 v1, v8, v8
	v_fmac_f32_e32 v9, v6, v1
	v_cvt_f64_f32_e32 v[1:2], v5
	s_delay_alu instid0(VALU_DEP_2) | instskip(NEXT) | instid1(VALU_DEP_1)
	v_add_f32_e32 v10, v7, v9
	v_fmaak_f32 v11, s3, v10, 0x3e91f4c4
	v_sub_f32_e32 v7, v10, v7
	v_mul_f32_e32 v14, v6, v10
	s_delay_alu instid0(VALU_DEP_3) | instskip(NEXT) | instid1(VALU_DEP_3)
	v_fmaak_f32 v11, v10, v11, 0x3ecccdef
	v_sub_f32_e32 v7, v9, v7
	s_delay_alu instid0(VALU_DEP_2) | instskip(NEXT) | instid1(VALU_DEP_1)
	v_mul_f32_e32 v12, v10, v11
	v_fma_f32 v9, v10, v11, -v12
	s_delay_alu instid0(VALU_DEP_1) | instskip(NEXT) | instid1(VALU_DEP_1)
	v_fmac_f32_e32 v9, v7, v11
	v_add_f32_e32 v11, v12, v9
	v_frexp_exp_i32_f64_e32 v1, v[1:2]
	s_delay_alu instid0(VALU_DEP_2) | instskip(NEXT) | instid1(VALU_DEP_1)
	v_sub_f32_e32 v12, v11, v12
	v_sub_f32_e32 v2, v9, v12
	v_fma_f32 v12, v10, v6, -v14
	s_delay_alu instid0(VALU_DEP_2) | instskip(NEXT) | instid1(VALU_DEP_2)
	v_add_f32_e32 v2, 0x31739010, v2
	v_dual_add_f32 v13, 0x3f2aaaaa, v11 :: v_dual_fmac_f32 v12, v10, v8
	v_ldexp_f32 v8, v8, 1
	s_delay_alu instid0(VALU_DEP_2) | instskip(NEXT) | instid1(VALU_DEP_1)
	v_dual_add_f32 v9, 0xbf2aaaaa, v13 :: v_dual_fmac_f32 v12, v7, v6
	v_sub_f32_e32 v9, v11, v9
	s_delay_alu instid0(VALU_DEP_1) | instskip(NEXT) | instid1(VALU_DEP_3)
	v_add_f32_e32 v2, v2, v9
	v_add_f32_e32 v9, v14, v12
	s_delay_alu instid0(VALU_DEP_2) | instskip(NEXT) | instid1(VALU_DEP_1)
	v_add_f32_e32 v7, v13, v2
	v_sub_f32_e32 v10, v13, v7
	s_delay_alu instid0(VALU_DEP_3) | instskip(SKIP_2) | instid1(VALU_DEP_4)
	v_mul_f32_e32 v11, v9, v7
	v_sub_f32_e32 v13, v9, v14
	v_subrev_co_ci_u32_e64 v1, s2, 0, v1, s2
	v_add_f32_e32 v2, v2, v10
	s_delay_alu instid0(VALU_DEP_4) | instskip(NEXT) | instid1(VALU_DEP_4)
	v_fma_f32 v10, v9, v7, -v11
	v_sub_f32_e32 v12, v12, v13
	s_delay_alu instid0(VALU_DEP_4) | instskip(NEXT) | instid1(VALU_DEP_3)
	v_cvt_f32_i32_e32 v1, v1
	v_fmac_f32_e32 v10, v9, v2
	v_ldexp_f32 v2, v6, 1
	s_delay_alu instid0(VALU_DEP_2) | instskip(NEXT) | instid1(VALU_DEP_1)
	v_fmac_f32_e32 v10, v12, v7
	v_add_f32_e32 v6, v11, v10
	s_delay_alu instid0(VALU_DEP_1) | instskip(NEXT) | instid1(VALU_DEP_1)
	v_add_f32_e32 v7, v2, v6
	v_dual_sub_f32 v2, v7, v2 :: v_dual_sub_f32 v9, v6, v11
	s_delay_alu instid0(VALU_DEP_1) | instskip(NEXT) | instid1(VALU_DEP_2)
	v_sub_f32_e32 v2, v6, v2
	v_sub_f32_e32 v9, v10, v9
	s_delay_alu instid0(VALU_DEP_1) | instskip(NEXT) | instid1(VALU_DEP_1)
	v_add_f32_e32 v6, v8, v9
	v_dual_mul_f32 v11, 0x3f317218, v1 :: v_dual_add_f32 v2, v6, v2
	s_delay_alu instid0(VALU_DEP_1) | instskip(NEXT) | instid1(VALU_DEP_2)
	v_fma_f32 v10, 0x3f317218, v1, -v11
	v_add_f32_e32 v8, v7, v2
	s_delay_alu instid0(VALU_DEP_1) | instskip(NEXT) | instid1(VALU_DEP_1)
	v_sub_f32_e32 v7, v8, v7
	v_dual_fmamk_f32 v1, v1, 0xb102e308, v10 :: v_dual_sub_f32 v2, v2, v7
	s_delay_alu instid0(VALU_DEP_1) | instskip(NEXT) | instid1(VALU_DEP_1)
	v_add_f32_e32 v6, v11, v1
	v_add_f32_e32 v9, v6, v8
	s_delay_alu instid0(VALU_DEP_1) | instskip(NEXT) | instid1(VALU_DEP_1)
	v_dual_sub_f32 v11, v6, v11 :: v_dual_sub_f32 v10, v9, v6
	v_sub_f32_e32 v12, v9, v10
	s_delay_alu instid0(VALU_DEP_2) | instskip(NEXT) | instid1(VALU_DEP_2)
	v_sub_f32_e32 v1, v1, v11
	v_dual_sub_f32 v7, v8, v10 :: v_dual_sub_f32 v6, v6, v12
	s_delay_alu instid0(VALU_DEP_2) | instskip(NEXT) | instid1(VALU_DEP_2)
	v_add_f32_e32 v8, v1, v2
	v_add_f32_e32 v6, v7, v6
	s_delay_alu instid0(VALU_DEP_1) | instskip(NEXT) | instid1(VALU_DEP_1)
	v_add_f32_e32 v6, v8, v6
	v_dual_sub_f32 v7, v8, v1 :: v_dual_add_f32 v10, v9, v6
	s_delay_alu instid0(VALU_DEP_1) | instskip(SKIP_1) | instid1(VALU_DEP_3)
	v_sub_f32_e32 v8, v8, v7
	v_sub_f32_e32 v2, v2, v7
	;; [unrolled: 1-line block ×3, first 2 shown]
	s_delay_alu instid0(VALU_DEP_3) | instskip(NEXT) | instid1(VALU_DEP_1)
	v_sub_f32_e32 v1, v1, v8
	v_add_f32_e32 v1, v2, v1
	s_delay_alu instid0(VALU_DEP_3) | instskip(NEXT) | instid1(VALU_DEP_1)
	v_sub_f32_e32 v2, v6, v7
	v_add_f32_e32 v1, v1, v2
	s_delay_alu instid0(VALU_DEP_1) | instskip(NEXT) | instid1(VALU_DEP_1)
	v_add_f32_e32 v2, v10, v1
	v_mul_f32_e32 v7, v4, v2
	v_sub_f32_e32 v6, v2, v10
	s_delay_alu instid0(VALU_DEP_2) | instskip(NEXT) | instid1(VALU_DEP_2)
	v_fma_f32 v2, v4, v2, -v7
	v_sub_f32_e32 v1, v1, v6
	v_cmp_class_f32_e64 s2, v7, 0x204
	s_delay_alu instid0(VALU_DEP_2) | instskip(NEXT) | instid1(VALU_DEP_1)
	v_fmac_f32_e32 v2, v4, v1
	v_add_f32_e32 v1, v7, v2
	s_delay_alu instid0(VALU_DEP_1) | instskip(NEXT) | instid1(VALU_DEP_1)
	v_cndmask_b32_e64 v6, v1, v7, s2
	v_cmp_eq_f32_e64 s2, 0x42b17218, v6
	s_delay_alu instid0(VALU_DEP_1) | instskip(SKIP_1) | instid1(VALU_DEP_2)
	v_cndmask_b32_e64 v8, 0, 0x37000000, s2
	v_cmp_neq_f32_e64 s2, 0x7f800000, |v6|
	v_sub_f32_e32 v9, v6, v8
	v_trunc_f32_e32 v6, v4
	s_delay_alu instid0(VALU_DEP_2) | instskip(NEXT) | instid1(VALU_DEP_1)
	v_mul_f32_e32 v10, 0x3fb8aa3b, v9
	v_fma_f32 v11, 0x3fb8aa3b, v9, -v10
	v_rndne_f32_e32 v12, v10
	s_delay_alu instid0(VALU_DEP_1) | instskip(NEXT) | instid1(VALU_DEP_1)
	v_dual_fmamk_f32 v11, v9, 0x32a5705f, v11 :: v_dual_sub_f32 v10, v10, v12
	v_add_f32_e32 v10, v10, v11
	v_sub_f32_e32 v1, v1, v7
	v_cvt_i32_f32_e32 v7, v12
	s_delay_alu instid0(VALU_DEP_3) | instskip(NEXT) | instid1(VALU_DEP_2)
	v_exp_f32_e32 v10, v10
	v_sub_f32_e32 v1, v2, v1
	s_delay_alu instid0(VALU_DEP_1)
	v_cndmask_b32_e64 v1, 0, v1, s2
	v_cmp_ngt_f32_e64 s2, 0xc2ce8ed0, v9
	s_waitcnt_depctr 0xfff
	v_ldexp_f32 v2, v10, v7
	v_mul_f32_e32 v7, 0.5, v4
	v_add_f32_e32 v1, v8, v1
	s_delay_alu instid0(VALU_DEP_3) | instskip(NEXT) | instid1(VALU_DEP_3)
	v_cndmask_b32_e64 v2, 0, v2, s2
	v_trunc_f32_e32 v10, v7
	v_cmp_nlt_f32_e64 s2, 0x42b17218, v9
	s_delay_alu instid0(VALU_DEP_2) | instskip(NEXT) | instid1(VALU_DEP_2)
	v_cmp_neq_f32_e64 s3, v10, v7
	v_cndmask_b32_e64 v2, 0x7f800000, v2, s2
	v_cmp_eq_f32_e64 s2, v6, v4
	s_delay_alu instid0(VALU_DEP_2) | instskip(NEXT) | instid1(VALU_DEP_2)
	v_fma_f32 v1, v2, v1, v2
	s_and_b32 vcc_lo, s2, s3
	v_cmp_class_f32_e64 s3, v2, 0x204
	v_cndmask_b32_e32 v6, 1.0, v3, vcc_lo
	s_delay_alu instid0(VALU_DEP_2) | instskip(SKIP_1) | instid1(VALU_DEP_2)
	v_cndmask_b32_e64 v1, v1, v2, s3
	v_cmp_gt_f32_e64 s3, 0, v4
	v_bfi_b32 v1, 0x7fffffff, v1, v6
	v_cndmask_b32_e32 v6, 0, v3, vcc_lo
	s_delay_alu instid0(VALU_DEP_3)
	s_xor_b32 s3, s3, s4
	v_cmp_eq_f32_e32 vcc_lo, 0x7f800000, v5
	v_cndmask_b32_e64 v2, 0x7f800000, 0, s3
	v_cndmask_b32_e64 v4, 0x7fc00000, v1, s2
	v_cmp_gt_f32_e64 s2, 0, v3
	s_or_b32 vcc_lo, vcc_lo, s4
	s_delay_alu instid0(VALU_DEP_3) | instskip(NEXT) | instid1(VALU_DEP_2)
	v_bfi_b32 v2, 0x7fffffff, v2, v6
	v_cndmask_b32_e64 v1, v1, v4, s2
	s_delay_alu instid0(VALU_DEP_1) | instskip(SKIP_1) | instid1(VALU_DEP_2)
	v_cndmask_b32_e32 v1, v1, v2, vcc_lo
	v_cmp_o_f32_e32 vcc_lo, v3, v3
	v_cndmask_b32_e32 v29, 0x7fc00000, v1, vcc_lo
.LBB65_4:
	v_bfe_u32 v28, v0, 10, 10
	s_load_b128 s[48:51], s[0:1], 0x70
	s_ashr_i32 s35, s34, 31
	s_ashr_i32 s2, s5, 31
	v_mov_b32_e32 v20, 0
	v_lshl_add_u32 v4, s13, 2, v28
	s_delay_alu instid0(VALU_DEP_1) | instskip(NEXT) | instid1(VALU_DEP_1)
	v_mul_hi_u32 v1, s8, v4
	v_add_nc_u32_e32 v1, v4, v1
	s_waitcnt lgkmcnt(0)
	s_mul_i32 s3, s12, s50
	s_mul_i32 s4, s34, s49
	s_delay_alu instid0(VALU_DEP_1)
	v_lshrrev_b32_e32 v1, s9, v1
	s_ashr_i32 s5, s3, 31
	s_add_u32 s3, s16, s3
	s_addc_u32 s5, s17, s5
	s_ashr_i32 s6, s4, 31
	v_mul_lo_u32 v1, v1, s10
	s_add_u32 s3, s3, s4
	s_addc_u32 s4, s5, s6
	s_ashr_i32 s5, s48, 31
	s_delay_alu instid0(SALU_CYCLE_1) | instskip(SKIP_2) | instid1(VALU_DEP_2)
	v_alignbit_b32 v3, s5, s48, 2
	s_lshr_b32 s5, s5, 2
	s_cmp_eq_u64 s[26:27], 0
	v_sub_nc_u32_e32 v32, v4, v1
	s_delay_alu instid0(VALU_DEP_1) | instskip(NEXT) | instid1(VALU_DEP_1)
	v_mad_u64_u32 v[1:2], null, v3, v32, 0
	v_mad_u64_u32 v[5:6], null, s5, v32, v[2:3]
	v_and_b32_e32 v3, 0x3ff, v0
	s_delay_alu instid0(VALU_DEP_1) | instskip(NEXT) | instid1(VALU_DEP_1)
	v_dual_mov_b32 v2, v5 :: v_dual_lshlrev_b32 v27, 1, v3
	v_lshlrev_b64 v[0:1], 2, v[1:2]
	v_lshlrev_b32_e32 v2, 4, v3
	s_delay_alu instid0(VALU_DEP_2) | instskip(NEXT) | instid1(VALU_DEP_3)
	v_add_co_u32 v0, vcc_lo, s3, v0
	v_add_co_ci_u32_e32 v1, vcc_lo, s4, v1, vcc_lo
	s_delay_alu instid0(VALU_DEP_2) | instskip(NEXT) | instid1(VALU_DEP_2)
	v_add_co_u32 v0, vcc_lo, v0, v2
	v_add_co_ci_u32_e32 v1, vcc_lo, 0, v1, vcc_lo
	v_lshlrev_b32_e32 v2, 6, v28
	global_load_b128 v[5:8], v[0:1], off
	v_add_lshl_u32 v2, v2, v27, 2
	s_waitcnt vmcnt(0)
	v_fma_mixlo_f16 v1, v7, s36, 0
	v_fma_mixlo_f16 v0, v5, s36, 0
	s_delay_alu instid0(VALU_DEP_2) | instskip(NEXT) | instid1(VALU_DEP_2)
	v_fma_mixhi_f16 v1, v8, s36, 0
	v_fma_mixhi_f16 v0, v6, s36, 0
	ds_store_b64 v2, v[0:1] offset:9216
	s_waitcnt lgkmcnt(0)
	s_barrier
	buffer_gl0_inv
	s_cbranch_scc1 .LBB65_6
; %bb.5:
	s_load_b32 s3, s[0:1], 0xd0
	s_mov_b32 s5, 0
	s_waitcnt lgkmcnt(0)
	s_mul_i32 s3, s3, s12
	s_delay_alu instid0(SALU_CYCLE_1) | instskip(NEXT) | instid1(SALU_CYCLE_1)
	s_add_i32 s4, s3, s13
	s_lshl_b64 s[4:5], s[4:5], 2
	s_delay_alu instid0(SALU_CYCLE_1)
	s_add_u32 s4, s26, s4
	s_addc_u32 s5, s27, s5
	s_load_b32 s42, s[4:5], 0x0
.LBB65_6:
	s_clause 0x1
	s_load_b64 s[26:27], s[0:1], 0x8c
	s_load_b128 s[4:7], s[0:1], 0x98
	s_ashr_i32 s3, s12, 31
	s_load_b64 s[36:37], s[0:1], 0xa8
	s_ashr_i32 s16, s45, 1
	s_mul_i32 s8, s22, s15
	v_dual_mov_b32 v5, 0xfeffffff :: v_dual_lshlrev_b32 v22, 2, v3
	v_mov_b32_e32 v26, 0
	v_lshrrev_b32_e32 v34, 3, v3
	v_mul_u32_u24_e32 v33, 0x90, v3
	s_delay_alu instid0(VALU_DEP_4)
	v_and_b32_e32 v35, 28, v22
	v_lshrrev_b32_e32 v30, 4, v3
	v_and_b32_e32 v31, 60, v22
	v_lshlrev_b32_e32 v24, 3, v3
	v_mbcnt_lo_u32_b32 v23, -1, 0
	s_waitcnt lgkmcnt(0)
	s_ashr_i32 s17, s26, 2
	s_ashr_i32 s9, s6, 2
	s_mul_i32 s5, s12, s5
	s_mul_hi_u32 s6, s12, s4
	s_mul_i32 s13, s3, s4
	s_add_i32 s5, s6, s5
	s_mul_i32 s4, s12, s4
	s_add_i32 s5, s5, s13
	s_add_u32 s4, s18, s4
	s_addc_u32 s5, s19, s5
	s_sub_i32 s6, s33, s8
	s_xor_b32 s2, s35, s2
	s_add_i32 s8, s22, 1
	s_sub_i32 s13, s6, s15
	s_cmp_ge_u32 s6, s15
	s_mul_i32 s3, s3, s36
	s_cselect_b32 s8, s8, s22
	s_cselect_b32 s6, s13, s6
	s_add_i32 s13, s8, 1
	s_cmp_ge_u32 s6, s15
	s_mul_i32 s15, s12, s36
	s_cselect_b32 s6, s13, s8
	s_mul_i32 s8, s12, s37
	s_xor_b32 s6, s6, s2
	s_mul_hi_u32 s13, s12, s36
	s_sub_i32 s2, s6, s2
	s_delay_alu instid0(SALU_CYCLE_1)
	s_mul_i32 s6, s2, s27
	s_mul_i32 s2, s2, s7
	s_ashr_i32 s18, s6, 31
	s_add_u32 s4, s4, s6
	s_addc_u32 s5, s5, s18
	s_add_i32 s6, s13, s8
	s_delay_alu instid0(SALU_CYCLE_1)
	s_add_i32 s6, s6, s3
	s_add_u32 s3, s20, s15
	s_addc_u32 s6, s21, s6
	s_ashr_i32 s7, s2, 31
	s_add_u32 s13, s3, s2
	s_addc_u32 s15, s6, s7
	s_lshl_b32 s8, s14, 6
	s_sub_i32 s6, s42, 64
	s_delay_alu instid0(SALU_CYCLE_1)
	s_cmp_ge_i32 s8, s6
	s_cbranch_scc1 .LBB65_15
; %bb.7:
	v_lshl_add_u32 v2, v28, 2, v34
	v_lshl_add_u32 v8, v28, 1, v30
	s_lshl_b32 s2, s17, 4
	s_cmp_lg_u64 s[40:41], 0
	v_mad_u64_u32 v[0:1], null, v32, s16, v[3:4]
	v_mul_lo_u32 v5, s17, v2
	v_mul_lo_u32 v12, s9, v8
	s_cselect_b32 s7, -1, 0
	s_lshl_b32 s3, s9, 3
	v_dual_mov_b32 v25, 0 :: v_dual_lshlrev_b32 v6, 2, v35
	v_dual_mov_b32 v26, 0 :: v_dual_lshlrev_b32 v1, 2, v31
	s_delay_alu instid0(VALU_DEP_4) | instskip(NEXT) | instid1(VALU_DEP_4)
	v_dual_mov_b32 v50, 0 :: v_dual_add_nc_u32 v7, s2, v5
	v_dual_mov_b32 v51, 0xfeffffff :: v_dual_add_nc_u32 v14, s3, v12
	s_delay_alu instid0(VALU_DEP_4) | instskip(NEXT) | instid1(VALU_DEP_3)
	v_mad_u32_u24 v38, 0x90, v2, v6
	v_add_nc_u32_e32 v9, s2, v7
	v_lshl_or_b32 v39, v8, 8, v1
	s_delay_alu instid0(VALU_DEP_4)
	v_add_nc_u32_e32 v18, s3, v14
	v_ashrrev_i32_e32 v6, 31, v5
	v_ashrrev_i32_e32 v8, 31, v7
	v_add_nc_u32_e32 v16, s2, v9
	v_ashrrev_i32_e32 v10, 31, v9
	v_add_nc_u32_e32 v20, s3, v18
	v_ashrrev_i32_e32 v13, 31, v12
	v_ashrrev_i32_e32 v15, 31, v14
	;; [unrolled: 1-line block ×5, first 2 shown]
	v_lshl_add_u32 v37, v28, 7, 0x2800
	v_lshlrev_b64 v[1:2], 2, v[5:6]
	v_lshlrev_b64 v[6:7], 2, v[7:8]
	;; [unrolled: 1-line block ×8, first 2 shown]
	v_lshl_add_u32 v36, v28, 8, 0x2400
	v_add_nc_u32_e32 v40, 0x900, v38
	v_add_nc_u32_e32 v41, 0x1200, v38
	;; [unrolled: 1-line block ×3, first 2 shown]
	v_lshl_add_u32 v43, v3, 1, v37
	v_add_nc_u32_e32 v44, 0x800, v39
	v_add_nc_u32_e32 v45, 0x1000, v39
	;; [unrolled: 1-line block ×3, first 2 shown]
	s_add_u32 s2, s0, 0xd0
	v_lshlrev_b32_e32 v47, 2, v35
	v_lshlrev_b32_e32 v48, 2, v31
	v_mbcnt_lo_u32_b32 v49, -1, 0
	s_addc_u32 s3, s1, 0
	s_add_u32 s18, s40, 64
	s_addc_u32 s19, s41, 0
.LBB65_8:                               ; =>This Inner Loop Header: Depth=1
	s_mul_hi_i32 s21, s8, s17
	s_mul_i32 s20, s8, s17
	s_delay_alu instid0(SALU_CYCLE_1) | instskip(NEXT) | instid1(SALU_CYCLE_1)
	s_lshl_b64 s[20:21], s[20:21], 2
	s_add_u32 s20, s4, s20
	s_addc_u32 s21, s5, s21
	v_add_co_u32 v5, vcc_lo, s20, v1
	v_add_co_ci_u32_e32 v21, vcc_lo, s21, v2, vcc_lo
	v_add_co_u32 v52, vcc_lo, s20, v6
	v_add_co_ci_u32_e32 v53, vcc_lo, s21, v7, vcc_lo
	s_delay_alu instid0(VALU_DEP_4) | instskip(NEXT) | instid1(VALU_DEP_4)
	v_add_co_u32 v20, vcc_lo, v5, v47
	v_add_co_ci_u32_e32 v21, vcc_lo, 0, v21, vcc_lo
	s_delay_alu instid0(VALU_DEP_4) | instskip(NEXT) | instid1(VALU_DEP_4)
	v_add_co_u32 v68, vcc_lo, v52, v47
	v_add_co_ci_u32_e32 v69, vcc_lo, 0, v53, vcc_lo
	v_add_co_u32 v5, vcc_lo, s20, v8
	v_add_co_ci_u32_e32 v52, vcc_lo, s21, v9, vcc_lo
	;; [unrolled: 2-line block ×3, first 2 shown]
	s_delay_alu instid0(VALU_DEP_4) | instskip(NEXT) | instid1(VALU_DEP_4)
	v_add_co_u32 v70, vcc_lo, v5, v47
	v_add_co_ci_u32_e32 v71, vcc_lo, 0, v52, vcc_lo
	s_delay_alu instid0(VALU_DEP_4) | instskip(NEXT) | instid1(VALU_DEP_4)
	v_add_co_u32 v72, vcc_lo, v53, v47
	v_add_co_ci_u32_e32 v73, vcc_lo, 0, v54, vcc_lo
	s_clause 0x3
	global_load_b128 v[52:55], v[20:21], off
	global_load_b128 v[56:59], v[68:69], off
	;; [unrolled: 1-line block ×4, first 2 shown]
	v_mov_b32_e32 v5, 0
	s_and_not1_b32 vcc_lo, exec_lo, s7
	s_waitcnt vmcnt(3)
	ds_store_b128 v38, v[52:55]
	s_waitcnt vmcnt(2)
	ds_store_b128 v40, v[56:59]
	s_waitcnt vmcnt(1)
	ds_store_b128 v41, v[60:63]
	s_waitcnt vmcnt(0)
	ds_store_b128 v42, v[64:67]
	v_mov_b32_e32 v52, 0
	s_waitcnt lgkmcnt(0)
	s_barrier
	buffer_gl0_inv
	ds_load_b128 v[53:56], v33
	ds_load_b128 v[57:60], v36
	ds_load_b128 v[61:64], v33 offset:4608
	s_waitcnt lgkmcnt(1)
	;;#ASMSTART
	v_dot2_f32_f16 v5, v53, v57, v5
	;;#ASMEND
	;;#ASMSTART
	v_dot2_f32_f16 v5, v54, v58, v5
	;;#ASMEND
	;;#ASMSTART
	v_dot2_f32_f16 v5, v55, v59, v5
	;;#ASMEND
	;;#ASMSTART
	v_dot2_f32_f16 v5, v56, v60, v5
	;;#ASMEND
	s_waitcnt lgkmcnt(0)
	;;#ASMSTART
	v_dot2_f32_f16 v52, v61, v57, v52
	;;#ASMEND
	;;#ASMSTART
	v_dot2_f32_f16 v52, v62, v58, v52
	;;#ASMEND
	;;#ASMSTART
	v_dot2_f32_f16 v52, v63, v59, v52
	;;#ASMEND
	;;#ASMSTART
	v_dot2_f32_f16 v52, v64, v60, v52
	;;#ASMEND
	ds_load_b128 v[53:56], v33 offset:16
	ds_load_b128 v[57:60], v36 offset:16
	ds_load_b128 v[61:64], v33 offset:4624
	s_waitcnt lgkmcnt(1)
	;;#ASMSTART
	v_dot2_f32_f16 v5, v53, v57, v5
	;;#ASMEND
	;;#ASMSTART
	v_dot2_f32_f16 v5, v54, v58, v5
	;;#ASMEND
	;;#ASMSTART
	v_dot2_f32_f16 v5, v55, v59, v5
	;;#ASMEND
	;;#ASMSTART
	v_dot2_f32_f16 v5, v56, v60, v5
	;;#ASMEND
	s_waitcnt lgkmcnt(0)
	;;#ASMSTART
	v_dot2_f32_f16 v52, v61, v57, v52
	;;#ASMEND
	;;#ASMSTART
	v_dot2_f32_f16 v52, v62, v58, v52
	;;#ASMEND
	;;#ASMSTART
	v_dot2_f32_f16 v52, v63, v59, v52
	;;#ASMEND
	;;#ASMSTART
	v_dot2_f32_f16 v52, v64, v60, v52
	;;#ASMEND
	ds_load_b128 v[53:56], v33 offset:32
	ds_load_b128 v[57:60], v36 offset:32
	;; [unrolled: 29-line block ×7, first 2 shown]
	ds_load_b128 v[61:64], v33 offset:4720
	s_waitcnt lgkmcnt(1)
	;;#ASMSTART
	v_dot2_f32_f16 v5, v53, v57, v5
	;;#ASMEND
	;;#ASMSTART
	v_dot2_f32_f16 v5, v54, v58, v5
	;;#ASMEND
	;; [unrolled: 3-line block ×4, first 2 shown]
	s_waitcnt lgkmcnt(0)
	;;#ASMSTART
	v_dot2_f32_f16 v52, v61, v57, v52
	;;#ASMEND
	;;#ASMSTART
	v_dot2_f32_f16 v52, v62, v58, v52
	;;#ASMEND
	;; [unrolled: 3-line block ×4, first 2 shown]
	s_barrier
	buffer_gl0_inv
	s_clause 0x3
	global_load_b128 v[53:56], v[20:21], off offset:128
	global_load_b128 v[57:60], v[68:69], off offset:128
	;; [unrolled: 1-line block ×4, first 2 shown]
	v_add_nc_u32_e32 v20, s8, v0
	s_waitcnt vmcnt(3)
	ds_store_b128 v38, v[53:56]
	s_waitcnt vmcnt(2)
	ds_store_b128 v40, v[57:60]
	;; [unrolled: 2-line block ×4, first 2 shown]
	s_waitcnt lgkmcnt(0)
	s_barrier
	buffer_gl0_inv
	ds_load_b128 v[53:56], v33
	ds_load_b128 v[57:60], v36 offset:128
	ds_load_b128 v[61:64], v33 offset:4608
	s_waitcnt lgkmcnt(1)
	;;#ASMSTART
	v_dot2_f32_f16 v5, v53, v57, v5
	;;#ASMEND
	;;#ASMSTART
	v_dot2_f32_f16 v5, v54, v58, v5
	;;#ASMEND
	;;#ASMSTART
	v_dot2_f32_f16 v5, v55, v59, v5
	;;#ASMEND
	;;#ASMSTART
	v_dot2_f32_f16 v5, v56, v60, v5
	;;#ASMEND
	s_waitcnt lgkmcnt(0)
	;;#ASMSTART
	v_dot2_f32_f16 v52, v61, v57, v52
	;;#ASMEND
	;;#ASMSTART
	v_dot2_f32_f16 v52, v62, v58, v52
	;;#ASMEND
	;;#ASMSTART
	v_dot2_f32_f16 v52, v63, v59, v52
	;;#ASMEND
	;;#ASMSTART
	v_dot2_f32_f16 v52, v64, v60, v52
	;;#ASMEND
	ds_load_b128 v[53:56], v33 offset:16
	ds_load_b128 v[57:60], v36 offset:144
	ds_load_b128 v[61:64], v33 offset:4624
	s_waitcnt lgkmcnt(1)
	;;#ASMSTART
	v_dot2_f32_f16 v5, v53, v57, v5
	;;#ASMEND
	;;#ASMSTART
	v_dot2_f32_f16 v5, v54, v58, v5
	;;#ASMEND
	;;#ASMSTART
	v_dot2_f32_f16 v5, v55, v59, v5
	;;#ASMEND
	;;#ASMSTART
	v_dot2_f32_f16 v5, v56, v60, v5
	;;#ASMEND
	s_waitcnt lgkmcnt(0)
	;;#ASMSTART
	v_dot2_f32_f16 v52, v61, v57, v52
	;;#ASMEND
	;;#ASMSTART
	v_dot2_f32_f16 v52, v62, v58, v52
	;;#ASMEND
	;;#ASMSTART
	v_dot2_f32_f16 v52, v63, v59, v52
	;;#ASMEND
	;;#ASMSTART
	v_dot2_f32_f16 v52, v64, v60, v52
	;;#ASMEND
	ds_load_b128 v[53:56], v33 offset:32
	;; [unrolled: 29-line block ×6, first 2 shown]
	ds_load_b128 v[57:60], v36 offset:224
	ds_load_b128 v[61:64], v33 offset:4704
	s_waitcnt lgkmcnt(1)
	;;#ASMSTART
	v_dot2_f32_f16 v5, v53, v57, v5
	;;#ASMEND
	v_mov_b32_e32 v53, 0
	;;#ASMSTART
	v_dot2_f32_f16 v5, v54, v58, v5
	;;#ASMEND
	;;#ASMSTART
	v_dot2_f32_f16 v5, v55, v59, v5
	;;#ASMEND
	;; [unrolled: 3-line block ×3, first 2 shown]
	s_waitcnt lgkmcnt(0)
	;;#ASMSTART
	v_dot2_f32_f16 v52, v61, v57, v52
	;;#ASMEND
	;;#ASMSTART
	v_dot2_f32_f16 v52, v62, v58, v52
	;;#ASMEND
	;; [unrolled: 3-line block ×4, first 2 shown]
	ds_load_b128 v[54:57], v33 offset:112
	ds_load_b128 v[58:61], v36 offset:240
	;; [unrolled: 1-line block ×3, first 2 shown]
	s_waitcnt lgkmcnt(1)
	;;#ASMSTART
	v_dot2_f32_f16 v5, v54, v58, v5
	;;#ASMEND
	v_ashrrev_i32_e32 v21, 31, v20
	;;#ASMSTART
	v_dot2_f32_f16 v5, v55, v59, v5
	;;#ASMEND
	;;#ASMSTART
	v_dot2_f32_f16 v5, v56, v60, v5
	;;#ASMEND
	;; [unrolled: 3-line block ×3, first 2 shown]
	s_waitcnt lgkmcnt(0)
	;;#ASMSTART
	v_dot2_f32_f16 v52, v62, v58, v52
	;;#ASMEND
	;;#ASMSTART
	v_dot2_f32_f16 v52, v63, v59, v52
	;;#ASMEND
	;;#ASMSTART
	v_dot2_f32_f16 v52, v64, v60, v52
	;;#ASMEND
	;;#ASMSTART
	v_dot2_f32_f16 v52, v65, v61, v52
	;;#ASMEND
	s_cbranch_vccnz .LBB65_10
; %bb.9:                                ;   in Loop: Header=BB65_8 Depth=1
	v_lshlrev_b64 v[53:54], 1, v[20:21]
	s_delay_alu instid0(VALU_DEP_1) | instskip(NEXT) | instid1(VALU_DEP_2)
	v_add_co_u32 v53, vcc_lo, s40, v53
	v_add_co_ci_u32_e32 v54, vcc_lo, s41, v54, vcc_lo
	flat_load_u16 v53, v[53:54]
	s_waitcnt vmcnt(0) lgkmcnt(0)
	v_cvt_f32_f16_e32 v53, v53
	s_delay_alu instid0(VALU_DEP_1)
	v_mul_f32_e32 v53, v29, v53
.LBB65_10:                              ;   in Loop: Header=BB65_8 Depth=1
	s_and_not1_b32 vcc_lo, exec_lo, s7
	s_cbranch_vccnz .LBB65_12
; %bb.11:                               ;   in Loop: Header=BB65_8 Depth=1
	v_lshlrev_b64 v[20:21], 1, v[20:21]
	s_delay_alu instid0(VALU_DEP_1) | instskip(NEXT) | instid1(VALU_DEP_2)
	v_add_co_u32 v20, vcc_lo, s18, v20
	v_add_co_ci_u32_e32 v21, vcc_lo, s19, v21, vcc_lo
	flat_load_u16 v20, v[20:21]
	s_waitcnt vmcnt(0) lgkmcnt(0)
	v_cvt_f32_f16_e32 v20, v20
	s_delay_alu instid0(VALU_DEP_1)
	v_mul_f32_e32 v20, v29, v20
	s_branch .LBB65_13
.LBB65_12:                              ;   in Loop: Header=BB65_8 Depth=1
	v_mov_b32_e32 v20, 0
.LBB65_13:                              ;   in Loop: Header=BB65_8 Depth=1
	s_mul_hi_i32 s21, s8, s9
	s_mul_i32 s20, s8, s9
	s_delay_alu instid0(SALU_CYCLE_1)
	s_lshl_b64 s[20:21], s[20:21], 2
	s_barrier
	s_add_u32 s20, s13, s20
	s_addc_u32 s21, s15, s21
	v_add_co_u32 v21, vcc_lo, s20, v12
	v_add_co_ci_u32_e32 v55, vcc_lo, s21, v13, vcc_lo
	v_add_co_u32 v56, vcc_lo, s20, v14
	v_add_co_ci_u32_e32 v57, vcc_lo, s21, v15, vcc_lo
	s_delay_alu instid0(VALU_DEP_4) | instskip(NEXT) | instid1(VALU_DEP_4)
	v_add_co_u32 v54, vcc_lo, v21, v48
	v_add_co_ci_u32_e32 v55, vcc_lo, 0, v55, vcc_lo
	s_delay_alu instid0(VALU_DEP_4) | instskip(NEXT) | instid1(VALU_DEP_4)
	v_add_co_u32 v58, vcc_lo, v56, v48
	v_add_co_ci_u32_e32 v59, vcc_lo, 0, v57, vcc_lo
	v_add_co_u32 v21, vcc_lo, s20, v16
	v_add_co_ci_u32_e32 v56, vcc_lo, s21, v17, vcc_lo
	v_add_co_u32 v57, vcc_lo, s20, v18
	v_add_co_ci_u32_e32 v60, vcc_lo, s21, v19, vcc_lo
	s_delay_alu instid0(VALU_DEP_4) | instskip(NEXT) | instid1(VALU_DEP_4)
	v_add_co_u32 v62, vcc_lo, v21, v48
	v_add_co_ci_u32_e32 v63, vcc_lo, 0, v56, vcc_lo
	s_delay_alu instid0(VALU_DEP_4) | instskip(NEXT) | instid1(VALU_DEP_4)
	v_add_co_u32 v66, vcc_lo, v57, v48
	v_add_co_ci_u32_e32 v67, vcc_lo, 0, v60, vcc_lo
	buffer_gl0_inv
	s_clause 0x3
	global_load_b128 v[54:57], v[54:55], off
	global_load_b128 v[58:61], v[58:59], off
	;; [unrolled: 1-line block ×4, first 2 shown]
	v_dual_add_f32 v53, v5, v53 :: v_dual_add_f32 v20, v52, v20
	v_xor_b32_e32 v5, 16, v49
	s_or_b32 s20, s8, 32
	s_delay_alu instid0(VALU_DEP_2) | instskip(NEXT) | instid1(VALU_DEP_2)
	v_dual_add_f32 v21, 0x40051340, v53 :: v_dual_add_f32 v52, 0x40051340, v20
	v_cmp_gt_i32_e32 vcc_lo, 32, v5
	s_mul_hi_i32 s21, s20, s9
	s_mul_i32 s20, s20, s9
	s_delay_alu instid0(VALU_DEP_2) | instskip(SKIP_3) | instid1(SALU_CYCLE_1)
	v_max3_f32 v21, v51, v21, v52
	v_xor_b32_e32 v52, 8, v49
	v_cndmask_b32_e32 v5, v49, v5, vcc_lo
	s_lshl_b64 s[20:21], s[20:21], 2
	s_add_u32 s20, s13, s20
	s_delay_alu instid0(VALU_DEP_2) | instskip(SKIP_2) | instid1(VALU_DEP_1)
	v_cmp_gt_i32_e32 vcc_lo, 32, v52
	s_addc_u32 s21, s15, s21
	v_cndmask_b32_e32 v52, v49, v52, vcc_lo
	v_lshlrev_b32_e32 v52, 2, v52
	v_lshlrev_b32_e32 v5, 2, v5
	ds_bpermute_b32 v5, v5, v21
	s_waitcnt lgkmcnt(0)
	v_max_f32_e32 v5, v5, v5
	s_delay_alu instid0(VALU_DEP_1) | instskip(SKIP_2) | instid1(VALU_DEP_1)
	v_max_f32_e32 v5, v21, v5
	ds_bpermute_b32 v21, v52, v5
	v_xor_b32_e32 v52, 4, v49
	v_cmp_gt_i32_e32 vcc_lo, 32, v52
	v_cndmask_b32_e32 v52, v49, v52, vcc_lo
	s_waitcnt lgkmcnt(0)
	s_delay_alu instid0(VALU_DEP_1) | instskip(NEXT) | instid1(VALU_DEP_1)
	v_dual_max_f32 v21, v21, v21 :: v_dual_lshlrev_b32 v52, 2, v52
	v_max_f32_e32 v5, v5, v21
	ds_bpermute_b32 v21, v52, v5
	v_xor_b32_e32 v52, 2, v49
	s_delay_alu instid0(VALU_DEP_1) | instskip(SKIP_2) | instid1(VALU_DEP_1)
	v_cmp_gt_i32_e32 vcc_lo, 32, v52
	v_cndmask_b32_e32 v52, v49, v52, vcc_lo
	s_waitcnt lgkmcnt(0)
	v_dual_max_f32 v21, v21, v21 :: v_dual_lshlrev_b32 v52, 2, v52
	s_delay_alu instid0(VALU_DEP_1) | instskip(SKIP_2) | instid1(VALU_DEP_1)
	v_max_f32_e32 v5, v5, v21
	ds_bpermute_b32 v21, v52, v5
	v_xor_b32_e32 v52, 1, v49
	v_cmp_gt_i32_e32 vcc_lo, 32, v52
	v_cndmask_b32_e32 v52, v49, v52, vcc_lo
	v_add_co_u32 v77, vcc_lo, s20, v12
	v_add_co_ci_u32_e32 v78, vcc_lo, s21, v13, vcc_lo
	s_waitcnt lgkmcnt(0)
	s_delay_alu instid0(VALU_DEP_3) | instskip(NEXT) | instid1(VALU_DEP_1)
	v_dual_max_f32 v21, v21, v21 :: v_dual_lshlrev_b32 v52, 2, v52
	v_max_f32_e32 v5, v5, v21
	ds_bpermute_b32 v21, v52, v5
	s_waitcnt lgkmcnt(0)
	v_dual_max_f32 v21, v21, v21 :: v_dual_add_nc_u32 v52, 0x800, v24
	s_delay_alu instid0(VALU_DEP_1) | instskip(NEXT) | instid1(VALU_DEP_1)
	v_max_f32_e32 v5, v5, v21
	v_dual_sub_f32 v70, v20, v5 :: v_dual_add_nc_u32 v21, 0x1000, v24
	v_dual_sub_f32 v53, v53, v5 :: v_dual_add_nc_u32 v20, 0x1800, v24
	s_delay_alu instid0(VALU_DEP_1) | instskip(NEXT) | instid1(VALU_DEP_1)
	v_dual_mul_f32 v72, 0x3fb8aa3b, v70 :: v_dual_mul_f32 v71, 0x3fb8aa3b, v53
	v_fma_f32 v75, 0x3fb8aa3b, v70, -v72
	s_delay_alu instid0(VALU_DEP_2) | instskip(SKIP_2) | instid1(VALU_DEP_4)
	v_fma_f32 v73, 0x3fb8aa3b, v53, -v71
	v_rndne_f32_e32 v74, v71
	v_rndne_f32_e32 v76, v72
	v_fmac_f32_e32 v75, 0x32a5705f, v70
	s_delay_alu instid0(VALU_DEP_4) | instskip(NEXT) | instid1(VALU_DEP_3)
	v_fmac_f32_e32 v73, 0x32a5705f, v53
	v_dual_sub_f32 v71, v71, v74 :: v_dual_sub_f32 v72, v72, v76
	v_cvt_i32_f32_e32 v74, v74
	v_cvt_i32_f32_e32 v76, v76
	s_delay_alu instid0(VALU_DEP_3) | instskip(SKIP_3) | instid1(VALU_DEP_4)
	v_add_f32_e32 v71, v71, v73
	v_add_co_u32 v73, vcc_lo, s20, v14
	v_add_f32_e32 v72, v72, v75
	v_add_co_ci_u32_e32 v75, vcc_lo, s21, v15, vcc_lo
	v_exp_f32_e32 v71, v71
	v_add_co_u32 v79, vcc_lo, s20, v16
	v_add_co_ci_u32_e32 v80, vcc_lo, s21, v17, vcc_lo
	v_add_co_u32 v81, vcc_lo, s20, v18
	v_exp_f32_e32 v72, v72
	v_add_co_ci_u32_e32 v82, vcc_lo, s21, v19, vcc_lo
	v_add_co_u32 v133, vcc_lo, v77, v48
	v_add_co_ci_u32_e32 v134, vcc_lo, 0, v78, vcc_lo
	s_delay_alu instid0(TRANS32_DEP_2)
	v_ldexp_f32 v71, v71, v74
	v_cmp_ngt_f32_e32 vcc_lo, 0xc2ce8ed0, v53
	s_waitcnt_depctr 0xfff
	v_ldexp_f32 v72, v72, v76
	v_cndmask_b32_e32 v71, 0, v71, vcc_lo
	v_cmp_ngt_f32_e32 vcc_lo, 0xc2ce8ed0, v70
	s_delay_alu instid0(VALU_DEP_3)
	v_cndmask_b32_e32 v72, 0, v72, vcc_lo
	v_add_co_u32 v137, vcc_lo, v73, v48
	v_add_co_ci_u32_e32 v138, vcc_lo, 0, v75, vcc_lo
	v_cmp_nlt_f32_e32 vcc_lo, 0x42b17218, v53
	v_cndmask_b32_e32 v149, 0x7f800000, v71, vcc_lo
	v_cmp_nlt_f32_e32 vcc_lo, 0x42b17218, v70
	s_delay_alu instid0(VALU_DEP_2) | instskip(SKIP_3) | instid1(VALU_DEP_3)
	v_cvt_f16_f32_e64 v53, v149
	v_cndmask_b32_e32 v150, 0x7f800000, v72, vcc_lo
	v_add_co_u32 v141, vcc_lo, v79, v48
	v_add_co_ci_u32_e32 v142, vcc_lo, 0, v80, vcc_lo
	v_cvt_f16_f32_e64 v70, v150
	v_add_co_u32 v145, vcc_lo, v81, v48
	v_add_co_ci_u32_e32 v146, vcc_lo, 0, v82, vcc_lo
	v_sub_f32_e32 v51, v51, v5
	ds_store_b16 v43, v53
	ds_store_b16 v43, v70 offset:64
	s_waitcnt vmcnt(3)
	ds_store_b128 v39, v[54:57]
	s_waitcnt vmcnt(2)
	ds_store_b128 v44, v[58:61]
	;; [unrolled: 2-line block ×4, first 2 shown]
	s_waitcnt lgkmcnt(0)
	s_barrier
	buffer_gl0_inv
	ds_load_2addr_b64 v[53:56], v24 offset1:32
	ds_load_2addr_b64 v[57:60], v24 offset0:64 offset1:96
	ds_load_2addr_b64 v[61:64], v24 offset0:128 offset1:160
	ds_load_b128 v[65:68], v37
	ds_load_b128 v[69:72], v37 offset:16
	ds_load_b128 v[73:76], v37 offset:32
	ds_load_b128 v[77:80], v37 offset:48
	ds_load_2addr_b64 v[81:84], v24 offset0:192 offset1:224
	ds_load_2addr_b64 v[85:88], v52 offset1:32
	ds_load_2addr_b64 v[89:92], v52 offset0:64 offset1:96
	ds_load_2addr_b64 v[93:96], v52 offset0:128 offset1:160
	ds_load_2addr_b64 v[97:100], v52 offset0:192 offset1:224
	ds_load_2addr_b64 v[101:104], v21 offset1:32
	ds_load_2addr_b64 v[105:108], v21 offset0:64 offset1:96
	ds_load_2addr_b64 v[109:112], v21 offset0:128 offset1:160
	;; [unrolled: 4-line block ×3, first 2 shown]
	ds_load_2addr_b64 v[129:132], v20 offset0:192 offset1:224
	s_waitcnt lgkmcnt(0)
	s_barrier
	buffer_gl0_inv
	s_clause 0x3
	global_load_b128 v[133:136], v[133:134], off
	global_load_b128 v[137:140], v[137:138], off
	;; [unrolled: 1-line block ×4, first 2 shown]
	v_mul_f32_e32 v151, 0x3fb8aa3b, v51
	v_cmp_ngt_f32_e32 vcc_lo, 0xc2ce8ed0, v51
	v_pk_mul_f16 v53, v53, v65 op_sel_hi:[1,0]
	v_pk_mul_f16 v54, v54, v65 op_sel_hi:[1,0]
	s_waitcnt vmcnt(3)
	ds_store_b128 v39, v[133:136]
	s_waitcnt vmcnt(2)
	ds_store_b128 v44, v[137:140]
	;; [unrolled: 2-line block ×4, first 2 shown]
	v_fma_f32 v152, 0x3fb8aa3b, v51, -v151
	v_rndne_f32_e32 v153, v151
	s_waitcnt lgkmcnt(0)
	s_barrier
	buffer_gl0_inv
	v_dual_fmac_f32 v152, 0x32a5705f, v51 :: v_dual_sub_f32 v151, v151, v153
	s_delay_alu instid0(VALU_DEP_1) | instskip(SKIP_1) | instid1(VALU_DEP_2)
	v_add_f32_e32 v151, v151, v152
	v_cvt_i32_f32_e32 v152, v153
	v_exp_f32_e32 v151, v151
	s_waitcnt_depctr 0xfff
	v_ldexp_f32 v151, v151, v152
	s_delay_alu instid0(VALU_DEP_1) | instskip(SKIP_1) | instid1(VALU_DEP_2)
	v_cndmask_b32_e32 v151, 0, v151, vcc_lo
	v_cmp_nlt_f32_e32 vcc_lo, 0x42b17218, v51
	v_cndmask_b32_e32 v151, 0x7f800000, v151, vcc_lo
	s_delay_alu instid0(VALU_DEP_1) | instskip(NEXT) | instid1(VALU_DEP_1)
	v_cvt_f16_f32_e64 v51, v151
	v_pk_fma_f16 v25, v25, v51, v53 op_sel_hi:[1,0,1]
	v_pk_fma_f16 v26, v26, v51, v54 op_sel_hi:[1,0,1]
	s_delay_alu instid0(VALU_DEP_2) | instskip(NEXT) | instid1(VALU_DEP_2)
	v_pk_fma_f16 v25, v55, v65, v25 op_sel:[0,1,0]
	v_pk_fma_f16 v26, v56, v65, v26 op_sel:[0,1,0]
	s_delay_alu instid0(VALU_DEP_2) | instskip(NEXT) | instid1(VALU_DEP_2)
	v_pk_fma_f16 v25, v57, v66, v25 op_sel_hi:[1,0,1]
	v_pk_fma_f16 v26, v58, v66, v26 op_sel_hi:[1,0,1]
	s_delay_alu instid0(VALU_DEP_2) | instskip(NEXT) | instid1(VALU_DEP_2)
	v_pk_fma_f16 v25, v59, v66, v25 op_sel:[0,1,0]
	v_pk_fma_f16 v26, v60, v66, v26 op_sel:[0,1,0]
	ds_load_2addr_b64 v[53:56], v24 offset1:32
	ds_load_b128 v[57:60], v37 offset:64
	v_pk_fma_f16 v25, v61, v67, v25 op_sel_hi:[1,0,1]
	v_pk_fma_f16 v26, v62, v67, v26 op_sel_hi:[1,0,1]
	s_delay_alu instid0(VALU_DEP_2) | instskip(NEXT) | instid1(VALU_DEP_2)
	v_pk_fma_f16 v25, v63, v67, v25 op_sel:[0,1,0]
	v_pk_fma_f16 v26, v64, v67, v26 op_sel:[0,1,0]
	ds_load_2addr_b64 v[61:64], v24 offset0:64 offset1:96
	v_pk_fma_f16 v25, v81, v68, v25 op_sel_hi:[1,0,1]
	v_pk_fma_f16 v26, v82, v68, v26 op_sel_hi:[1,0,1]
	s_delay_alu instid0(VALU_DEP_2) | instskip(NEXT) | instid1(VALU_DEP_2)
	v_pk_fma_f16 v25, v83, v68, v25 op_sel:[0,1,0]
	v_pk_fma_f16 v26, v84, v68, v26 op_sel:[0,1,0]
	s_delay_alu instid0(VALU_DEP_2) | instskip(NEXT) | instid1(VALU_DEP_2)
	v_pk_fma_f16 v25, v85, v69, v25 op_sel_hi:[1,0,1]
	v_pk_fma_f16 v26, v86, v69, v26 op_sel_hi:[1,0,1]
	s_delay_alu instid0(VALU_DEP_2) | instskip(NEXT) | instid1(VALU_DEP_2)
	v_pk_fma_f16 v25, v87, v69, v25 op_sel:[0,1,0]
	v_pk_fma_f16 v26, v88, v69, v26 op_sel:[0,1,0]
	s_delay_alu instid0(VALU_DEP_2) | instskip(NEXT) | instid1(VALU_DEP_2)
	;; [unrolled: 6-line block ×4, first 2 shown]
	v_pk_fma_f16 v25, v97, v72, v25 op_sel_hi:[1,0,1]
	v_pk_fma_f16 v26, v98, v72, v26 op_sel_hi:[1,0,1]
	s_delay_alu instid0(VALU_DEP_2) | instskip(NEXT) | instid1(VALU_DEP_2)
	v_pk_fma_f16 v25, v99, v72, v25 op_sel:[0,1,0]
	v_pk_fma_f16 v26, v100, v72, v26 op_sel:[0,1,0]
	ds_load_2addr_b64 v[65:68], v24 offset0:128 offset1:160
	ds_load_b128 v[69:72], v37 offset:80
	v_pk_fma_f16 v25, v101, v73, v25 op_sel_hi:[1,0,1]
	v_pk_fma_f16 v26, v102, v73, v26 op_sel_hi:[1,0,1]
	s_delay_alu instid0(VALU_DEP_2) | instskip(NEXT) | instid1(VALU_DEP_2)
	v_pk_fma_f16 v25, v103, v73, v25 op_sel:[0,1,0]
	v_pk_fma_f16 v26, v104, v73, v26 op_sel:[0,1,0]
	s_delay_alu instid0(VALU_DEP_2) | instskip(NEXT) | instid1(VALU_DEP_2)
	v_pk_fma_f16 v25, v105, v74, v25 op_sel_hi:[1,0,1]
	v_pk_fma_f16 v26, v106, v74, v26 op_sel_hi:[1,0,1]
	s_delay_alu instid0(VALU_DEP_2) | instskip(NEXT) | instid1(VALU_DEP_2)
	v_pk_fma_f16 v25, v107, v74, v25 op_sel:[0,1,0]
	v_pk_fma_f16 v26, v108, v74, v26 op_sel:[0,1,0]
	s_delay_alu instid0(VALU_DEP_2) | instskip(NEXT) | instid1(VALU_DEP_2)
	;; [unrolled: 6-line block ×7, first 2 shown]
	v_pk_fma_f16 v25, v129, v80, v25 op_sel_hi:[1,0,1]
	v_pk_fma_f16 v26, v130, v80, v26 op_sel_hi:[1,0,1]
	s_delay_alu instid0(VALU_DEP_2) | instskip(NEXT) | instid1(VALU_DEP_2)
	v_pk_fma_f16 v25, v131, v80, v25 op_sel:[0,1,0]
	v_pk_fma_f16 v26, v132, v80, v26 op_sel:[0,1,0]
	s_waitcnt lgkmcnt(3)
	s_delay_alu instid0(VALU_DEP_2) | instskip(NEXT) | instid1(VALU_DEP_2)
	v_pk_fma_f16 v25, v53, v57, v25 op_sel_hi:[1,0,1]
	v_pk_fma_f16 v26, v54, v57, v26 op_sel_hi:[1,0,1]
	s_delay_alu instid0(VALU_DEP_2) | instskip(NEXT) | instid1(VALU_DEP_2)
	v_pk_fma_f16 v25, v55, v57, v25 op_sel:[0,1,0]
	v_pk_fma_f16 v26, v56, v57, v26 op_sel:[0,1,0]
	ds_load_2addr_b64 v[53:56], v24 offset0:192 offset1:224
	s_waitcnt lgkmcnt(3)
	v_pk_fma_f16 v25, v61, v58, v25 op_sel_hi:[1,0,1]
	v_pk_fma_f16 v26, v62, v58, v26 op_sel_hi:[1,0,1]
	s_delay_alu instid0(VALU_DEP_2) | instskip(NEXT) | instid1(VALU_DEP_2)
	v_pk_fma_f16 v25, v63, v58, v25 op_sel:[0,1,0]
	v_pk_fma_f16 v26, v64, v58, v26 op_sel:[0,1,0]
	ds_load_2addr_b64 v[61:64], v52 offset1:32
	s_waitcnt lgkmcnt(3)
	v_pk_fma_f16 v25, v65, v59, v25 op_sel_hi:[1,0,1]
	v_pk_fma_f16 v26, v66, v59, v26 op_sel_hi:[1,0,1]
	s_delay_alu instid0(VALU_DEP_2) | instskip(NEXT) | instid1(VALU_DEP_2)
	v_pk_fma_f16 v25, v67, v59, v25 op_sel:[0,1,0]
	v_pk_fma_f16 v26, v68, v59, v26 op_sel:[0,1,0]
	ds_load_2addr_b64 v[65:68], v52 offset0:64 offset1:96
	s_waitcnt lgkmcnt(2)
	v_pk_fma_f16 v25, v53, v60, v25 op_sel_hi:[1,0,1]
	v_pk_fma_f16 v26, v54, v60, v26 op_sel_hi:[1,0,1]
	s_delay_alu instid0(VALU_DEP_2) | instskip(NEXT) | instid1(VALU_DEP_2)
	v_pk_fma_f16 v25, v55, v60, v25 op_sel:[0,1,0]
	v_pk_fma_f16 v26, v56, v60, v26 op_sel:[0,1,0]
	ds_load_2addr_b64 v[53:56], v52 offset0:128 offset1:160
	ds_load_2addr_b64 v[57:60], v52 offset0:192 offset1:224
	s_waitcnt lgkmcnt(3)
	v_pk_fma_f16 v25, v61, v69, v25 op_sel_hi:[1,0,1]
	v_pk_fma_f16 v26, v62, v69, v26 op_sel_hi:[1,0,1]
	s_delay_alu instid0(VALU_DEP_2) | instskip(NEXT) | instid1(VALU_DEP_2)
	v_pk_fma_f16 v25, v63, v69, v25 op_sel:[0,1,0]
	v_pk_fma_f16 v26, v64, v69, v26 op_sel:[0,1,0]
	ds_load_2addr_b64 v[61:64], v21 offset1:32
	s_waitcnt lgkmcnt(3)
	v_pk_fma_f16 v25, v65, v70, v25 op_sel_hi:[1,0,1]
	v_pk_fma_f16 v26, v66, v70, v26 op_sel_hi:[1,0,1]
	s_delay_alu instid0(VALU_DEP_2) | instskip(NEXT) | instid1(VALU_DEP_2)
	v_pk_fma_f16 v25, v67, v70, v25 op_sel:[0,1,0]
	v_pk_fma_f16 v26, v68, v70, v26 op_sel:[0,1,0]
	ds_load_b128 v[65:68], v37 offset:96
	s_waitcnt lgkmcnt(3)
	v_pk_fma_f16 v25, v53, v71, v25 op_sel_hi:[1,0,1]
	v_pk_fma_f16 v26, v54, v71, v26 op_sel_hi:[1,0,1]
	ds_load_2addr_b64 v[51:54], v21 offset0:64 offset1:96
	v_pk_fma_f16 v25, v55, v71, v25 op_sel:[0,1,0]
	v_pk_fma_f16 v26, v56, v71, v26 op_sel:[0,1,0]
	s_waitcnt lgkmcnt(3)
	s_delay_alu instid0(VALU_DEP_2) | instskip(NEXT) | instid1(VALU_DEP_2)
	v_pk_fma_f16 v25, v57, v72, v25 op_sel_hi:[1,0,1]
	v_pk_fma_f16 v26, v58, v72, v26 op_sel_hi:[1,0,1]
	s_delay_alu instid0(VALU_DEP_2) | instskip(NEXT) | instid1(VALU_DEP_2)
	v_pk_fma_f16 v25, v59, v72, v25 op_sel:[0,1,0]
	v_pk_fma_f16 v26, v60, v72, v26 op_sel:[0,1,0]
	ds_load_2addr_b64 v[55:58], v21 offset0:128 offset1:160
	ds_load_b128 v[69:72], v37 offset:112
	s_waitcnt lgkmcnt(3)
	v_pk_fma_f16 v25, v61, v65, v25 op_sel_hi:[1,0,1]
	v_pk_fma_f16 v26, v62, v65, v26 op_sel_hi:[1,0,1]
	ds_load_2addr_b64 v[59:62], v21 offset0:192 offset1:224
	v_pk_fma_f16 v25, v63, v65, v25 op_sel:[0,1,0]
	v_pk_fma_f16 v26, v64, v65, v26 op_sel:[0,1,0]
	s_waitcnt lgkmcnt(3)
	s_delay_alu instid0(VALU_DEP_2) | instskip(NEXT) | instid1(VALU_DEP_2)
	v_pk_fma_f16 v21, v51, v66, v25 op_sel_hi:[1,0,1]
	v_pk_fma_f16 v25, v52, v66, v26 op_sel_hi:[1,0,1]
	s_delay_alu instid0(VALU_DEP_2) | instskip(NEXT) | instid1(VALU_DEP_2)
	v_pk_fma_f16 v21, v53, v66, v21 op_sel:[0,1,0]
	v_pk_fma_f16 v25, v54, v66, v25 op_sel:[0,1,0]
	ds_load_2addr_b64 v[51:54], v20 offset1:32
	s_waitcnt lgkmcnt(3)
	v_pk_fma_f16 v21, v55, v67, v21 op_sel_hi:[1,0,1]
	v_pk_fma_f16 v25, v56, v67, v25 op_sel_hi:[1,0,1]
	s_delay_alu instid0(VALU_DEP_2) | instskip(NEXT) | instid1(VALU_DEP_2)
	v_pk_fma_f16 v21, v57, v67, v21 op_sel:[0,1,0]
	v_pk_fma_f16 v25, v58, v67, v25 op_sel:[0,1,0]
	ds_load_2addr_b64 v[55:58], v20 offset0:64 offset1:96
	s_waitcnt lgkmcnt(2)
	v_pk_fma_f16 v21, v59, v68, v21 op_sel_hi:[1,0,1]
	v_pk_fma_f16 v25, v60, v68, v25 op_sel_hi:[1,0,1]
	s_delay_alu instid0(VALU_DEP_2) | instskip(NEXT) | instid1(VALU_DEP_2)
	v_pk_fma_f16 v21, v61, v68, v21 op_sel:[0,1,0]
	v_pk_fma_f16 v25, v62, v68, v25 op_sel:[0,1,0]
	ds_load_2addr_b64 v[59:62], v20 offset0:128 offset1:160
	;; [unrolled: 7-line block ×3, first 2 shown]
	s_waitcnt lgkmcnt(0)
	s_barrier
	v_pk_fma_f16 v20, v55, v70, v21 op_sel_hi:[1,0,1]
	v_pk_fma_f16 v21, v56, v70, v25 op_sel_hi:[1,0,1]
	buffer_gl0_inv
	s_load_b32 s20, s[2:3], 0x4
	v_pk_fma_f16 v20, v57, v70, v20 op_sel:[0,1,0]
	v_pk_fma_f16 v21, v58, v70, v21 op_sel:[0,1,0]
	s_delay_alu instid0(VALU_DEP_2) | instskip(NEXT) | instid1(VALU_DEP_2)
	v_pk_fma_f16 v20, v59, v71, v20 op_sel_hi:[1,0,1]
	v_pk_fma_f16 v21, v60, v71, v21 op_sel_hi:[1,0,1]
	s_delay_alu instid0(VALU_DEP_2) | instskip(SKIP_1) | instid1(VALU_DEP_3)
	v_pk_fma_f16 v25, v61, v71, v20 op_sel:[0,1,0]
	v_add_f32_e32 v20, v149, v150
	v_pk_fma_f16 v21, v62, v71, v21 op_sel:[0,1,0]
	s_delay_alu instid0(VALU_DEP_3) | instskip(NEXT) | instid1(VALU_DEP_3)
	v_pk_fma_f16 v25, v51, v72, v25 op_sel_hi:[1,0,1]
	v_fmac_f32_e32 v20, v50, v151
	s_delay_alu instid0(VALU_DEP_3)
	v_pk_fma_f16 v21, v52, v72, v21 op_sel_hi:[1,0,1]
	s_waitcnt lgkmcnt(0)
	s_lshl_b32 s20, s20, 6
	v_pk_fma_f16 v25, v53, v72, v25 op_sel:[0,1,0]
	s_add_i32 s8, s20, s8
	v_pk_fma_f16 v26, v54, v72, v21 op_sel:[0,1,0]
	s_cmp_lt_i32 s8, s6
	s_cbranch_scc0 .LBB65_16
; %bb.14:                               ;   in Loop: Header=BB65_8 Depth=1
	v_dual_mov_b32 v51, v5 :: v_dual_mov_b32 v50, v20
	s_branch .LBB65_8
.LBB65_15:
	v_mov_b32_e32 v25, 0
.LBB65_16:
	s_cmp_gt_i32 s42, s8
	s_cbranch_scc1 .LBB65_18
; %bb.17:
	v_mbcnt_lo_u32_b32 v9, -1, 0
	v_mov_b32_e32 v8, 32
	s_delay_alu instid0(VALU_DEP_2)
	v_xor_b32_e32 v0, 16, v9
	v_xor_b32_e32 v1, 8, v9
	v_xor_b32_e32 v2, 4, v9
	v_xor_b32_e32 v6, 2, v9
	v_xor_b32_e32 v7, 1, v9
	s_cbranch_execz .LBB65_19
	s_branch .LBB65_29
.LBB65_18:
                                        ; implicit-def: $vgpr9
                                        ; implicit-def: $vgpr8
                                        ; implicit-def: $vgpr0
                                        ; implicit-def: $vgpr1
                                        ; implicit-def: $vgpr2
                                        ; implicit-def: $vgpr6
                                        ; implicit-def: $vgpr7
.LBB65_19:
	v_lshl_add_u32 v15, v28, 2, v34
	s_mul_hi_i32 s3, s8, s17
	s_mul_i32 s2, s8, s17
	s_sub_i32 s18, s42, s8
	s_lshl_b64 s[2:3], s[2:3], 2
	v_mul_lo_u32 v7, s17, v15
	s_mov_b32 s20, 0
	s_add_u32 s4, s4, s2
	s_addc_u32 s5, s5, s3
	s_mov_b32 s21, s20
	s_mov_b32 s22, s20
	v_lshlrev_b32_e32 v16, 2, v35
	s_mov_b64 s[6:7], src_private_base
	v_ashrrev_i32_e32 v8, 31, v7
	s_lshl_b32 s6, s17, 4
	v_add_nc_u32_e32 v10, 16, v15
	v_add_nc_u32_e32 v17, 32, v15
	s_cmp_lg_u64 s[40:41], 0
	v_lshlrev_b64 v[0:1], 2, v[7:8]
	v_add_nc_u32_e32 v7, s6, v7
	s_delay_alu instid0(VALU_DEP_2) | instskip(NEXT) | instid1(VALU_DEP_3)
	v_add_co_u32 v0, vcc_lo, s4, v0
	v_add_co_ci_u32_e32 v1, vcc_lo, s5, v1, vcc_lo
	s_delay_alu instid0(VALU_DEP_2) | instskip(NEXT) | instid1(VALU_DEP_2)
	v_add_co_u32 v19, vcc_lo, v0, v16
	v_add_co_ci_u32_e32 v21, vcc_lo, 0, v1, vcc_lo
	v_cmp_gt_i32_e32 vcc_lo, s18, v15
	v_mov_b32_e32 v6, 0
	v_dual_mov_b32 v0, s20 :: v_dual_mov_b32 v1, s21
	v_mov_b32_e32 v2, s22
	v_cndmask_b32_e32 v9, s7, v21, vcc_lo
	v_cndmask_b32_e32 v8, 0, v19, vcc_lo
	s_clause 0x1
	scratch_store_b32 off, v6, off
	scratch_store_b96 off, v[0:2], off offset:4
	flat_load_b128 v[11:14], v[8:9]
	v_ashrrev_i32_e32 v8, 31, v7
	s_delay_alu instid0(VALU_DEP_1)
	v_lshlrev_b64 v[8:9], 2, v[7:8]
	v_add_nc_u32_e32 v7, s6, v7
	s_clause 0x1
	scratch_store_b32 off, v6, off
	scratch_store_b96 off, v[0:2], off offset:4
	v_add_co_u32 v8, s2, s4, v8
	s_delay_alu instid0(VALU_DEP_1) | instskip(NEXT) | instid1(VALU_DEP_2)
	v_add_co_ci_u32_e64 v9, s2, s5, v9, s2
	v_add_co_u32 v40, s2, v8, v16
	s_delay_alu instid0(VALU_DEP_1) | instskip(SKIP_2) | instid1(VALU_DEP_2)
	v_add_co_ci_u32_e64 v41, s2, 0, v9, s2
	v_cmp_gt_i32_e64 s2, s18, v10
	v_mad_u32_u24 v10, 0x90, v15, v16
	v_cndmask_b32_e64 v9, s7, v41, s2
	v_cndmask_b32_e64 v8, 0, v40, s2
	s_waitcnt vmcnt(0) lgkmcnt(0)
	ds_store_b128 v10, v[11:14]
	flat_load_b128 v[11:14], v[8:9]
	v_ashrrev_i32_e32 v8, 31, v7
	s_clause 0x1
	scratch_store_b32 off, v6, off
	scratch_store_b96 off, v[0:2], off offset:4
	v_lshlrev_b64 v[8:9], 2, v[7:8]
	v_add_nc_u32_e32 v7, s6, v7
	s_delay_alu instid0(VALU_DEP_2) | instskip(NEXT) | instid1(VALU_DEP_1)
	v_add_co_u32 v8, s3, s4, v8
	v_add_co_ci_u32_e64 v9, s3, s5, v9, s3
	s_delay_alu instid0(VALU_DEP_2) | instskip(NEXT) | instid1(VALU_DEP_1)
	v_add_co_u32 v42, s3, v8, v16
	v_add_co_ci_u32_e64 v43, s3, 0, v9, s3
	v_cmp_gt_i32_e64 s3, s18, v17
	s_delay_alu instid0(VALU_DEP_1) | instskip(NEXT) | instid1(VALU_DEP_4)
	v_cndmask_b32_e64 v9, s7, v43, s3
	v_cndmask_b32_e64 v8, 0, v42, s3
	s_waitcnt vmcnt(0) lgkmcnt(0)
	ds_store_b128 v10, v[11:14] offset:2304
	flat_load_b128 v[11:14], v[8:9]
	v_ashrrev_i32_e32 v8, 31, v7
	v_add_nc_u32_e32 v9, 48, v15
	s_clause 0x1
	scratch_store_b32 off, v6, off
	scratch_store_b96 off, v[0:2], off offset:4
	v_lshlrev_b64 v[7:8], 2, v[7:8]
	s_delay_alu instid0(VALU_DEP_1) | instskip(NEXT) | instid1(VALU_DEP_1)
	v_add_co_u32 v7, s4, s4, v7
	v_add_co_ci_u32_e64 v8, s4, s5, v8, s4
	v_add_co_u32 v19, s5, 0x80, v19
	s_delay_alu instid0(VALU_DEP_3) | instskip(NEXT) | instid1(VALU_DEP_1)
	v_add_co_u32 v44, s4, v7, v16
	v_add_co_ci_u32_e64 v45, s4, 0, v8, s4
	v_cmp_gt_i32_e64 s4, s18, v9
	v_mov_b32_e32 v9, 0
	v_add_co_ci_u32_e64 v21, s5, 0, v21, s5
	v_cndmask_b32_e32 v38, 0, v19, vcc_lo
	s_delay_alu instid0(VALU_DEP_4) | instskip(SKIP_1) | instid1(VALU_DEP_4)
	v_cndmask_b32_e64 v8, s7, v45, s4
	v_cndmask_b32_e64 v7, 0, v44, s4
	v_cndmask_b32_e32 v39, s7, v21, vcc_lo
	s_waitcnt vmcnt(0) lgkmcnt(0)
	ds_store_b128 v10, v[11:14] offset:4608
	flat_load_b128 v[11:14], v[7:8]
	v_dual_mov_b32 v8, 0 :: v_dual_lshlrev_b32 v7, 8, v28
	s_waitcnt vmcnt(0) lgkmcnt(0)
	ds_store_b128 v10, v[11:14] offset:6912
	s_waitcnt lgkmcnt(0)
	s_waitcnt_vscnt null, 0x0
	s_barrier
	buffer_gl0_inv
	ds_load_b128 v[11:14], v33
	ds_load_b128 v[15:18], v7 offset:9216
	ds_load_b128 v[34:37], v33 offset:4608
	s_waitcnt lgkmcnt(1)
	;;#ASMSTART
	v_dot2_f32_f16 v9, v11, v15, v9
	;;#ASMEND
	;;#ASMSTART
	v_dot2_f32_f16 v9, v12, v16, v9
	;;#ASMEND
	;;#ASMSTART
	v_dot2_f32_f16 v9, v13, v17, v9
	;;#ASMEND
	;;#ASMSTART
	v_dot2_f32_f16 v9, v14, v18, v9
	;;#ASMEND
	s_waitcnt lgkmcnt(0)
	;;#ASMSTART
	v_dot2_f32_f16 v8, v34, v15, v8
	;;#ASMEND
	;;#ASMSTART
	v_dot2_f32_f16 v8, v35, v16, v8
	;;#ASMEND
	;;#ASMSTART
	v_dot2_f32_f16 v8, v36, v17, v8
	;;#ASMEND
	;;#ASMSTART
	v_dot2_f32_f16 v8, v37, v18, v8
	;;#ASMEND
	ds_load_b128 v[11:14], v33 offset:16
	ds_load_b128 v[15:18], v7 offset:9232
	ds_load_b128 v[34:37], v33 offset:4624
	s_waitcnt lgkmcnt(1)
	;;#ASMSTART
	v_dot2_f32_f16 v9, v11, v15, v9
	;;#ASMEND
	;;#ASMSTART
	v_dot2_f32_f16 v9, v12, v16, v9
	;;#ASMEND
	;;#ASMSTART
	v_dot2_f32_f16 v9, v13, v17, v9
	;;#ASMEND
	;;#ASMSTART
	v_dot2_f32_f16 v9, v14, v18, v9
	;;#ASMEND
	s_waitcnt lgkmcnt(0)
	;;#ASMSTART
	v_dot2_f32_f16 v8, v34, v15, v8
	;;#ASMEND
	;;#ASMSTART
	v_dot2_f32_f16 v8, v35, v16, v8
	;;#ASMEND
	;;#ASMSTART
	v_dot2_f32_f16 v8, v36, v17, v8
	;;#ASMEND
	;;#ASMSTART
	v_dot2_f32_f16 v8, v37, v18, v8
	;;#ASMEND
	ds_load_b128 v[11:14], v33 offset:32
	;; [unrolled: 29-line block ×7, first 2 shown]
	ds_load_b128 v[15:18], v7 offset:9328
	ds_load_b128 v[34:37], v33 offset:4720
	s_waitcnt lgkmcnt(1)
	;;#ASMSTART
	v_dot2_f32_f16 v9, v11, v15, v9
	;;#ASMEND
	;;#ASMSTART
	v_dot2_f32_f16 v9, v12, v16, v9
	;;#ASMEND
	;; [unrolled: 3-line block ×4, first 2 shown]
	s_waitcnt lgkmcnt(0)
	;;#ASMSTART
	v_dot2_f32_f16 v8, v34, v15, v8
	;;#ASMEND
	;;#ASMSTART
	v_dot2_f32_f16 v8, v35, v16, v8
	;;#ASMEND
	;;#ASMSTART
	v_dot2_f32_f16 v8, v36, v17, v8
	;;#ASMEND
	;;#ASMSTART
	v_dot2_f32_f16 v8, v37, v18, v8
	;;#ASMEND
	s_barrier
	buffer_gl0_inv
	s_clause 0x1
	scratch_store_b32 off, v6, off
	scratch_store_b96 off, v[0:2], off offset:4
	flat_load_b128 v[11:14], v[38:39]
	v_add_co_u32 v15, vcc_lo, 0x80, v40
	v_add_co_ci_u32_e32 v16, vcc_lo, 0, v41, vcc_lo
	s_clause 0x1
	scratch_store_b32 off, v6, off
	scratch_store_b96 off, v[0:2], off offset:4
	v_cndmask_b32_e64 v15, 0, v15, s2
	v_cndmask_b32_e64 v16, s7, v16, s2
	s_mov_b32 s2, exec_lo
	s_waitcnt vmcnt(0) lgkmcnt(0)
	ds_store_b128 v10, v[11:14]
	flat_load_b128 v[11:14], v[15:16]
	v_add_co_u32 v15, vcc_lo, 0x80, v42
	v_add_co_ci_u32_e32 v16, vcc_lo, 0, v43, vcc_lo
	s_clause 0x1
	scratch_store_b32 off, v6, off
	scratch_store_b96 off, v[0:2], off offset:4
	v_cndmask_b32_e64 v15, 0, v15, s3
	v_cndmask_b32_e64 v16, s7, v16, s3
	s_cselect_b32 s3, -1, 0
	s_waitcnt vmcnt(0) lgkmcnt(0)
	ds_store_b128 v10, v[11:14] offset:2304
	flat_load_b128 v[11:14], v[15:16]
	v_add_co_u32 v15, vcc_lo, 0x80, v44
	v_add_co_ci_u32_e32 v16, vcc_lo, 0, v45, vcc_lo
	s_clause 0x1
	scratch_store_b32 off, v6, off
	scratch_store_b96 off, v[0:2], off offset:4
	v_mov_b32_e32 v2, v5
	v_cndmask_b32_e64 v15, 0, v15, s4
	v_cndmask_b32_e64 v16, s7, v16, s4
	v_mad_u64_u32 v[0:1], null, v32, s16, s[8:9]
	v_cndmask_b32_e64 v1, 0, 1, s3
	s_waitcnt vmcnt(0) lgkmcnt(0)
	ds_store_b128 v10, v[11:14] offset:4608
	flat_load_b128 v[11:14], v[15:16]
	s_waitcnt vmcnt(0) lgkmcnt(0)
	ds_store_b128 v10, v[11:14] offset:6912
	s_waitcnt lgkmcnt(0)
	s_waitcnt_vscnt null, 0x0
	s_barrier
	buffer_gl0_inv
	ds_load_b128 v[10:13], v33
	ds_load_b128 v[14:17], v7 offset:9344
	ds_load_b128 v[34:37], v33 offset:4608
	s_waitcnt lgkmcnt(1)
	;;#ASMSTART
	v_dot2_f32_f16 v9, v10, v14, v9
	;;#ASMEND
	;;#ASMSTART
	v_dot2_f32_f16 v9, v11, v15, v9
	;;#ASMEND
	;;#ASMSTART
	v_dot2_f32_f16 v9, v12, v16, v9
	;;#ASMEND
	;;#ASMSTART
	v_dot2_f32_f16 v9, v13, v17, v9
	;;#ASMEND
	s_waitcnt lgkmcnt(0)
	;;#ASMSTART
	v_dot2_f32_f16 v8, v34, v14, v8
	;;#ASMEND
	;;#ASMSTART
	v_dot2_f32_f16 v8, v35, v15, v8
	;;#ASMEND
	;;#ASMSTART
	v_dot2_f32_f16 v8, v36, v16, v8
	;;#ASMEND
	;;#ASMSTART
	v_dot2_f32_f16 v8, v37, v17, v8
	;;#ASMEND
	ds_load_b128 v[10:13], v33 offset:16
	ds_load_b128 v[14:17], v7 offset:9360
	ds_load_b128 v[34:37], v33 offset:4624
	s_waitcnt lgkmcnt(1)
	;;#ASMSTART
	v_dot2_f32_f16 v9, v10, v14, v9
	;;#ASMEND
	;;#ASMSTART
	v_dot2_f32_f16 v9, v11, v15, v9
	;;#ASMEND
	;;#ASMSTART
	v_dot2_f32_f16 v9, v12, v16, v9
	;;#ASMEND
	;;#ASMSTART
	v_dot2_f32_f16 v9, v13, v17, v9
	;;#ASMEND
	s_waitcnt lgkmcnt(0)
	;;#ASMSTART
	v_dot2_f32_f16 v8, v34, v14, v8
	;;#ASMEND
	;;#ASMSTART
	v_dot2_f32_f16 v8, v35, v15, v8
	;;#ASMEND
	;;#ASMSTART
	v_dot2_f32_f16 v8, v36, v16, v8
	;;#ASMEND
	;;#ASMSTART
	v_dot2_f32_f16 v8, v37, v17, v8
	;;#ASMEND
	ds_load_b128 v[10:13], v33 offset:32
	;; [unrolled: 29-line block ×7, first 2 shown]
	ds_load_b128 v[14:17], v7 offset:9456
	ds_load_b128 v[33:36], v33 offset:4720
	s_waitcnt lgkmcnt(1)
	;;#ASMSTART
	v_dot2_f32_f16 v9, v10, v14, v9
	;;#ASMEND
	;;#ASMSTART
	v_dot2_f32_f16 v9, v11, v15, v9
	;;#ASMEND
	;; [unrolled: 3-line block ×4, first 2 shown]
	s_waitcnt lgkmcnt(0)
	;;#ASMSTART
	v_dot2_f32_f16 v8, v33, v14, v8
	;;#ASMEND
	;;#ASMSTART
	v_dot2_f32_f16 v8, v34, v15, v8
	;;#ASMEND
	;; [unrolled: 3-line block ×4, first 2 shown]
	v_cmpx_gt_i32_e64 s18, v3
	s_cbranch_execz .LBB65_23
; %bb.20:
	s_and_not1_b32 vcc_lo, exec_lo, s3
	s_cbranch_vccnz .LBB65_22
; %bb.21:
	v_add_nc_u32_e32 v6, v0, v3
	s_delay_alu instid0(VALU_DEP_1) | instskip(NEXT) | instid1(VALU_DEP_1)
	v_ashrrev_i32_e32 v7, 31, v6
	v_lshlrev_b64 v[6:7], 1, v[6:7]
	s_delay_alu instid0(VALU_DEP_1) | instskip(NEXT) | instid1(VALU_DEP_2)
	v_add_co_u32 v6, vcc_lo, s40, v6
	v_add_co_ci_u32_e32 v7, vcc_lo, s41, v7, vcc_lo
	flat_load_u16 v2, v[6:7]
	s_waitcnt vmcnt(0) lgkmcnt(0)
	v_cvt_f32_f16_e32 v2, v2
	s_delay_alu instid0(VALU_DEP_1)
	v_mul_f32_e32 v6, v29, v2
.LBB65_22:
	s_delay_alu instid0(VALU_DEP_1) | instskip(SKIP_1) | instid1(VALU_DEP_2)
	v_add_f32_e32 v9, v9, v6
	v_max_f32_e32 v6, v5, v5
	v_add_f32_e32 v2, 0x40051340, v9
	s_delay_alu instid0(VALU_DEP_1)
	v_max_f32_e32 v2, v6, v2
.LBB65_23:
	s_or_b32 exec_lo, exec_lo, s2
	v_add_nc_u32_e32 v11, 32, v3
	s_mov_b32 s2, exec_lo
	s_delay_alu instid0(VALU_DEP_1)
	v_cmpx_gt_i32_e64 s18, v11
	s_cbranch_execz .LBB65_28
; %bb.24:
	v_cmp_ne_u32_e32 vcc_lo, 1, v1
	s_cbranch_vccnz .LBB65_26
; %bb.25:
	v_ashrrev_i32_e32 v1, 31, v0
	v_add_co_u32 v0, vcc_lo, v0, v3
	s_delay_alu instid0(VALU_DEP_2) | instskip(NEXT) | instid1(VALU_DEP_1)
	v_add_co_ci_u32_e32 v1, vcc_lo, 0, v1, vcc_lo
	v_lshlrev_b64 v[0:1], 1, v[0:1]
	s_delay_alu instid0(VALU_DEP_1) | instskip(NEXT) | instid1(VALU_DEP_2)
	v_add_co_u32 v0, vcc_lo, s40, v0
	v_add_co_ci_u32_e32 v1, vcc_lo, s41, v1, vcc_lo
	flat_load_u16 v0, v[0:1] offset:64
	s_waitcnt vmcnt(0) lgkmcnt(0)
	v_cvt_f32_f16_e32 v0, v0
	s_delay_alu instid0(VALU_DEP_1)
	v_mul_f32_e32 v0, v29, v0
	s_branch .LBB65_27
.LBB65_26:
	v_mov_b32_e32 v0, 0
.LBB65_27:
	s_delay_alu instid0(VALU_DEP_1) | instskip(NEXT) | instid1(VALU_DEP_1)
	v_dual_add_f32 v8, v8, v0 :: v_dual_max_f32 v1, v2, v2
	v_add_f32_e32 v0, 0x40051340, v8
	s_delay_alu instid0(VALU_DEP_1)
	v_max_f32_e32 v2, v1, v0
.LBB65_28:
	s_or_b32 exec_lo, exec_lo, s2
	v_xor_b32_e32 v0, 16, v23
	s_mov_b32 s4, 0
	s_mul_hi_i32 s7, s8, s9
	s_mul_i32 s6, s8, s9
	s_mov_b32 s5, s4
	v_cmp_gt_i32_e32 vcc_lo, 32, v0
	s_lshl_b64 s[16:17], s[6:7], 2
	s_mov_b32 s6, s4
	v_lshl_add_u32 v19, v28, 1, v30
	s_mov_b64 s[2:3], src_private_base
	v_cndmask_b32_e32 v1, v23, v0, vcc_lo
	s_lshl_b32 s2, s9, 3
	s_add_u32 s7, s13, s16
	s_barrier
	s_delay_alu instid0(VALU_DEP_1)
	v_lshlrev_b32_e32 v1, 2, v1
	buffer_gl0_inv
	v_add_nc_u32_e32 v119, 0x800, v24
	v_add_nc_u32_e32 v121, 0x1000, v24
	;; [unrolled: 1-line block ×3, first 2 shown]
	ds_bpermute_b32 v6, v1, v2
	v_xor_b32_e32 v1, 8, v23
	v_dual_max_f32 v2, v2, v2 :: v_dual_lshlrev_b32 v21, 2, v31
	v_mov_b32_e32 v105, s6
	v_mov_b32_e32 v103, s4
	s_delay_alu instid0(VALU_DEP_4) | instskip(SKIP_4) | instid1(VALU_DEP_4)
	v_cmp_gt_i32_e32 vcc_lo, 32, v1
	v_add_nc_u32_e32 v113, 8, v19
	v_lshl_or_b32 v114, v19, 8, v21
	v_add_nc_u32_e32 v115, 16, v19
	v_add_nc_u32_e32 v117, 24, v19
	v_lshl_or_b32 v116, v113, 8, v21
	s_delay_alu instid0(VALU_DEP_3) | instskip(NEXT) | instid1(VALU_DEP_3)
	v_lshl_or_b32 v118, v115, 8, v21
	v_lshl_or_b32 v120, v117, 8, v21
	s_waitcnt lgkmcnt(0)
	v_dual_max_f32 v6, v6, v6 :: v_dual_cndmask_b32 v7, v23, v1
	s_delay_alu instid0(VALU_DEP_1) | instskip(SKIP_1) | instid1(VALU_DEP_1)
	v_max_f32_e32 v6, v2, v6
	v_xor_b32_e32 v2, 4, v23
	v_cmp_gt_i32_e32 vcc_lo, 32, v2
	s_delay_alu instid0(VALU_DEP_4) | instskip(SKIP_3) | instid1(VALU_DEP_1)
	v_dual_cndmask_b32 v10, v23, v2 :: v_dual_lshlrev_b32 v7, 2, v7
	ds_bpermute_b32 v7, v7, v6
	s_waitcnt lgkmcnt(0)
	v_dual_max_f32 v7, v7, v7 :: v_dual_lshlrev_b32 v10, 2, v10
	v_max_f32_e32 v7, v6, v7
	v_xor_b32_e32 v6, 2, v23
	s_delay_alu instid0(VALU_DEP_1)
	v_cmp_gt_i32_e32 vcc_lo, 32, v6
	v_cndmask_b32_e32 v12, v23, v6, vcc_lo
	ds_bpermute_b32 v10, v10, v7
	v_lshlrev_b32_e32 v12, 2, v12
	s_waitcnt lgkmcnt(0)
	v_max_f32_e32 v10, v10, v10
	s_delay_alu instid0(VALU_DEP_1) | instskip(SKIP_1) | instid1(VALU_DEP_1)
	v_max_f32_e32 v10, v7, v10
	v_xor_b32_e32 v7, 1, v23
	v_cmp_gt_i32_e32 vcc_lo, 32, v7
	v_cndmask_b32_e32 v13, v23, v7, vcc_lo
	s_delay_alu instid0(VALU_DEP_1) | instskip(SKIP_3) | instid1(VALU_DEP_1)
	v_lshlrev_b32_e32 v13, 2, v13
	ds_bpermute_b32 v12, v12, v10
	s_waitcnt lgkmcnt(0)
	v_max_f32_e32 v12, v12, v12
	v_max_f32_e32 v10, v10, v12
	ds_bpermute_b32 v12, v13, v10
	s_waitcnt lgkmcnt(0)
	v_max_f32_e32 v12, v12, v12
	s_delay_alu instid0(VALU_DEP_1) | instskip(NEXT) | instid1(VALU_DEP_1)
	v_max_f32_e32 v10, v10, v12
	v_sub_f32_e32 v9, v9, v10
	s_delay_alu instid0(VALU_DEP_1) | instskip(SKIP_1) | instid1(VALU_DEP_2)
	v_mul_f32_e32 v13, 0x3fb8aa3b, v9
	v_cmp_ngt_f32_e32 vcc_lo, 0xc2ce8ed0, v9
	v_fma_f32 v15, 0x3fb8aa3b, v9, -v13
	v_rndne_f32_e32 v17, v13
	s_delay_alu instid0(VALU_DEP_2) | instskip(NEXT) | instid1(VALU_DEP_2)
	v_fmac_f32_e32 v15, 0x32a5705f, v9
	v_dual_sub_f32 v13, v13, v17 :: v_dual_sub_f32 v12, v8, v10
	v_dual_sub_f32 v5, v5, v10 :: v_dual_lshlrev_b32 v8, 7, v28
	s_delay_alu instid0(VALU_DEP_2) | instskip(SKIP_1) | instid1(VALU_DEP_2)
	v_dual_add_f32 v13, v13, v15 :: v_dual_mul_f32 v14, 0x3fb8aa3b, v12
	v_cvt_i32_f32_e32 v15, v17
	v_exp_f32_e32 v13, v13
	s_delay_alu instid0(VALU_DEP_2) | instskip(SKIP_3) | instid1(VALU_DEP_1)
	v_fma_f32 v16, 0x3fb8aa3b, v12, -v14
	v_rndne_f32_e32 v18, v14
	s_waitcnt_depctr 0xfff
	v_ldexp_f32 v13, v13, v15
	v_dual_fmac_f32 v16, 0x32a5705f, v12 :: v_dual_cndmask_b32 v13, 0, v13
	v_sub_f32_e32 v14, v14, v18
	v_cvt_i32_f32_e32 v18, v18
	v_cmp_ngt_f32_e32 vcc_lo, 0xc2ce8ed0, v12
	s_delay_alu instid0(VALU_DEP_3) | instskip(SKIP_3) | instid1(VALU_DEP_3)
	v_add_f32_e32 v14, v14, v16
	v_mul_lo_u32 v16, s9, v19
	v_mov_b32_e32 v104, s5
	s_addc_u32 s4, s15, s17
	v_exp_f32_e32 v14, v14
	s_delay_alu instid0(VALU_DEP_2) | instskip(SKIP_3) | instid1(VALU_DEP_2)
	v_ashrrev_i32_e32 v17, 31, v16
	s_waitcnt_depctr 0xfff
	v_ldexp_f32 v14, v14, v18
	v_lshlrev_b64 v[17:18], 2, v[16:17]
	v_cndmask_b32_e32 v14, 0, v14, vcc_lo
	s_delay_alu instid0(VALU_DEP_2) | instskip(NEXT) | instid1(VALU_DEP_3)
	v_add_co_u32 v15, vcc_lo, s7, v17
	v_add_co_ci_u32_e32 v28, vcc_lo, s4, v18, vcc_lo
	v_cmp_nlt_f32_e32 vcc_lo, 0x42b17218, v9
	v_cndmask_b32_e32 v9, 0x7f800000, v13, vcc_lo
	v_cmp_nlt_f32_e32 vcc_lo, 0x42b17218, v12
	v_cndmask_b32_e32 v12, 0x7f800000, v14, vcc_lo
	v_add_co_u32 v14, vcc_lo, v15, v21
	v_add_co_ci_u32_e32 v13, vcc_lo, 0, v28, vcc_lo
	v_cmp_gt_u32_e32 vcc_lo, s18, v3
	v_add3_u32 v15, 0x2800, v8, v27
	v_cndmask_b32_e32 v9, 0, v9, vcc_lo
	v_cmp_gt_u32_e32 vcc_lo, s18, v11
	v_mov_b32_e32 v112, 0
	s_delay_alu instid0(VALU_DEP_3)
	v_cvt_f16_f32_e32 v27, v9
	v_cndmask_b32_e32 v11, 0, v12, vcc_lo
	v_cmp_gt_i32_e32 vcc_lo, s18, v19
	s_clause 0x1
	scratch_store_b32 off, v112, off
	scratch_store_b96 off, v[103:105], off offset:4
	v_cvt_f16_f32_e32 v28, v11
	ds_store_b16 v15, v27
	ds_store_b16 v15, v28 offset:64
	v_add_nc_u32_e32 v27, s2, v16
	v_cndmask_b32_e32 v13, s3, v13, vcc_lo
	v_dual_cndmask_b32 v12, 0, v14 :: v_dual_add_f32 v9, v9, v11
	s_delay_alu instid0(VALU_DEP_3) | instskip(NEXT) | instid1(VALU_DEP_1)
	v_ashrrev_i32_e32 v28, 31, v27
	v_lshlrev_b64 v[106:107], 2, v[27:28]
	v_add_nc_u32_e32 v27, s2, v27
	flat_load_b128 v[12:15], v[12:13]
	s_clause 0x1
	scratch_store_b32 off, v112, off
	scratch_store_b96 off, v[103:105], off offset:4
	v_add_co_u32 v16, vcc_lo, s7, v106
	v_add_co_ci_u32_e32 v28, vcc_lo, s4, v107, vcc_lo
	s_delay_alu instid0(VALU_DEP_2) | instskip(NEXT) | instid1(VALU_DEP_2)
	v_add_co_u32 v16, vcc_lo, v16, v21
	v_add_co_ci_u32_e32 v28, vcc_lo, 0, v28, vcc_lo
	v_cmp_gt_i32_e32 vcc_lo, s18, v113
	s_delay_alu instid0(VALU_DEP_2) | instskip(NEXT) | instid1(VALU_DEP_4)
	v_cndmask_b32_e32 v29, s3, v28, vcc_lo
	v_cndmask_b32_e32 v28, 0, v16, vcc_lo
	s_waitcnt vmcnt(0) lgkmcnt(0)
	ds_store_b128 v114, v[12:15]
	flat_load_b128 v[12:15], v[28:29]
	v_ashrrev_i32_e32 v28, 31, v27
	s_clause 0x1
	scratch_store_b32 off, v112, off
	scratch_store_b96 off, v[103:105], off offset:4
	v_lshlrev_b64 v[108:109], 2, v[27:28]
	v_add_nc_u32_e32 v27, s2, v27
	s_or_b32 s2, s8, 32
	s_delay_alu instid0(SALU_CYCLE_1) | instskip(NEXT) | instid1(VALU_DEP_2)
	s_mul_hi_i32 s5, s2, s9
	v_add_co_u32 v16, vcc_lo, s7, v108
	s_delay_alu instid0(VALU_DEP_3) | instskip(NEXT) | instid1(VALU_DEP_2)
	v_add_co_ci_u32_e32 v28, vcc_lo, s4, v109, vcc_lo
	v_add_co_u32 v16, vcc_lo, v16, v21
	s_delay_alu instid0(VALU_DEP_2) | instskip(SKIP_1) | instid1(VALU_DEP_2)
	v_add_co_ci_u32_e32 v28, vcc_lo, 0, v28, vcc_lo
	v_cmp_gt_i32_e32 vcc_lo, s18, v115
	v_cndmask_b32_e32 v29, s3, v28, vcc_lo
	s_delay_alu instid0(VALU_DEP_4)
	v_cndmask_b32_e32 v28, 0, v16, vcc_lo
	s_waitcnt vmcnt(0) lgkmcnt(0)
	ds_store_b128 v116, v[12:15]
	flat_load_b128 v[12:15], v[28:29]
	v_ashrrev_i32_e32 v28, 31, v27
	s_clause 0x1
	scratch_store_b32 off, v112, off
	scratch_store_b96 off, v[103:105], off offset:4
	v_lshlrev_b64 v[110:111], 2, v[27:28]
	s_delay_alu instid0(VALU_DEP_1) | instskip(NEXT) | instid1(VALU_DEP_2)
	v_add_co_u32 v16, vcc_lo, s7, v110
	v_add_co_ci_u32_e32 v27, vcc_lo, s4, v111, vcc_lo
	s_mul_i32 s4, s2, s9
	s_delay_alu instid0(VALU_DEP_2) | instskip(NEXT) | instid1(VALU_DEP_2)
	v_add_co_u32 v16, vcc_lo, v16, v21
	v_add_co_ci_u32_e32 v27, vcc_lo, 0, v27, vcc_lo
	v_cmp_gt_i32_e32 vcc_lo, s18, v117
	s_lshl_b64 s[4:5], s[4:5], 2
	s_delay_alu instid0(SALU_CYCLE_1)
	s_add_u32 s2, s13, s4
	s_addc_u32 s4, s15, s5
	v_cndmask_b32_e32 v28, s3, v27, vcc_lo
	v_cndmask_b32_e32 v27, 0, v16, vcc_lo
	v_add_co_u32 v16, vcc_lo, s2, v17
	v_add_co_ci_u32_e32 v17, vcc_lo, s4, v18, vcc_lo
	s_sub_i32 s5, s18, 32
	s_delay_alu instid0(VALU_DEP_2) | instskip(NEXT) | instid1(VALU_DEP_2)
	v_add_co_u32 v16, vcc_lo, v16, v21
	v_add_co_ci_u32_e32 v17, vcc_lo, 0, v17, vcc_lo
	v_cmp_gt_i32_e32 vcc_lo, s5, v19
	s_delay_alu instid0(VALU_DEP_2) | instskip(NEXT) | instid1(VALU_DEP_4)
	v_cndmask_b32_e32 v100, s3, v17, vcc_lo
	v_cndmask_b32_e32 v99, 0, v16, vcc_lo
	v_add_co_u32 v106, vcc_lo, s2, v106
	v_add_co_ci_u32_e32 v107, vcc_lo, s4, v107, vcc_lo
	s_delay_alu instid0(VALU_DEP_2) | instskip(NEXT) | instid1(VALU_DEP_2)
	v_add_co_u32 v106, vcc_lo, v106, v21
	v_add_co_ci_u32_e32 v107, vcc_lo, 0, v107, vcc_lo
	v_cmp_gt_i32_e32 vcc_lo, s5, v113
	s_delay_alu instid0(VALU_DEP_3) | instskip(NEXT) | instid1(VALU_DEP_3)
	v_cndmask_b32_e32 v106, 0, v106, vcc_lo
	v_cndmask_b32_e32 v107, s3, v107, vcc_lo
	s_waitcnt vmcnt(0) lgkmcnt(0)
	ds_store_b128 v118, v[12:15]
	flat_load_b128 v[12:15], v[27:28]
	s_waitcnt vmcnt(0) lgkmcnt(0)
	ds_store_b128 v120, v[12:15]
	s_waitcnt lgkmcnt(0)
	s_waitcnt_vscnt null, 0x0
	s_barrier
	buffer_gl0_inv
	ds_load_2addr_b64 v[12:15], v24 offset1:32
	ds_load_b128 v[16:19], v8 offset:10240
	ds_load_b128 v[27:30], v8 offset:10256
	;; [unrolled: 1-line block ×4, first 2 shown]
	ds_load_2addr_b64 v[39:42], v24 offset0:64 offset1:96
	ds_load_2addr_b64 v[43:46], v24 offset0:128 offset1:160
	ds_load_2addr_b64 v[47:50], v24 offset0:192 offset1:224
	ds_load_2addr_b64 v[51:54], v119 offset1:32
	ds_load_2addr_b64 v[55:58], v119 offset0:64 offset1:96
	ds_load_2addr_b64 v[59:62], v119 offset0:128 offset1:160
	ds_load_2addr_b64 v[63:66], v119 offset0:192 offset1:224
	ds_load_2addr_b64 v[67:70], v121 offset1:32
	ds_load_2addr_b64 v[71:74], v121 offset0:64 offset1:96
	ds_load_2addr_b64 v[75:78], v121 offset0:128 offset1:160
	ds_load_2addr_b64 v[79:82], v121 offset0:192 offset1:224
	ds_load_2addr_b64 v[83:86], v122 offset1:32
	ds_load_2addr_b64 v[87:90], v122 offset0:64 offset1:96
	ds_load_2addr_b64 v[91:94], v122 offset0:128 offset1:160
	;; [unrolled: 1-line block ×3, first 2 shown]
	s_waitcnt lgkmcnt(0)
	s_barrier
	buffer_gl0_inv
	s_clause 0x1
	scratch_store_b32 off, v112, off
	scratch_store_b96 off, v[103:105], off offset:4
	flat_load_b128 v[99:102], v[99:100]
	s_clause 0x1
	scratch_store_b32 off, v112, off
	scratch_store_b96 off, v[103:105], off offset:4
	v_pk_mul_f16 v12, v12, v16 op_sel_hi:[1,0]
	v_pk_mul_f16 v13, v13, v16 op_sel_hi:[1,0]
	s_waitcnt vmcnt(0) lgkmcnt(0)
	ds_store_b128 v114, v[99:102]
	flat_load_b128 v[99:102], v[106:107]
	v_add_co_u32 v106, vcc_lo, s2, v108
	v_add_co_ci_u32_e32 v107, vcc_lo, s4, v109, vcc_lo
	s_clause 0x1
	scratch_store_b32 off, v112, off
	scratch_store_b96 off, v[103:105], off offset:4
	v_add_co_u32 v106, vcc_lo, v106, v21
	v_add_co_ci_u32_e32 v107, vcc_lo, 0, v107, vcc_lo
	v_cmp_gt_i32_e32 vcc_lo, s5, v115
	s_delay_alu instid0(VALU_DEP_2) | instskip(NEXT) | instid1(VALU_DEP_4)
	v_cndmask_b32_e32 v107, s3, v107, vcc_lo
	v_cndmask_b32_e32 v106, 0, v106, vcc_lo
	s_waitcnt vmcnt(0) lgkmcnt(0)
	ds_store_b128 v116, v[99:102]
	flat_load_b128 v[99:102], v[106:107]
	v_add_co_u32 v106, vcc_lo, s2, v110
	v_add_co_ci_u32_e32 v107, vcc_lo, s4, v111, vcc_lo
	s_clause 0x1
	scratch_store_b32 off, v112, off
	scratch_store_b96 off, v[103:105], off offset:4
	v_add_co_u32 v21, vcc_lo, v106, v21
	v_add_co_ci_u32_e32 v106, vcc_lo, 0, v107, vcc_lo
	v_cmp_gt_i32_e32 vcc_lo, s5, v117
	s_delay_alu instid0(VALU_DEP_2) | instskip(NEXT) | instid1(VALU_DEP_4)
	v_cndmask_b32_e32 v107, s3, v106, vcc_lo
	v_cndmask_b32_e32 v106, 0, v21, vcc_lo
	v_mul_f32_e32 v21, 0x3fb8aa3b, v5
	v_cmp_ngt_f32_e32 vcc_lo, 0xc2ce8ed0, v5
	s_delay_alu instid0(VALU_DEP_2) | instskip(SKIP_1) | instid1(VALU_DEP_2)
	v_fma_f32 v103, 0x3fb8aa3b, v5, -v21
	v_rndne_f32_e32 v104, v21
	v_fmac_f32_e32 v103, 0x32a5705f, v5
	s_delay_alu instid0(VALU_DEP_2) | instskip(NEXT) | instid1(VALU_DEP_1)
	v_sub_f32_e32 v21, v21, v104
	v_add_f32_e32 v21, v21, v103
	v_cvt_i32_f32_e32 v103, v104
	s_delay_alu instid0(VALU_DEP_2) | instskip(SKIP_2) | instid1(VALU_DEP_1)
	v_exp_f32_e32 v21, v21
	s_waitcnt_depctr 0xfff
	v_ldexp_f32 v21, v21, v103
	v_cndmask_b32_e32 v21, 0, v21, vcc_lo
	v_cmp_nlt_f32_e32 vcc_lo, 0x42b17218, v5
	s_delay_alu instid0(VALU_DEP_2) | instskip(NEXT) | instid1(VALU_DEP_1)
	v_cndmask_b32_e32 v5, 0x7f800000, v21, vcc_lo
	v_cvt_f16_f32_e32 v21, v5
	v_fmac_f32_e32 v9, v20, v5
	v_mov_b32_e32 v5, v10
	s_delay_alu instid0(VALU_DEP_3) | instskip(SKIP_1) | instid1(VALU_DEP_4)
	v_pk_fma_f16 v12, v25, v21, v12 op_sel_hi:[1,0,1]
	v_pk_fma_f16 v13, v26, v21, v13 op_sel_hi:[1,0,1]
	v_dual_mov_b32 v20, v9 :: v_dual_mov_b32 v9, v23
	s_delay_alu instid0(VALU_DEP_3) | instskip(NEXT) | instid1(VALU_DEP_3)
	v_pk_fma_f16 v12, v14, v16, v12 op_sel:[0,1,0]
	v_pk_fma_f16 v13, v15, v16, v13 op_sel:[0,1,0]
	s_delay_alu instid0(VALU_DEP_2) | instskip(NEXT) | instid1(VALU_DEP_2)
	v_pk_fma_f16 v12, v39, v17, v12 op_sel_hi:[1,0,1]
	v_pk_fma_f16 v13, v40, v17, v13 op_sel_hi:[1,0,1]
	s_delay_alu instid0(VALU_DEP_2) | instskip(NEXT) | instid1(VALU_DEP_2)
	v_pk_fma_f16 v12, v41, v17, v12 op_sel:[0,1,0]
	v_pk_fma_f16 v13, v42, v17, v13 op_sel:[0,1,0]
	s_delay_alu instid0(VALU_DEP_2) | instskip(NEXT) | instid1(VALU_DEP_2)
	v_pk_fma_f16 v12, v43, v18, v12 op_sel_hi:[1,0,1]
	v_pk_fma_f16 v13, v44, v18, v13 op_sel_hi:[1,0,1]
	s_delay_alu instid0(VALU_DEP_2) | instskip(NEXT) | instid1(VALU_DEP_2)
	;; [unrolled: 6-line block ×15, first 2 shown]
	v_pk_fma_f16 v37, v97, v38, v29 op_sel:[0,1,0]
	v_pk_fma_f16 v21, v98, v38, v21 op_sel:[0,1,0]
	s_waitcnt vmcnt(0) lgkmcnt(0)
	ds_store_b128 v118, v[99:102]
	flat_load_b128 v[99:102], v[106:107]
	s_waitcnt vmcnt(0) lgkmcnt(0)
	ds_store_b128 v120, v[99:102]
	s_waitcnt lgkmcnt(0)
	s_waitcnt_vscnt null, 0x0
	s_barrier
	buffer_gl0_inv
	ds_load_2addr_b64 v[12:15], v24 offset1:32
	ds_load_b128 v[16:19], v8 offset:10304
	ds_load_2addr_b64 v[25:28], v24 offset0:64 offset1:96
	ds_load_b128 v[29:32], v8 offset:10320
	ds_load_2addr_b64 v[33:36], v24 offset0:128 offset1:160
	s_waitcnt lgkmcnt(3)
	v_pk_fma_f16 v12, v12, v16, v37 op_sel_hi:[1,0,1]
	v_pk_fma_f16 v13, v13, v16, v21 op_sel_hi:[1,0,1]
	s_delay_alu instid0(VALU_DEP_2) | instskip(NEXT) | instid1(VALU_DEP_2)
	v_pk_fma_f16 v21, v14, v16, v12 op_sel:[0,1,0]
	v_pk_fma_f16 v16, v15, v16, v13 op_sel:[0,1,0]
	ds_load_2addr_b64 v[12:15], v24 offset0:192 offset1:224
	s_waitcnt lgkmcnt(3)
	v_pk_fma_f16 v21, v25, v17, v21 op_sel_hi:[1,0,1]
	v_pk_fma_f16 v16, v26, v17, v16 op_sel_hi:[1,0,1]
	s_delay_alu instid0(VALU_DEP_2) | instskip(NEXT) | instid1(VALU_DEP_2)
	v_pk_fma_f16 v21, v27, v17, v21 op_sel:[0,1,0]
	v_pk_fma_f16 v16, v28, v17, v16 op_sel:[0,1,0]
	ds_load_2addr_b64 v[24:27], v119 offset1:32
	s_waitcnt lgkmcnt(2)
	v_pk_fma_f16 v17, v33, v18, v21 op_sel_hi:[1,0,1]
	v_pk_fma_f16 v16, v34, v18, v16 op_sel_hi:[1,0,1]
	s_delay_alu instid0(VALU_DEP_2) | instskip(NEXT) | instid1(VALU_DEP_2)
	v_pk_fma_f16 v17, v35, v18, v17 op_sel:[0,1,0]
	v_pk_fma_f16 v16, v36, v18, v16 op_sel:[0,1,0]
	ds_load_2addr_b64 v[33:36], v119 offset0:64 offset1:96
	s_waitcnt lgkmcnt(2)
	v_pk_fma_f16 v12, v12, v19, v17 op_sel_hi:[1,0,1]
	v_pk_fma_f16 v13, v13, v19, v16 op_sel_hi:[1,0,1]
	s_delay_alu instid0(VALU_DEP_2) | instskip(NEXT) | instid1(VALU_DEP_2)
	v_pk_fma_f16 v16, v14, v19, v12 op_sel:[0,1,0]
	v_pk_fma_f16 v17, v15, v19, v13 op_sel:[0,1,0]
	ds_load_2addr_b64 v[12:15], v119 offset0:128 offset1:160
	s_waitcnt lgkmcnt(2)
	v_pk_fma_f16 v16, v24, v29, v16 op_sel_hi:[1,0,1]
	v_pk_fma_f16 v17, v25, v29, v17 op_sel_hi:[1,0,1]
	s_delay_alu instid0(VALU_DEP_2) | instskip(NEXT) | instid1(VALU_DEP_2)
	v_pk_fma_f16 v16, v26, v29, v16 op_sel:[0,1,0]
	v_pk_fma_f16 v21, v27, v29, v17 op_sel:[0,1,0]
	s_waitcnt lgkmcnt(1)
	s_delay_alu instid0(VALU_DEP_2)
	v_pk_fma_f16 v24, v33, v30, v16 op_sel_hi:[1,0,1]
	ds_load_2addr_b64 v[16:19], v119 offset0:192 offset1:224
	v_pk_fma_f16 v21, v34, v30, v21 op_sel_hi:[1,0,1]
	v_pk_fma_f16 v28, v35, v30, v24 op_sel:[0,1,0]
	ds_load_2addr_b64 v[24:27], v121 offset1:32
	v_pk_fma_f16 v21, v36, v30, v21 op_sel:[0,1,0]
	ds_load_b128 v[33:36], v8 offset:10336
	s_waitcnt lgkmcnt(3)
	v_pk_fma_f16 v12, v12, v31, v28 op_sel_hi:[1,0,1]
	v_pk_fma_f16 v13, v13, v31, v21 op_sel_hi:[1,0,1]
	s_delay_alu instid0(VALU_DEP_2) | instskip(NEXT) | instid1(VALU_DEP_2)
	v_pk_fma_f16 v21, v14, v31, v12 op_sel:[0,1,0]
	v_pk_fma_f16 v28, v15, v31, v13 op_sel:[0,1,0]
	ds_load_2addr_b64 v[12:15], v121 offset0:64 offset1:96
	s_waitcnt lgkmcnt(3)
	v_pk_fma_f16 v16, v16, v32, v21 op_sel_hi:[1,0,1]
	v_pk_fma_f16 v17, v17, v32, v28 op_sel_hi:[1,0,1]
	s_delay_alu instid0(VALU_DEP_2) | instskip(NEXT) | instid1(VALU_DEP_2)
	v_pk_fma_f16 v21, v18, v32, v16 op_sel:[0,1,0]
	v_pk_fma_f16 v32, v19, v32, v17 op_sel:[0,1,0]
	ds_load_b128 v[16:19], v8 offset:10352
	ds_load_2addr_b64 v[28:31], v121 offset0:128 offset1:160
	s_waitcnt lgkmcnt(3)
	v_pk_fma_f16 v8, v24, v33, v21 op_sel_hi:[1,0,1]
	v_pk_fma_f16 v21, v25, v33, v32 op_sel_hi:[1,0,1]
	s_delay_alu instid0(VALU_DEP_2) | instskip(NEXT) | instid1(VALU_DEP_2)
	v_pk_fma_f16 v8, v26, v33, v8 op_sel:[0,1,0]
	v_pk_fma_f16 v21, v27, v33, v21 op_sel:[0,1,0]
	ds_load_2addr_b64 v[24:27], v121 offset0:192 offset1:224
	s_waitcnt lgkmcnt(3)
	v_pk_fma_f16 v8, v12, v34, v8 op_sel_hi:[1,0,1]
	v_pk_fma_f16 v12, v13, v34, v21 op_sel_hi:[1,0,1]
	s_delay_alu instid0(VALU_DEP_2) | instskip(NEXT) | instid1(VALU_DEP_2)
	v_pk_fma_f16 v8, v14, v34, v8 op_sel:[0,1,0]
	v_pk_fma_f16 v21, v15, v34, v12 op_sel:[0,1,0]
	ds_load_2addr_b64 v[12:15], v122 offset1:32
	s_waitcnt lgkmcnt(2)
	v_pk_fma_f16 v8, v28, v35, v8 op_sel_hi:[1,0,1]
	v_pk_fma_f16 v21, v29, v35, v21 op_sel_hi:[1,0,1]
	s_delay_alu instid0(VALU_DEP_2) | instskip(NEXT) | instid1(VALU_DEP_2)
	v_pk_fma_f16 v8, v30, v35, v8 op_sel:[0,1,0]
	v_pk_fma_f16 v21, v31, v35, v21 op_sel:[0,1,0]
	ds_load_2addr_b64 v[28:31], v122 offset0:64 offset1:96
	s_waitcnt lgkmcnt(2)
	v_pk_fma_f16 v8, v24, v36, v8 op_sel_hi:[1,0,1]
	v_pk_fma_f16 v21, v25, v36, v21 op_sel_hi:[1,0,1]
	s_delay_alu instid0(VALU_DEP_2) | instskip(NEXT) | instid1(VALU_DEP_2)
	v_pk_fma_f16 v8, v26, v36, v8 op_sel:[0,1,0]
	v_pk_fma_f16 v21, v27, v36, v21 op_sel:[0,1,0]
	ds_load_2addr_b64 v[24:27], v122 offset0:128 offset1:160
	;; [unrolled: 7-line block ×3, first 2 shown]
	s_waitcnt lgkmcnt(0)
	s_barrier
	v_pk_fma_f16 v8, v28, v17, v8 op_sel_hi:[1,0,1]
	v_pk_fma_f16 v16, v29, v17, v16 op_sel_hi:[1,0,1]
	buffer_gl0_inv
	v_pk_fma_f16 v8, v30, v17, v8 op_sel:[0,1,0]
	v_pk_fma_f16 v16, v31, v17, v16 op_sel:[0,1,0]
	s_delay_alu instid0(VALU_DEP_2) | instskip(NEXT) | instid1(VALU_DEP_2)
	v_pk_fma_f16 v8, v24, v18, v8 op_sel_hi:[1,0,1]
	v_pk_fma_f16 v16, v25, v18, v16 op_sel_hi:[1,0,1]
	s_delay_alu instid0(VALU_DEP_2) | instskip(NEXT) | instid1(VALU_DEP_2)
	v_pk_fma_f16 v8, v26, v18, v8 op_sel:[0,1,0]
	v_pk_fma_f16 v11, v27, v18, v16 op_sel:[0,1,0]
	s_delay_alu instid0(VALU_DEP_2) | instskip(NEXT) | instid1(VALU_DEP_2)
	v_pk_fma_f16 v12, v12, v19, v8 op_sel_hi:[1,0,1]
	v_pk_fma_f16 v11, v13, v19, v11 op_sel_hi:[1,0,1]
	v_mov_b32_e32 v8, 32
	s_delay_alu instid0(VALU_DEP_3) | instskip(NEXT) | instid1(VALU_DEP_3)
	v_pk_fma_f16 v25, v14, v19, v12 op_sel:[0,1,0]
	v_pk_fma_f16 v26, v15, v19, v11 op_sel:[0,1,0]
.LBB65_29:
	s_delay_alu instid0(VALU_DEP_3)
	v_cmp_lt_i32_e32 vcc_lo, v0, v8
	s_cmp_eq_u64 s[24:25], 0
	s_cselect_b32 s2, -1, 0
	s_cmp_lg_u32 s14, 0
	v_cndmask_b32_e32 v0, v9, v0, vcc_lo
	v_cmp_lt_i32_e32 vcc_lo, v1, v8
	s_cselect_b32 s3, -1, 0
	s_delay_alu instid0(SALU_CYCLE_1) | instskip(SKIP_2) | instid1(VALU_DEP_2)
	s_or_b32 s2, s3, s2
	v_cndmask_b32_e32 v1, v9, v1, vcc_lo
	v_cmp_lt_i32_e32 vcc_lo, v2, v8
	v_lshlrev_b32_e32 v1, 2, v1
	v_lshlrev_b32_e32 v0, 2, v0
	v_cndmask_b32_e32 v2, v9, v2, vcc_lo
	v_cmp_lt_i32_e32 vcc_lo, v6, v8
	ds_bpermute_b32 v0, v0, v20
	v_lshlrev_b32_e32 v2, 2, v2
	s_waitcnt lgkmcnt(0)
	v_add_f32_e32 v0, v20, v0
	ds_bpermute_b32 v1, v1, v0
	s_waitcnt lgkmcnt(0)
	v_add_f32_e32 v0, v0, v1
	ds_bpermute_b32 v1, v2, v0
	v_cndmask_b32_e32 v2, v9, v6, vcc_lo
	v_cmp_lt_i32_e32 vcc_lo, v7, v8
	s_delay_alu instid0(VALU_DEP_2)
	v_lshlrev_b32_e32 v2, 2, v2
	s_waitcnt lgkmcnt(0)
	v_add_f32_e32 v0, v0, v1
	ds_bpermute_b32 v1, v2, v0
	v_cndmask_b32_e32 v2, v9, v7, vcc_lo
	s_and_b32 vcc_lo, exec_lo, s2
	s_delay_alu instid0(VALU_DEP_1)
	v_lshlrev_b32_e32 v2, 2, v2
	s_waitcnt lgkmcnt(0)
	v_add_f32_e32 v0, v0, v1
	ds_bpermute_b32 v1, v2, v0
	s_waitcnt lgkmcnt(0)
	v_add_f32_e32 v6, v0, v1
	s_cbranch_vccnz .LBB65_31
; %bb.30:
	s_lshl_b64 s[2:3], s[34:35], 2
	v_dual_mov_b32 v0, 0 :: v_dual_max_f32 v1, v5, v5
	s_add_u32 s2, s24, s2
	s_addc_u32 s3, s25, s3
	global_load_b32 v0, v0, s[2:3]
	s_waitcnt vmcnt(0)
	v_max_f32_e32 v2, v0, v0
	s_delay_alu instid0(VALU_DEP_1) | instskip(NEXT) | instid1(VALU_DEP_1)
	v_max_f32_e32 v1, v1, v2
	v_sub_f32_e32 v0, v0, v1
	s_delay_alu instid0(VALU_DEP_1) | instskip(NEXT) | instid1(VALU_DEP_1)
	v_mul_f32_e32 v7, 0x3fb8aa3b, v0
	v_fma_f32 v10, 0x3fb8aa3b, v0, -v7
	v_rndne_f32_e32 v11, v7
	s_delay_alu instid0(VALU_DEP_2) | instskip(NEXT) | instid1(VALU_DEP_2)
	v_fmac_f32_e32 v10, 0x32a5705f, v0
	v_dual_sub_f32 v2, v5, v1 :: v_dual_sub_f32 v7, v7, v11
	s_delay_alu instid0(VALU_DEP_1) | instskip(SKIP_1) | instid1(VALU_DEP_2)
	v_mul_f32_e32 v5, 0x3fb8aa3b, v2
	v_cmp_ngt_f32_e32 vcc_lo, 0xc2ce8ed0, v2
	v_fma_f32 v8, 0x3fb8aa3b, v2, -v5
	v_rndne_f32_e32 v9, v5
	s_delay_alu instid0(VALU_DEP_1) | instskip(NEXT) | instid1(VALU_DEP_1)
	v_dual_fmac_f32 v8, 0x32a5705f, v2 :: v_dual_sub_f32 v5, v5, v9
	v_add_f32_e32 v5, v5, v8
	v_cvt_i32_f32_e32 v8, v9
	v_cvt_i32_f32_e32 v9, v11
	s_delay_alu instid0(VALU_DEP_3) | instskip(SKIP_2) | instid1(VALU_DEP_1)
	v_exp_f32_e32 v5, v5
	s_waitcnt_depctr 0xfff
	v_ldexp_f32 v5, v5, v8
	v_cndmask_b32_e32 v5, 0, v5, vcc_lo
	v_add_f32_e32 v7, v7, v10
	v_cmp_ngt_f32_e32 vcc_lo, 0xc2ce8ed0, v0
	s_delay_alu instid0(VALU_DEP_2) | instskip(SKIP_2) | instid1(VALU_DEP_1)
	v_exp_f32_e32 v7, v7
	s_waitcnt_depctr 0xfff
	v_ldexp_f32 v7, v7, v9
	v_cndmask_b32_e32 v7, 0, v7, vcc_lo
	v_cmp_nlt_f32_e32 vcc_lo, 0x42b17218, v2
	v_cndmask_b32_e32 v2, 0x7f800000, v5, vcc_lo
	v_cmp_nlt_f32_e32 vcc_lo, 0x42b17218, v0
	s_delay_alu instid0(VALU_DEP_2) | instskip(SKIP_1) | instid1(VALU_DEP_2)
	v_cvt_f16_f32_e32 v5, v2
	v_cndmask_b32_e32 v0, 0x7f800000, v7, vcc_lo
	v_pk_mul_f16 v25, v5, v25 op_sel_hi:[0,1]
	s_delay_alu instid0(VALU_DEP_2) | instskip(SKIP_1) | instid1(VALU_DEP_2)
	v_fmac_f32_e32 v0, v6, v2
	v_pk_mul_f16 v26, v5, v26 op_sel_hi:[0,1]
	v_dual_mov_b32 v5, v1 :: v_dual_mov_b32 v6, v0
.LBB65_31:
	s_mov_b32 s2, exec_lo
	v_cmpx_gt_i32_e64 s10, v4
	s_cbranch_execz .LBB65_34
; %bb.32:
	s_delay_alu instid0(VALU_DEP_2) | instskip(SKIP_2) | instid1(VALU_DEP_2)
	v_div_scale_f32 v2, null, v6, v6, 1.0
	v_div_scale_f32 v10, vcc_lo, 1.0, v6, 1.0
	s_load_b32 s0, s[0:1], 0xd4
	v_rcp_f32_e32 v9, v2
	s_waitcnt_depctr 0xfff
	v_fma_f32 v0, -v2, v9, 1.0
	s_delay_alu instid0(VALU_DEP_1)
	v_fmac_f32_e32 v9, v0, v9
	v_mad_u64_u32 v[0:1], null, s12, s10, v[4:5]
	v_cvt_f32_f16_e32 v4, v25
	s_waitcnt lgkmcnt(0)
	s_cmp_lg_u32 s0, 1
	v_mul_f32_e32 v11, v10, v9
	s_cselect_b32 s1, -1, 0
	s_delay_alu instid0(VALU_DEP_3) | instskip(NEXT) | instid1(VALU_DEP_2)
	v_mad_u64_u32 v[7:8], null, v0, s11, s[34:35]
	v_fma_f32 v1, -v2, v11, v10
	v_lshrrev_b32_e32 v8, 16, v26
	s_delay_alu instid0(VALU_DEP_1) | instskip(NEXT) | instid1(VALU_DEP_3)
	v_cvt_f32_f16_e32 v12, v8
	v_fmac_f32_e32 v11, v1, v9
	v_mad_u64_u32 v[0:1], null, s0, v7, s[14:15]
	v_lshrrev_b32_e32 v7, 16, v25
	s_delay_alu instid0(VALU_DEP_3) | instskip(NEXT) | instid1(VALU_DEP_1)
	v_fma_f32 v2, -v2, v11, v10
	v_div_fmas_f32 v1, v2, v9, v11
	v_mov_b32_e32 v2, 0
	s_delay_alu instid0(VALU_DEP_4) | instskip(SKIP_4) | instid1(VALU_DEP_2)
	v_cvt_f32_f16_e32 v11, v7
	v_cvt_f32_f16_e32 v9, v26
	v_cmp_eq_u32_e32 vcc_lo, 0, v3
	v_div_fixup_f32 v10, v1, v6, 1.0
	v_lshl_add_u32 v1, v0, 7, v22
	v_cndmask_b32_e64 v10, v10, 1.0, s1
	s_delay_alu instid0(VALU_DEP_2) | instskip(NEXT) | instid1(VALU_DEP_2)
	v_lshlrev_b64 v[7:8], 2, v[1:2]
	v_mul_f32_e32 v1, v10, v4
	v_mul_f32_e32 v4, v10, v12
	s_delay_alu instid0(VALU_DEP_3)
	v_add_co_u32 v7, s0, s28, v7
	v_mul_f32_e32 v2, v10, v11
	v_mul_f32_e32 v3, v10, v9
	v_add_co_ci_u32_e64 v8, s0, s29, v8, s0
	s_and_b32 s0, vcc_lo, s1
	global_store_b128 v[7:8], v[1:4], off
	s_and_b32 exec_lo, exec_lo, s0
	s_cbranch_execz .LBB65_34
; %bb.33:
	v_ashrrev_i32_e32 v1, 31, v0
	s_delay_alu instid0(VALU_DEP_1) | instskip(NEXT) | instid1(VALU_DEP_1)
	v_lshlrev_b64 v[0:1], 3, v[0:1]
	v_add_co_u32 v0, vcc_lo, s30, v0
	s_delay_alu instid0(VALU_DEP_2)
	v_add_co_ci_u32_e32 v1, vcc_lo, s31, v1, vcc_lo
	global_store_b64 v[0:1], v[5:6], off
.LBB65_34:
	s_nop 0
	s_sendmsg sendmsg(MSG_DEALLOC_VGPRS)
	s_endpgm
	.section	.rodata,"a",@progbits
	.p2align	6, 0x0
	.amdhsa_kernel _ZL15flash_attn_tileILi128ELi128ELi4ELi1ELb0EEvPKcS1_S1_S1_S1_PKiPfP15HIP_vector_typeIfLj2EEffffjfiS5_IjLj3EEiiiiiiiiiiiliiliiiiil
		.amdhsa_group_segment_fixed_size 10752
		.amdhsa_private_segment_fixed_size 32
		.amdhsa_kernarg_size 464
		.amdhsa_user_sgpr_count 13
		.amdhsa_user_sgpr_dispatch_ptr 0
		.amdhsa_user_sgpr_queue_ptr 0
		.amdhsa_user_sgpr_kernarg_segment_ptr 1
		.amdhsa_user_sgpr_dispatch_id 0
		.amdhsa_user_sgpr_private_segment_size 0
		.amdhsa_wavefront_size32 1
		.amdhsa_uses_dynamic_stack 0
		.amdhsa_enable_private_segment 1
		.amdhsa_system_sgpr_workgroup_id_x 1
		.amdhsa_system_sgpr_workgroup_id_y 1
		.amdhsa_system_sgpr_workgroup_id_z 1
		.amdhsa_system_sgpr_workgroup_info 0
		.amdhsa_system_vgpr_workitem_id 1
		.amdhsa_next_free_vgpr 154
		.amdhsa_next_free_sgpr 52
		.amdhsa_reserve_vcc 1
		.amdhsa_float_round_mode_32 0
		.amdhsa_float_round_mode_16_64 0
		.amdhsa_float_denorm_mode_32 3
		.amdhsa_float_denorm_mode_16_64 3
		.amdhsa_dx10_clamp 1
		.amdhsa_ieee_mode 1
		.amdhsa_fp16_overflow 0
		.amdhsa_workgroup_processor_mode 1
		.amdhsa_memory_ordered 1
		.amdhsa_forward_progress 0
		.amdhsa_shared_vgpr_count 0
		.amdhsa_exception_fp_ieee_invalid_op 0
		.amdhsa_exception_fp_denorm_src 0
		.amdhsa_exception_fp_ieee_div_zero 0
		.amdhsa_exception_fp_ieee_overflow 0
		.amdhsa_exception_fp_ieee_underflow 0
		.amdhsa_exception_fp_ieee_inexact 0
		.amdhsa_exception_int_div_zero 0
	.end_amdhsa_kernel
	.section	.text._ZL15flash_attn_tileILi128ELi128ELi4ELi1ELb0EEvPKcS1_S1_S1_S1_PKiPfP15HIP_vector_typeIfLj2EEffffjfiS5_IjLj3EEiiiiiiiiiiiliiliiiiil,"axG",@progbits,_ZL15flash_attn_tileILi128ELi128ELi4ELi1ELb0EEvPKcS1_S1_S1_S1_PKiPfP15HIP_vector_typeIfLj2EEffffjfiS5_IjLj3EEiiiiiiiiiiiliiliiiiil,comdat
.Lfunc_end65:
	.size	_ZL15flash_attn_tileILi128ELi128ELi4ELi1ELb0EEvPKcS1_S1_S1_S1_PKiPfP15HIP_vector_typeIfLj2EEffffjfiS5_IjLj3EEiiiiiiiiiiiliiliiiiil, .Lfunc_end65-_ZL15flash_attn_tileILi128ELi128ELi4ELi1ELb0EEvPKcS1_S1_S1_S1_PKiPfP15HIP_vector_typeIfLj2EEffffjfiS5_IjLj3EEiiiiiiiiiiiliiliiiiil
                                        ; -- End function
	.section	.AMDGPU.csdata,"",@progbits
; Kernel info:
; codeLenInByte = 17440
; NumSgprs: 54
; NumVgprs: 154
; ScratchSize: 32
; MemoryBound: 0
; FloatMode: 240
; IeeeMode: 1
; LDSByteSize: 10752 bytes/workgroup (compile time only)
; SGPRBlocks: 6
; VGPRBlocks: 19
; NumSGPRsForWavesPerEU: 54
; NumVGPRsForWavesPerEU: 154
; Occupancy: 9
; WaveLimiterHint : 1
; COMPUTE_PGM_RSRC2:SCRATCH_EN: 1
; COMPUTE_PGM_RSRC2:USER_SGPR: 13
; COMPUTE_PGM_RSRC2:TRAP_HANDLER: 0
; COMPUTE_PGM_RSRC2:TGID_X_EN: 1
; COMPUTE_PGM_RSRC2:TGID_Y_EN: 1
; COMPUTE_PGM_RSRC2:TGID_Z_EN: 1
; COMPUTE_PGM_RSRC2:TIDIG_COMP_CNT: 1
	.section	.text._ZL33flash_attn_stream_k_fixup_uniformILi128ELi4ELi1EEvPfPK15HIP_vector_typeIfLj2EEiiiiiiS1_IjLj3EES5_S5_,"axG",@progbits,_ZL33flash_attn_stream_k_fixup_uniformILi128ELi4ELi1EEvPfPK15HIP_vector_typeIfLj2EEiiiiiiS1_IjLj3EES5_S5_,comdat
	.globl	_ZL33flash_attn_stream_k_fixup_uniformILi128ELi4ELi1EEvPfPK15HIP_vector_typeIfLj2EEiiiiiiS1_IjLj3EES5_S5_ ; -- Begin function _ZL33flash_attn_stream_k_fixup_uniformILi128ELi4ELi1EEvPfPK15HIP_vector_typeIfLj2EEiiiiiiS1_IjLj3EES5_S5_
	.p2align	8
	.type	_ZL33flash_attn_stream_k_fixup_uniformILi128ELi4ELi1EEvPfPK15HIP_vector_typeIfLj2EEiiiiiiS1_IjLj3EES5_S5_,@function
_ZL33flash_attn_stream_k_fixup_uniformILi128ELi4ELi1EEvPfPK15HIP_vector_typeIfLj2EEiiiiiiS1_IjLj3EES5_S5_: ; @_ZL33flash_attn_stream_k_fixup_uniformILi128ELi4ELi1EEvPfPK15HIP_vector_typeIfLj2EEiiiiiiS1_IjLj3EES5_S5_
; %bb.0:
	s_clause 0x1
	s_load_b256 s[4:11], s[0:1], 0x1c
	s_load_b128 s[16:19], s[0:1], 0x3c
	s_waitcnt lgkmcnt(0)
	s_mul_hi_u32 s2, s7, s13
	s_delay_alu instid0(SALU_CYCLE_1) | instskip(NEXT) | instid1(SALU_CYCLE_1)
	s_add_i32 s2, s13, s2
	s_lshr_b32 s2, s2, s8
	s_delay_alu instid0(SALU_CYCLE_1) | instskip(SKIP_2) | instid1(SALU_CYCLE_1)
	s_mul_i32 s3, s2, s9
	s_load_b64 s[8:9], s[0:1], 0x10
	s_sub_i32 s7, s13, s3
	s_mul_hi_u32 s3, s7, s10
	s_delay_alu instid0(SALU_CYCLE_1) | instskip(NEXT) | instid1(SALU_CYCLE_1)
	s_add_i32 s3, s7, s3
	s_lshr_b32 s3, s3, s11
	s_delay_alu instid0(SALU_CYCLE_1) | instskip(NEXT) | instid1(SALU_CYCLE_1)
	s_mul_i32 s10, s3, s16
	s_sub_i32 s10, s7, s10
	s_delay_alu instid0(SALU_CYCLE_1) | instskip(NEXT) | instid1(SALU_CYCLE_1)
	s_mul_hi_u32 s7, s10, s17
	s_add_i32 s7, s10, s7
	s_delay_alu instid0(SALU_CYCLE_1) | instskip(NEXT) | instid1(SALU_CYCLE_1)
	s_lshr_b32 s7, s7, s18
	s_mul_i32 s11, s7, s19
	s_delay_alu instid0(SALU_CYCLE_1) | instskip(NEXT) | instid1(SALU_CYCLE_1)
	s_sub_i32 s10, s10, s11
	s_lshl_b32 s11, s10, 2
	s_delay_alu instid0(SALU_CYCLE_1) | instskip(SKIP_4) | instid1(SALU_CYCLE_1)
	s_add_i32 s11, s11, s14
	s_waitcnt lgkmcnt(0)
	s_cmp_lt_i32 s11, s8
	s_cselect_b32 s11, -1, 0
	s_add_i32 s12, s7, s15
	s_cmp_lt_i32 s12, s5
	s_cselect_b32 s12, -1, 0
	s_delay_alu instid0(SALU_CYCLE_1) | instskip(NEXT) | instid1(SALU_CYCLE_1)
	s_and_b32 s11, s11, s12
	s_and_not1_b32 vcc_lo, exec_lo, s11
	s_cbranch_vccnz .LBB66_6
; %bb.1:
	s_mul_i32 s2, s2, s8
	s_mul_i32 s5, s3, s5
	s_add_i32 s2, s2, s14
	s_delay_alu instid0(SALU_CYCLE_1) | instskip(NEXT) | instid1(SALU_CYCLE_1)
	s_mul_i32 s2, s2, s9
	s_add_i32 s8, s2, s15
	s_load_b128 s[0:3], s[0:1], 0x0
	s_add_i32 s5, s8, s5
	s_mul_i32 s8, s9, s10
	s_add_i32 s5, s5, s7
	s_lshl_b32 s7, s8, 9
	s_lshl_b32 s5, s5, 7
	s_add_i32 s10, s14, s15
	s_add_i32 s7, s7, s5
	s_mul_i32 s5, s13, s6
	v_or_b32_e32 v1, s7, v0
	s_add_i32 s9, s5, s6
	s_delay_alu instid0(VALU_DEP_1) | instskip(NEXT) | instid1(VALU_DEP_1)
	v_ashrrev_i32_e32 v2, 31, v1
	v_lshlrev_b64 v[1:2], 2, v[1:2]
	s_waitcnt lgkmcnt(0)
	s_delay_alu instid0(VALU_DEP_1) | instskip(NEXT) | instid1(VALU_DEP_2)
	v_add_co_u32 v1, vcc_lo, s0, v1
	v_add_co_ci_u32_e32 v2, vcc_lo, s1, v2, vcc_lo
	s_lshl_b32 s0, s9, 2
	s_delay_alu instid0(SALU_CYCLE_1) | instskip(SKIP_2) | instid1(SALU_CYCLE_1)
	s_add_i32 s0, s10, s0
	global_load_b32 v5, v[1:2], off
	s_add_i32 s0, s0, -4
	s_ashr_i32 s1, s0, 31
	s_delay_alu instid0(SALU_CYCLE_1) | instskip(NEXT) | instid1(SALU_CYCLE_1)
	s_lshl_b64 s[0:1], s[0:1], 3
	s_add_u32 s0, s2, s0
	s_addc_u32 s1, s3, s1
	s_add_i32 s7, s9, -2
	s_load_b32 s11, s[0:1], 0x4
	s_cmp_lt_i32 s7, s5
	s_cbranch_scc1 .LBB66_4
; %bb.2:
	s_lshl_b32 s14, s4, 4
	s_load_b32 s12, s[0:1], 0x0
	s_ashr_i32 s15, s14, 31
	s_delay_alu instid0(SALU_CYCLE_1) | instskip(NEXT) | instid1(SALU_CYCLE_1)
	s_lshl_b64 s[0:1], s[14:15], 2
	s_add_u32 s7, s2, s0
	s_addc_u32 s8, s3, s1
	s_add_i32 s13, s13, 1
	s_lshl_b32 s1, s10, 7
	s_mul_i32 s0, s6, s13
	s_delay_alu instid0(SALU_CYCLE_1)
	s_lshl_b32 s6, s0, 9
	s_lshl_b32 s0, s0, 2
	s_add_i32 s1, s1, s6
	s_add_i32 s0, s10, s0
	v_or_b32_e32 v0, s1, v0
	s_lshl_b32 s1, s4, 2
	s_waitcnt lgkmcnt(0)
	v_mov_b32_e32 v6, s11
	s_add_i32 s0, s0, s1
	s_add_i32 s4, s9, -1
	v_dual_mov_b32 v0, s12 :: v_dual_add_nc_u32 v3, 0xfffffc00, v0
	s_add_i32 s0, s0, -8
.LBB66_3:                               ; =>This Inner Loop Header: Depth=1
	s_delay_alu instid0(VALU_DEP_1) | instskip(SKIP_1) | instid1(SALU_CYCLE_1)
	v_ashrrev_i32_e32 v4, 31, v3
	s_ashr_i32 s1, s0, 31
	s_lshl_b64 s[10:11], s[0:1], 3
	s_delay_alu instid0(SALU_CYCLE_1) | instskip(NEXT) | instid1(VALU_DEP_1)
	s_add_u32 s10, s2, s10
	v_lshlrev_b64 v[7:8], 2, v[3:4]
	s_addc_u32 s11, s3, s11
	s_add_i32 s4, s4, -1
	s_add_i32 s0, s0, -4
	s_cmp_le_i32 s4, s5
	s_load_b64 s[10:11], s[10:11], 0x0
	v_add_co_u32 v7, vcc_lo, s7, v7
	v_add_co_ci_u32_e32 v8, vcc_lo, s8, v8, vcc_lo
	global_load_b32 v4, v[7:8], off
	v_max_f32_e32 v7, v0, v0
	s_waitcnt lgkmcnt(0)
	v_max_f32_e64 v8, s10, s10
	s_delay_alu instid0(VALU_DEP_1) | instskip(NEXT) | instid1(VALU_DEP_1)
	v_max_f32_e32 v7, v7, v8
	v_sub_f32_e32 v8, s10, v7
	s_delay_alu instid0(VALU_DEP_1) | instskip(NEXT) | instid1(VALU_DEP_1)
	v_dual_sub_f32 v0, v0, v7 :: v_dual_mul_f32 v9, 0x3fb8aa3b, v8
	v_fma_f32 v10, 0x3fb8aa3b, v8, -v9
	v_rndne_f32_e32 v11, v9
	s_delay_alu instid0(VALU_DEP_3) | instskip(NEXT) | instid1(VALU_DEP_2)
	v_mul_f32_e32 v12, 0x3fb8aa3b, v0
	v_dual_fmac_f32 v10, 0x32a5705f, v8 :: v_dual_sub_f32 v9, v9, v11
	v_cvt_i32_f32_e32 v11, v11
	s_delay_alu instid0(VALU_DEP_3) | instskip(SKIP_1) | instid1(VALU_DEP_4)
	v_fma_f32 v13, 0x3fb8aa3b, v0, -v12
	v_rndne_f32_e32 v14, v12
	v_add_f32_e32 v9, v9, v10
	v_cmp_ngt_f32_e32 vcc_lo, 0xc2ce8ed0, v8
	s_delay_alu instid0(VALU_DEP_3) | instskip(NEXT) | instid1(VALU_DEP_3)
	v_sub_f32_e32 v10, v12, v14
	v_exp_f32_e32 v9, v9
	s_waitcnt_depctr 0xfff
	v_ldexp_f32 v9, v9, v11
	v_cvt_i32_f32_e32 v11, v14
	s_delay_alu instid0(VALU_DEP_2) | instskip(SKIP_1) | instid1(VALU_DEP_2)
	v_cndmask_b32_e32 v9, 0, v9, vcc_lo
	v_cmp_nlt_f32_e32 vcc_lo, 0x42b17218, v8
	v_cndmask_b32_e32 v9, 0x7f800000, v9, vcc_lo
	v_cmp_ngt_f32_e32 vcc_lo, 0xc2ce8ed0, v0
	v_fmac_f32_e32 v13, 0x32a5705f, v0
	s_delay_alu instid0(VALU_DEP_1) | instskip(NEXT) | instid1(VALU_DEP_1)
	v_add_f32_e32 v10, v10, v13
	v_exp_f32_e32 v10, v10
	s_waitcnt_depctr 0xfff
	v_ldexp_f32 v10, v10, v11
	s_delay_alu instid0(VALU_DEP_1)
	v_dual_mov_b32 v11, v6 :: v_dual_cndmask_b32 v10, 0, v10
	v_cmp_le_f32_e32 vcc_lo, 0xc1a00000, v8
	s_waitcnt vmcnt(1)
	v_dual_cndmask_b32 v8, 0, v9 :: v_dual_mov_b32 v9, v5
	v_cmp_nlt_f32_e32 vcc_lo, 0x42b17218, v0
	v_cndmask_b32_e32 v5, 0x7f800000, v10, vcc_lo
	s_delay_alu instid0(VALU_DEP_3) | instskip(SKIP_2) | instid1(VALU_DEP_3)
	v_mul_f32_e32 v10, s11, v8
	v_cmp_le_f32_e32 vcc_lo, 0xc1a00000, v0
	v_mov_b32_e32 v0, v7
	v_mov_b32_e32 v6, v10
	s_waitcnt vmcnt(0)
	v_dual_cndmask_b32 v12, 0, v5 :: v_dual_mul_f32 v5, v4, v8
	s_delay_alu instid0(VALU_DEP_1) | instskip(NEXT) | instid1(VALU_DEP_2)
	v_dual_fmac_f32 v6, v11, v12 :: v_dual_add_nc_u32 v3, 0xfffffe00, v3
	v_fmac_f32_e32 v5, v9, v12
	s_cbranch_scc0 .LBB66_3
	s_branch .LBB66_5
.LBB66_4:
	s_waitcnt lgkmcnt(0)
	v_mov_b32_e32 v6, s11
.LBB66_5:
	s_waitcnt vmcnt(0)
	s_delay_alu instid0(VALU_DEP_1) | instskip(NEXT) | instid1(VALU_DEP_1)
	v_div_scale_f32 v0, null, v6, v6, v5
	v_rcp_f32_e32 v3, v0
	s_waitcnt_depctr 0xfff
	v_fma_f32 v4, -v0, v3, 1.0
	s_delay_alu instid0(VALU_DEP_1) | instskip(SKIP_1) | instid1(VALU_DEP_1)
	v_fmac_f32_e32 v3, v4, v3
	v_div_scale_f32 v4, vcc_lo, v5, v6, v5
	v_mul_f32_e32 v7, v4, v3
	s_delay_alu instid0(VALU_DEP_1) | instskip(NEXT) | instid1(VALU_DEP_1)
	v_fma_f32 v8, -v0, v7, v4
	v_fmac_f32_e32 v7, v8, v3
	s_delay_alu instid0(VALU_DEP_1) | instskip(NEXT) | instid1(VALU_DEP_1)
	v_fma_f32 v0, -v0, v7, v4
	v_div_fmas_f32 v0, v0, v3, v7
	s_delay_alu instid0(VALU_DEP_1)
	v_div_fixup_f32 v0, v0, v6, v5
	global_store_b32 v[1:2], v0, off
.LBB66_6:
	s_nop 0
	s_sendmsg sendmsg(MSG_DEALLOC_VGPRS)
	s_endpgm
	.section	.rodata,"a",@progbits
	.p2align	6, 0x0
	.amdhsa_kernel _ZL33flash_attn_stream_k_fixup_uniformILi128ELi4ELi1EEvPfPK15HIP_vector_typeIfLj2EEiiiiiiS1_IjLj3EES5_S5_
		.amdhsa_group_segment_fixed_size 0
		.amdhsa_private_segment_fixed_size 0
		.amdhsa_kernarg_size 76
		.amdhsa_user_sgpr_count 13
		.amdhsa_user_sgpr_dispatch_ptr 0
		.amdhsa_user_sgpr_queue_ptr 0
		.amdhsa_user_sgpr_kernarg_segment_ptr 1
		.amdhsa_user_sgpr_dispatch_id 0
		.amdhsa_user_sgpr_private_segment_size 0
		.amdhsa_wavefront_size32 1
		.amdhsa_uses_dynamic_stack 0
		.amdhsa_enable_private_segment 0
		.amdhsa_system_sgpr_workgroup_id_x 1
		.amdhsa_system_sgpr_workgroup_id_y 1
		.amdhsa_system_sgpr_workgroup_id_z 1
		.amdhsa_system_sgpr_workgroup_info 0
		.amdhsa_system_vgpr_workitem_id 0
		.amdhsa_next_free_vgpr 15
		.amdhsa_next_free_sgpr 20
		.amdhsa_reserve_vcc 1
		.amdhsa_float_round_mode_32 0
		.amdhsa_float_round_mode_16_64 0
		.amdhsa_float_denorm_mode_32 3
		.amdhsa_float_denorm_mode_16_64 3
		.amdhsa_dx10_clamp 1
		.amdhsa_ieee_mode 1
		.amdhsa_fp16_overflow 0
		.amdhsa_workgroup_processor_mode 1
		.amdhsa_memory_ordered 1
		.amdhsa_forward_progress 0
		.amdhsa_shared_vgpr_count 0
		.amdhsa_exception_fp_ieee_invalid_op 0
		.amdhsa_exception_fp_denorm_src 0
		.amdhsa_exception_fp_ieee_div_zero 0
		.amdhsa_exception_fp_ieee_overflow 0
		.amdhsa_exception_fp_ieee_underflow 0
		.amdhsa_exception_fp_ieee_inexact 0
		.amdhsa_exception_int_div_zero 0
	.end_amdhsa_kernel
	.section	.text._ZL33flash_attn_stream_k_fixup_uniformILi128ELi4ELi1EEvPfPK15HIP_vector_typeIfLj2EEiiiiiiS1_IjLj3EES5_S5_,"axG",@progbits,_ZL33flash_attn_stream_k_fixup_uniformILi128ELi4ELi1EEvPfPK15HIP_vector_typeIfLj2EEiiiiiiS1_IjLj3EES5_S5_,comdat
.Lfunc_end66:
	.size	_ZL33flash_attn_stream_k_fixup_uniformILi128ELi4ELi1EEvPfPK15HIP_vector_typeIfLj2EEiiiiiiS1_IjLj3EES5_S5_, .Lfunc_end66-_ZL33flash_attn_stream_k_fixup_uniformILi128ELi4ELi1EEvPfPK15HIP_vector_typeIfLj2EEiiiiiiS1_IjLj3EES5_S5_
                                        ; -- End function
	.section	.AMDGPU.csdata,"",@progbits
; Kernel info:
; codeLenInByte = 976
; NumSgprs: 22
; NumVgprs: 15
; ScratchSize: 0
; MemoryBound: 0
; FloatMode: 240
; IeeeMode: 1
; LDSByteSize: 0 bytes/workgroup (compile time only)
; SGPRBlocks: 2
; VGPRBlocks: 1
; NumSGPRsForWavesPerEU: 22
; NumVGPRsForWavesPerEU: 15
; Occupancy: 16
; WaveLimiterHint : 0
; COMPUTE_PGM_RSRC2:SCRATCH_EN: 0
; COMPUTE_PGM_RSRC2:USER_SGPR: 13
; COMPUTE_PGM_RSRC2:TRAP_HANDLER: 0
; COMPUTE_PGM_RSRC2:TGID_X_EN: 1
; COMPUTE_PGM_RSRC2:TGID_Y_EN: 1
; COMPUTE_PGM_RSRC2:TGID_Z_EN: 1
; COMPUTE_PGM_RSRC2:TIDIG_COMP_CNT: 0
	.section	.text._ZL33flash_attn_stream_k_fixup_generalILi128ELi4ELi1EEvPfPK15HIP_vector_typeIfLj2EEiiiiS1_IjLj3EES5_S5_S5_,"axG",@progbits,_ZL33flash_attn_stream_k_fixup_generalILi128ELi4ELi1EEvPfPK15HIP_vector_typeIfLj2EEiiiiS1_IjLj3EES5_S5_S5_,comdat
	.globl	_ZL33flash_attn_stream_k_fixup_generalILi128ELi4ELi1EEvPfPK15HIP_vector_typeIfLj2EEiiiiS1_IjLj3EES5_S5_S5_ ; -- Begin function _ZL33flash_attn_stream_k_fixup_generalILi128ELi4ELi1EEvPfPK15HIP_vector_typeIfLj2EEiiiiS1_IjLj3EES5_S5_S5_
	.p2align	8
	.type	_ZL33flash_attn_stream_k_fixup_generalILi128ELi4ELi1EEvPfPK15HIP_vector_typeIfLj2EEiiiiS1_IjLj3EES5_S5_S5_,@function
_ZL33flash_attn_stream_k_fixup_generalILi128ELi4ELi1EEvPfPK15HIP_vector_typeIfLj2EEiiiiS1_IjLj3EES5_S5_S5_: ; @_ZL33flash_attn_stream_k_fixup_generalILi128ELi4ELi1EEvPfPK15HIP_vector_typeIfLj2EEiiiiS1_IjLj3EES5_S5_S5_
; %bb.0:
	s_clause 0x1
	s_load_b128 s[4:7], s[0:1], 0x10
	s_load_b32 s20, s[0:1], 0x50
	s_mov_b32 s2, 0
	s_waitcnt lgkmcnt(0)
	s_mul_hi_i32 s3, s7, s13
	s_mul_i32 s12, s7, s13
	s_cmp_lg_u64 s[2:3], 0
	s_cbranch_scc0 .LBB67_21
; %bb.1:
	v_cvt_f32_ubyte0_e32 v1, 0
	v_cvt_f32_u32_e32 v2, s20
	s_sub_u32 s10, 0, s20
	s_subb_u32 s11, 0, 0
	s_delay_alu instid0(VALU_DEP_1) | instskip(NEXT) | instid1(VALU_DEP_1)
	v_fmamk_f32 v1, v1, 0x4f800000, v2
	v_rcp_f32_e32 v1, v1
	s_waitcnt_depctr 0xfff
	v_mul_f32_e32 v1, 0x5f7ffffc, v1
	s_delay_alu instid0(VALU_DEP_1) | instskip(NEXT) | instid1(VALU_DEP_1)
	v_mul_f32_e32 v2, 0x2f800000, v1
	v_trunc_f32_e32 v2, v2
	s_delay_alu instid0(VALU_DEP_1) | instskip(SKIP_1) | instid1(VALU_DEP_2)
	v_fmamk_f32 v1, v2, 0xcf800000, v1
	v_cvt_u32_f32_e32 v2, v2
	v_cvt_u32_f32_e32 v1, v1
	s_delay_alu instid0(VALU_DEP_2) | instskip(NEXT) | instid1(VALU_DEP_2)
	v_readfirstlane_b32 s8, v2
	v_readfirstlane_b32 s9, v1
	s_delay_alu instid0(VALU_DEP_2) | instskip(NEXT) | instid1(VALU_DEP_1)
	s_mul_i32 s16, s10, s8
	s_mul_hi_u32 s18, s10, s9
	s_mul_i32 s17, s11, s9
	s_add_i32 s16, s18, s16
	s_mul_i32 s19, s10, s9
	s_add_i32 s16, s16, s17
	s_mul_hi_u32 s18, s9, s19
	s_mul_hi_u32 s21, s8, s19
	s_mul_i32 s17, s8, s19
	s_mul_hi_u32 s19, s9, s16
	s_mul_i32 s9, s9, s16
	s_mul_hi_u32 s22, s8, s16
	s_add_u32 s9, s18, s9
	s_addc_u32 s18, 0, s19
	s_add_u32 s9, s9, s17
	s_mul_i32 s16, s8, s16
	s_addc_u32 s9, s18, s21
	s_addc_u32 s17, s22, 0
	s_add_u32 s9, s9, s16
	s_addc_u32 s16, 0, s17
	v_add_co_u32 v1, s9, v1, s9
	s_delay_alu instid0(VALU_DEP_1) | instskip(SKIP_1) | instid1(VALU_DEP_1)
	s_cmp_lg_u32 s9, 0
	s_addc_u32 s8, s8, s16
	v_readfirstlane_b32 s9, v1
	s_mul_i32 s16, s10, s8
	s_delay_alu instid0(VALU_DEP_1)
	s_mul_hi_u32 s17, s10, s9
	s_mul_i32 s11, s11, s9
	s_add_i32 s16, s17, s16
	s_mul_i32 s10, s10, s9
	s_add_i32 s16, s16, s11
	s_mul_hi_u32 s17, s8, s10
	s_mul_i32 s18, s8, s10
	s_mul_hi_u32 s10, s9, s10
	s_mul_hi_u32 s19, s9, s16
	s_mul_i32 s9, s9, s16
	s_mul_hi_u32 s11, s8, s16
	s_add_u32 s9, s10, s9
	s_addc_u32 s10, 0, s19
	s_add_u32 s9, s9, s18
	s_mul_i32 s16, s8, s16
	s_addc_u32 s9, s10, s17
	s_addc_u32 s10, s11, 0
	s_add_u32 s9, s9, s16
	s_addc_u32 s10, 0, s10
	v_add_co_u32 v1, s9, v1, s9
	s_delay_alu instid0(VALU_DEP_1) | instskip(SKIP_2) | instid1(SALU_CYCLE_1)
	s_cmp_lg_u32 s9, 0
	s_addc_u32 s16, s8, s10
	s_ashr_i32 s8, s3, 31
	s_add_u32 s10, s12, s8
	s_addc_u32 s11, s3, s8
	v_readfirstlane_b32 s3, v1
	s_mov_b32 s9, s8
	s_delay_alu instid0(SALU_CYCLE_1) | instskip(NEXT) | instid1(SALU_CYCLE_1)
	s_xor_b64 s[10:11], s[10:11], s[8:9]
	s_mul_i32 s18, s10, s16
	s_delay_alu instid0(VALU_DEP_1)
	s_mul_hi_u32 s19, s10, s3
	s_mul_hi_u32 s17, s10, s16
	s_mul_hi_u32 s22, s11, s3
	s_mul_i32 s3, s11, s3
	s_add_u32 s18, s19, s18
	s_addc_u32 s17, 0, s17
	s_mul_hi_u32 s21, s11, s16
	s_add_u32 s3, s18, s3
	s_mul_i32 s16, s11, s16
	s_addc_u32 s3, s17, s22
	s_addc_u32 s17, s21, 0
	s_add_u32 s3, s3, s16
	s_addc_u32 s16, 0, s17
	s_mul_i32 s18, s20, s3
	s_add_u32 s17, s3, 1
	v_sub_co_u32 v1, s10, s10, s18
	s_mul_hi_u32 s18, s20, s3
	s_addc_u32 s19, s16, 0
	s_mul_i32 s21, s20, s16
	s_delay_alu instid0(VALU_DEP_1)
	v_sub_co_u32 v2, s22, v1, s20
	s_add_u32 s23, s3, 2
	s_addc_u32 s24, s16, 0
	s_add_i32 s18, s18, s21
	s_cmp_lg_u32 s10, 0
	v_readfirstlane_b32 s10, v2
	s_subb_u32 s11, s11, s18
	s_cmp_lg_u32 s22, 0
	s_subb_u32 s18, s11, 0
	s_delay_alu instid0(VALU_DEP_1) | instskip(SKIP_4) | instid1(SALU_CYCLE_1)
	s_cmp_ge_u32 s10, s20
	s_cselect_b32 s10, -1, 0
	s_cmp_eq_u32 s18, 0
	v_readfirstlane_b32 s18, v1
	s_cselect_b32 s10, s10, -1
	s_cmp_lg_u32 s10, 0
	s_cselect_b32 s10, s23, s17
	s_cselect_b32 s17, s24, s19
	s_cmp_ge_u32 s18, s20
	s_cselect_b32 s18, -1, 0
	s_cmp_eq_u32 s11, 0
	s_cselect_b32 s11, s18, -1
	s_delay_alu instid0(SALU_CYCLE_1) | instskip(SKIP_2) | instid1(SALU_CYCLE_1)
	s_cmp_lg_u32 s11, 0
	s_cselect_b32 s11, s17, s16
	s_cselect_b32 s10, s10, s3
	s_xor_b64 s[10:11], s[10:11], s[8:9]
	s_delay_alu instid0(SALU_CYCLE_1)
	s_sub_u32 s16, s10, s8
	s_load_b128 s[8:11], s[0:1], 0x44
	s_and_not1_b32 vcc_lo, exec_lo, s2
	s_cbranch_vccnz .LBB67_3
.LBB67_2:
	v_cvt_f32_u32_e32 v1, s20
	s_sub_i32 s3, 0, s20
	s_delay_alu instid0(VALU_DEP_1) | instskip(SKIP_2) | instid1(VALU_DEP_1)
	v_rcp_iflag_f32_e32 v1, v1
	s_waitcnt_depctr 0xfff
	v_mul_f32_e32 v1, 0x4f7ffffe, v1
	v_cvt_u32_f32_e32 v1, v1
	s_delay_alu instid0(VALU_DEP_1) | instskip(NEXT) | instid1(VALU_DEP_1)
	v_readfirstlane_b32 s2, v1
	s_mul_i32 s3, s3, s2
	s_delay_alu instid0(SALU_CYCLE_1) | instskip(NEXT) | instid1(SALU_CYCLE_1)
	s_mul_hi_u32 s3, s2, s3
	s_add_i32 s2, s2, s3
	s_delay_alu instid0(SALU_CYCLE_1) | instskip(NEXT) | instid1(SALU_CYCLE_1)
	s_mul_hi_u32 s2, s12, s2
	s_mul_i32 s3, s2, s20
	s_waitcnt lgkmcnt(0)
	s_add_i32 s11, s2, 1
	s_sub_i32 s3, s12, s3
	s_delay_alu instid0(SALU_CYCLE_1)
	s_sub_i32 s12, s3, s20
	s_cmp_ge_u32 s3, s20
	s_cselect_b32 s2, s11, s2
	s_cselect_b32 s3, s12, s3
	s_add_i32 s11, s2, 1
	s_cmp_ge_u32 s3, s20
	s_cselect_b32 s16, s11, s2
.LBB67_3:
	s_waitcnt lgkmcnt(0)
	s_add_i32 s11, s13, 1
	s_mov_b32 s2, 0
	s_mul_hi_i32 s3, s7, s11
	s_mul_i32 s11, s7, s11
	s_cmp_lg_u64 s[2:3], 0
	s_cbranch_scc0 .LBB67_22
; %bb.4:
	v_cvt_f32_ubyte0_e32 v1, 0
	v_cvt_f32_u32_e32 v2, s20
	s_sub_u32 s18, 0, s20
	s_subb_u32 s19, 0, 0
	s_delay_alu instid0(VALU_DEP_1) | instskip(NEXT) | instid1(VALU_DEP_1)
	v_fmamk_f32 v1, v1, 0x4f800000, v2
	v_rcp_f32_e32 v1, v1
	s_waitcnt_depctr 0xfff
	v_mul_f32_e32 v1, 0x5f7ffffc, v1
	s_delay_alu instid0(VALU_DEP_1) | instskip(NEXT) | instid1(VALU_DEP_1)
	v_mul_f32_e32 v2, 0x2f800000, v1
	v_trunc_f32_e32 v2, v2
	s_delay_alu instid0(VALU_DEP_1) | instskip(SKIP_1) | instid1(VALU_DEP_2)
	v_fmamk_f32 v1, v2, 0xcf800000, v1
	v_cvt_u32_f32_e32 v2, v2
	v_cvt_u32_f32_e32 v1, v1
	s_delay_alu instid0(VALU_DEP_2) | instskip(NEXT) | instid1(VALU_DEP_2)
	v_readfirstlane_b32 s12, v2
	v_readfirstlane_b32 s17, v1
	s_delay_alu instid0(VALU_DEP_2) | instskip(NEXT) | instid1(VALU_DEP_1)
	s_mul_i32 s21, s18, s12
	s_mul_hi_u32 s23, s18, s17
	s_mul_i32 s22, s19, s17
	s_add_i32 s21, s23, s21
	s_mul_i32 s24, s18, s17
	s_add_i32 s21, s21, s22
	s_mul_hi_u32 s23, s17, s24
	s_mul_hi_u32 s25, s12, s24
	s_mul_i32 s22, s12, s24
	s_mul_hi_u32 s24, s17, s21
	s_mul_i32 s17, s17, s21
	s_mul_hi_u32 s26, s12, s21
	s_add_u32 s17, s23, s17
	s_addc_u32 s23, 0, s24
	s_add_u32 s17, s17, s22
	s_mul_i32 s21, s12, s21
	s_addc_u32 s17, s23, s25
	s_addc_u32 s22, s26, 0
	s_add_u32 s17, s17, s21
	s_addc_u32 s21, 0, s22
	v_add_co_u32 v1, s17, v1, s17
	s_delay_alu instid0(VALU_DEP_1) | instskip(SKIP_1) | instid1(VALU_DEP_1)
	s_cmp_lg_u32 s17, 0
	s_addc_u32 s12, s12, s21
	v_readfirstlane_b32 s17, v1
	s_mul_i32 s21, s18, s12
	s_delay_alu instid0(VALU_DEP_1)
	s_mul_hi_u32 s22, s18, s17
	s_mul_i32 s19, s19, s17
	s_add_i32 s21, s22, s21
	s_mul_i32 s18, s18, s17
	s_add_i32 s21, s21, s19
	s_mul_hi_u32 s22, s12, s18
	s_mul_i32 s23, s12, s18
	s_mul_hi_u32 s18, s17, s18
	s_mul_hi_u32 s24, s17, s21
	s_mul_i32 s17, s17, s21
	s_mul_hi_u32 s19, s12, s21
	s_add_u32 s17, s18, s17
	s_addc_u32 s18, 0, s24
	s_add_u32 s17, s17, s23
	s_mul_i32 s21, s12, s21
	s_addc_u32 s17, s18, s22
	s_addc_u32 s18, s19, 0
	s_add_u32 s17, s17, s21
	s_addc_u32 s18, 0, s18
	v_add_co_u32 v1, s17, v1, s17
	s_delay_alu instid0(VALU_DEP_1) | instskip(SKIP_2) | instid1(SALU_CYCLE_1)
	s_cmp_lg_u32 s17, 0
	s_addc_u32 s12, s12, s18
	s_ashr_i32 s18, s3, 31
	s_add_u32 s22, s11, s18
	s_addc_u32 s23, s3, s18
	v_readfirstlane_b32 s3, v1
	s_mov_b32 s19, s18
	s_delay_alu instid0(SALU_CYCLE_1) | instskip(NEXT) | instid1(SALU_CYCLE_1)
	s_xor_b64 s[22:23], s[22:23], s[18:19]
	s_mul_i32 s21, s22, s12
	s_delay_alu instid0(VALU_DEP_1)
	s_mul_hi_u32 s24, s22, s3
	s_mul_hi_u32 s17, s22, s12
	;; [unrolled: 1-line block ×3, first 2 shown]
	s_mul_i32 s3, s23, s3
	s_add_u32 s21, s24, s21
	s_addc_u32 s17, 0, s17
	s_mul_hi_u32 s25, s23, s12
	s_add_u32 s3, s21, s3
	s_mul_i32 s12, s23, s12
	s_addc_u32 s3, s17, s26
	s_addc_u32 s17, s25, 0
	s_add_u32 s3, s3, s12
	s_addc_u32 s12, 0, s17
	s_mul_i32 s21, s20, s3
	s_add_u32 s17, s3, 1
	v_sub_co_u32 v1, s21, s22, s21
	s_mul_hi_u32 s22, s20, s3
	s_addc_u32 s24, s12, 0
	s_mul_i32 s25, s20, s12
	s_delay_alu instid0(VALU_DEP_1)
	v_sub_co_u32 v2, s26, v1, s20
	s_add_u32 s27, s3, 2
	s_addc_u32 s28, s12, 0
	s_add_i32 s22, s22, s25
	s_cmp_lg_u32 s21, 0
	v_readfirstlane_b32 s21, v2
	s_subb_u32 s22, s23, s22
	s_cmp_lg_u32 s26, 0
	s_subb_u32 s23, s22, 0
	s_delay_alu instid0(VALU_DEP_1) | instskip(SKIP_4) | instid1(SALU_CYCLE_1)
	s_cmp_ge_u32 s21, s20
	s_cselect_b32 s21, -1, 0
	s_cmp_eq_u32 s23, 0
	v_readfirstlane_b32 s23, v1
	s_cselect_b32 s21, s21, -1
	s_cmp_lg_u32 s21, 0
	s_cselect_b32 s17, s27, s17
	s_cselect_b32 s21, s28, s24
	s_cmp_ge_u32 s23, s20
	s_cselect_b32 s23, -1, 0
	s_cmp_eq_u32 s22, 0
	s_cselect_b32 s22, s23, -1
	s_delay_alu instid0(SALU_CYCLE_1) | instskip(SKIP_2) | instid1(SALU_CYCLE_1)
	s_cmp_lg_u32 s22, 0
	s_cselect_b32 s23, s21, s12
	s_cselect_b32 s22, s17, s3
	s_xor_b64 s[22:23], s[22:23], s[18:19]
	s_delay_alu instid0(SALU_CYCLE_1)
	s_sub_u32 s18, s22, s18
	s_and_not1_b32 vcc_lo, exec_lo, s2
	s_cbranch_vccnz .LBB67_6
.LBB67_5:
	v_cvt_f32_u32_e32 v1, s20
	s_sub_i32 s3, 0, s20
	s_delay_alu instid0(VALU_DEP_1) | instskip(SKIP_2) | instid1(VALU_DEP_1)
	v_rcp_iflag_f32_e32 v1, v1
	s_waitcnt_depctr 0xfff
	v_mul_f32_e32 v1, 0x4f7ffffe, v1
	v_cvt_u32_f32_e32 v1, v1
	s_delay_alu instid0(VALU_DEP_1) | instskip(NEXT) | instid1(VALU_DEP_1)
	v_readfirstlane_b32 s2, v1
	s_mul_i32 s3, s3, s2
	s_delay_alu instid0(SALU_CYCLE_1) | instskip(NEXT) | instid1(SALU_CYCLE_1)
	s_mul_hi_u32 s3, s2, s3
	s_add_i32 s2, s2, s3
	s_delay_alu instid0(SALU_CYCLE_1) | instskip(NEXT) | instid1(SALU_CYCLE_1)
	s_mul_hi_u32 s2, s11, s2
	s_mul_i32 s3, s2, s20
	s_delay_alu instid0(SALU_CYCLE_1)
	s_sub_i32 s3, s11, s3
	s_add_i32 s11, s2, 1
	s_sub_i32 s12, s3, s20
	s_cmp_ge_u32 s3, s20
	s_cselect_b32 s2, s11, s2
	s_cselect_b32 s3, s12, s3
	s_add_i32 s11, s2, 1
	s_cmp_ge_u32 s3, s20
	s_cselect_b32 s18, s11, s2
.LBB67_6:
	s_delay_alu instid0(SALU_CYCLE_1) | instskip(SKIP_3) | instid1(SALU_CYCLE_1)
	s_cmp_eq_u32 s16, s18
	s_mul_hi_u32 s2, s16, s8
	s_cselect_b32 s3, -1, 0
	s_add_i32 s2, s2, s16
	s_lshr_b32 s11, s2, s9
	s_delay_alu instid0(SALU_CYCLE_1) | instskip(NEXT) | instid1(SALU_CYCLE_1)
	s_mul_i32 s2, s11, s10
	s_cmp_eq_u32 s2, s16
	s_mul_hi_u32 s2, s18, s8
	s_cselect_b32 s12, -1, 0
	s_add_i32 s2, s2, s18
	s_delay_alu instid0(SALU_CYCLE_1) | instskip(NEXT) | instid1(SALU_CYCLE_1)
	s_lshr_b32 s2, s2, s9
	s_cmp_eq_u32 s11, s2
	s_mul_i32 s2, s2, s10
	s_cselect_b32 s17, -1, 0
	s_cmp_lg_u32 s2, s18
	s_cselect_b32 s2, -1, 0
	s_or_b32 s3, s3, s12
	s_and_b32 s2, s17, s2
	s_delay_alu instid0(SALU_CYCLE_1) | instskip(NEXT) | instid1(SALU_CYCLE_1)
	s_or_b32 s2, s3, s2
	s_and_b32 vcc_lo, exec_lo, s2
	s_cbranch_vccnz .LBB67_24
; %bb.7:
	s_load_b256 s[24:31], s[0:1], 0x20
	s_waitcnt lgkmcnt(0)
	s_mul_hi_u32 s2, s16, s24
	s_delay_alu instid0(SALU_CYCLE_1) | instskip(NEXT) | instid1(SALU_CYCLE_1)
	s_add_i32 s2, s2, s16
	s_lshr_b32 s18, s2, s25
	s_load_b32 s2, s[0:1], 0x40
	s_mul_i32 s3, s18, s26
	s_delay_alu instid0(SALU_CYCLE_1) | instskip(NEXT) | instid1(SALU_CYCLE_1)
	s_sub_i32 s3, s16, s3
	s_mul_hi_u32 s12, s3, s27
	s_delay_alu instid0(SALU_CYCLE_1) | instskip(NEXT) | instid1(SALU_CYCLE_1)
	s_add_i32 s12, s3, s12
	s_lshr_b32 s21, s12, s28
	s_delay_alu instid0(SALU_CYCLE_1) | instskip(NEXT) | instid1(SALU_CYCLE_1)
	s_mul_i32 s12, s21, s29
	s_sub_i32 s3, s3, s12
	s_delay_alu instid0(SALU_CYCLE_1) | instskip(NEXT) | instid1(SALU_CYCLE_1)
	s_mul_hi_u32 s12, s3, s30
	s_add_i32 s12, s3, s12
	s_delay_alu instid0(SALU_CYCLE_1) | instskip(SKIP_3) | instid1(SALU_CYCLE_1)
	s_lshr_b32 s22, s12, s31
	s_mov_b32 s12, 0
	s_waitcnt lgkmcnt(0)
	s_mul_i32 s2, s22, s2
	s_sub_i32 s2, s3, s2
	s_delay_alu instid0(SALU_CYCLE_1) | instskip(NEXT) | instid1(SALU_CYCLE_1)
	s_mul_hi_u32 s3, s2, s8
	s_add_i32 s2, s2, s3
	s_delay_alu instid0(SALU_CYCLE_1) | instskip(NEXT) | instid1(SALU_CYCLE_1)
	s_lshr_b32 s23, s2, s9
	s_lshl_b32 s2, s23, 2
	s_delay_alu instid0(SALU_CYCLE_1) | instskip(NEXT) | instid1(SALU_CYCLE_1)
	s_add_i32 s2, s2, s14
	s_cmp_lt_i32 s2, s4
	s_cselect_b32 s2, -1, 0
	s_add_i32 s3, s22, s15
	s_delay_alu instid0(SALU_CYCLE_1) | instskip(SKIP_1) | instid1(SALU_CYCLE_1)
	s_cmp_lt_i32 s3, s6
	s_cselect_b32 s3, -1, 0
	s_and_b32 s2, s2, s3
	s_delay_alu instid0(SALU_CYCLE_1)
	s_and_not1_b32 vcc_lo, exec_lo, s2
	s_cbranch_vccnz .LBB67_24
; %bb.8:
	s_load_b128 s[0:3], s[0:1], 0x0
	s_lshl_b32 s24, s20, 4
	s_mov_b32 s25, s12
	s_add_i32 s17, s14, s15
	s_lshl_b64 s[24:25], s[24:25], 2
	s_mul_i32 s4, s18, s4
	s_mul_i32 s21, s21, s6
	v_cvt_f32_ubyte0_e32 v4, 0
	v_cvt_f32_u32_e32 v5, s20
	s_waitcnt lgkmcnt(0)
	s_add_u32 s18, s2, s24
	s_addc_u32 s19, s3, s25
	s_add_i32 s4, s4, s14
	s_delay_alu instid0(SALU_CYCLE_1) | instskip(SKIP_4) | instid1(SALU_CYCLE_1)
	s_mul_i32 s4, s4, s5
	s_mul_i32 s5, s5, s23
	s_add_i32 s4, s4, s15
	s_lshl_b32 s5, s5, 9
	s_add_i32 s4, s4, s21
	s_add_i32 s4, s4, s22
	s_delay_alu instid0(SALU_CYCLE_1) | instskip(NEXT) | instid1(SALU_CYCLE_1)
	s_lshl_b32 s4, s4, 7
	s_add_i32 s5, s5, s4
	s_delay_alu instid0(SALU_CYCLE_1) | instskip(SKIP_1) | instid1(VALU_DEP_2)
	v_or_b32_e32 v1, s5, v0
	v_lshl_or_b32 v0, s17, 7, v0
	v_ashrrev_i32_e32 v2, 31, v1
	s_delay_alu instid0(VALU_DEP_1) | instskip(NEXT) | instid1(VALU_DEP_1)
	v_lshlrev_b64 v[1:2], 2, v[1:2]
	v_add_co_u32 v1, vcc_lo, s0, v1
	s_delay_alu instid0(VALU_DEP_2) | instskip(SKIP_1) | instid1(SALU_CYCLE_1)
	v_add_co_ci_u32_e32 v2, vcc_lo, s1, v2, vcc_lo
	s_lshl_b32 s0, s13, 2
	s_add_i32 s0, s0, s17
	global_load_b32 v3, v[1:2], off
	s_ashr_i32 s1, s0, 31
	s_delay_alu instid0(SALU_CYCLE_1) | instskip(NEXT) | instid1(SALU_CYCLE_1)
	s_lshl_b64 s[0:1], s[0:1], 3
	s_add_u32 s0, s2, s0
	s_addc_u32 s1, s3, s1
	s_add_i32 s14, s13, -1
	s_load_b64 s[0:1], s[0:1], 0x0
	v_fmac_f32_e32 v5, 0x4f800000, v4
	s_sub_i32 s6, 0, s20
	s_waitcnt lgkmcnt(0)
	v_mov_b32_e32 v8, s0
	s_delay_alu instid0(VALU_DEP_2) | instskip(SKIP_2) | instid1(VALU_DEP_2)
	v_rcp_f32_e32 v4, v5
	v_cvt_f32_u32_e32 v5, s20
	v_mov_b32_e32 v7, s1
	v_rcp_iflag_f32_e32 v5, v5
	s_waitcnt_depctr 0xfff
	v_mul_f32_e32 v4, 0x5f7ffffc, v4
	s_delay_alu instid0(VALU_DEP_1) | instskip(SKIP_1) | instid1(VALU_DEP_2)
	v_mul_f32_e32 v6, 0x2f800000, v4
	v_mul_f32_e32 v9, 0x4f7ffffe, v5
	v_trunc_f32_e32 v6, v6
	s_delay_alu instid0(VALU_DEP_1) | instskip(SKIP_1) | instid1(VALU_DEP_4)
	v_fmac_f32_e32 v4, 0xcf800000, v6
	v_cvt_u32_f32_e32 v5, v6
	v_cvt_u32_f32_e32 v6, v9
	s_delay_alu instid0(VALU_DEP_3)
	v_cvt_u32_f32_e32 v4, v4
.LBB67_9:                               ; =>This Inner Loop Header: Depth=1
	s_mul_hi_i32 s13, s14, s7
	s_mul_i32 s4, s14, s7
	s_cmp_lg_u64 s[12:13], 0
	s_mov_b32 s5, -1
                                        ; implicit-def: $sgpr0_sgpr1
	s_cbranch_scc0 .LBB67_11
; %bb.10:                               ;   in Loop: Header=BB67_9 Depth=1
	v_readfirstlane_b32 s0, v4
	v_readfirstlane_b32 s1, v5
	s_sub_u32 s5, 0, s20
	s_subb_u32 s15, 0, 0
	s_delay_alu instid0(VALU_DEP_2) | instskip(NEXT) | instid1(VALU_DEP_1)
	s_mul_hi_u32 s21, s5, s0
	s_mul_i32 s22, s5, s1
	s_mul_i32 s23, s15, s0
	s_add_i32 s21, s21, s22
	s_mul_i32 s22, s5, s0
	s_add_i32 s21, s21, s23
	s_mul_hi_u32 s23, s0, s22
	s_mul_i32 s24, s0, s21
	s_mul_hi_u32 s0, s0, s21
	s_add_u32 s23, s23, s24
	s_mul_i32 s25, s1, s22
	s_addc_u32 s0, 0, s0
	s_mul_hi_u32 s22, s1, s22
	s_mul_hi_u32 s24, s1, s21
	s_add_u32 s23, s23, s25
	s_addc_u32 s0, s0, s22
	s_mul_i32 s21, s1, s21
	s_addc_u32 s22, s24, 0
	s_add_u32 s0, s0, s21
	s_addc_u32 s21, 0, s22
	v_add_co_u32 v9, s0, v4, s0
	s_delay_alu instid0(VALU_DEP_1) | instskip(SKIP_1) | instid1(VALU_DEP_1)
	s_cmp_lg_u32 s0, 0
	s_addc_u32 s1, s1, s21
	v_readfirstlane_b32 s0, v9
	s_mul_i32 s21, s5, s1
	s_delay_alu instid0(VALU_DEP_1)
	s_mul_hi_u32 s22, s5, s0
	s_mul_i32 s15, s15, s0
	s_add_i32 s21, s22, s21
	s_mul_i32 s5, s5, s0
	s_add_i32 s21, s21, s15
	s_mul_hi_u32 s15, s1, s5
	s_mul_i32 s23, s1, s5
	s_mul_i32 s24, s0, s21
	s_mul_hi_u32 s5, s0, s5
	s_mul_hi_u32 s0, s0, s21
	s_add_u32 s5, s5, s24
	s_addc_u32 s0, 0, s0
	s_mul_hi_u32 s22, s1, s21
	s_add_u32 s5, s5, s23
	s_addc_u32 s0, s0, s15
	s_mul_i32 s5, s1, s21
	s_addc_u32 s15, s22, 0
	s_add_u32 s0, s0, s5
	s_addc_u32 s5, 0, s15
	v_add_co_u32 v9, s0, v9, s0
	s_delay_alu instid0(VALU_DEP_1) | instskip(SKIP_2) | instid1(SALU_CYCLE_1)
	s_cmp_lg_u32 s0, 0
	s_addc_u32 s5, s1, s5
	s_ashr_i32 s0, s13, 31
	s_add_u32 s22, s4, s0
	s_addc_u32 s23, s13, s0
	v_readfirstlane_b32 s13, v9
	s_mov_b32 s1, s0
	s_delay_alu instid0(SALU_CYCLE_1) | instskip(NEXT) | instid1(SALU_CYCLE_1)
	s_xor_b64 s[22:23], s[22:23], s[0:1]
	s_mul_i32 s15, s22, s5
	s_delay_alu instid0(VALU_DEP_1)
	s_mul_hi_u32 s21, s22, s13
	s_mul_hi_u32 s24, s22, s5
	s_add_u32 s15, s21, s15
	s_mul_i32 s25, s23, s13
	s_addc_u32 s21, 0, s24
	s_mul_hi_u32 s13, s23, s13
	s_mul_hi_u32 s24, s23, s5
	s_add_u32 s15, s15, s25
	s_addc_u32 s13, s21, s13
	s_mul_i32 s5, s23, s5
	s_addc_u32 s15, s24, 0
	s_add_u32 s5, s13, s5
	s_addc_u32 s13, 0, s15
	s_mul_i32 s21, s20, s5
	s_add_u32 s15, s5, 1
	v_sub_co_u32 v9, s21, s22, s21
	s_addc_u32 s22, s13, 0
	s_mul_i32 s25, s20, s13
	s_mul_hi_u32 s27, s20, s5
	s_delay_alu instid0(VALU_DEP_1)
	v_sub_co_u32 v10, s26, v9, s20
	s_add_u32 s24, s5, 2
	s_addc_u32 s28, s13, 0
	s_add_i32 s27, s27, s25
	s_cmp_lg_u32 s21, 0
	v_readfirstlane_b32 s21, v10
	s_subb_u32 s23, s23, s27
	s_cmp_lg_u32 s26, 0
	s_subb_u32 s25, s23, 0
	s_delay_alu instid0(VALU_DEP_1) | instskip(SKIP_4) | instid1(SALU_CYCLE_1)
	s_cmp_ge_u32 s21, s20
	s_cselect_b32 s21, -1, 0
	s_cmp_eq_u32 s25, 0
	v_readfirstlane_b32 s25, v9
	s_cselect_b32 s21, s21, -1
	s_cmp_lg_u32 s21, 0
	s_cselect_b32 s15, s24, s15
	s_cselect_b32 s21, s28, s22
	s_cmp_ge_u32 s25, s20
	s_cselect_b32 s22, -1, 0
	s_cmp_eq_u32 s23, 0
	s_cselect_b32 s22, s22, -1
	s_delay_alu instid0(SALU_CYCLE_1) | instskip(SKIP_4) | instid1(SALU_CYCLE_1)
	s_cmp_lg_u32 s22, 0
	s_cselect_b32 s23, s21, s13
	s_cselect_b32 s22, s15, s5
	s_mov_b32 s5, 0
	s_xor_b64 s[22:23], s[22:23], s[0:1]
	s_sub_u32 s0, s22, s0
.LBB67_11:                              ;   in Loop: Header=BB67_9 Depth=1
	s_and_not1_b32 vcc_lo, exec_lo, s5
	s_cbranch_vccnz .LBB67_13
; %bb.12:                               ;   in Loop: Header=BB67_9 Depth=1
	v_readfirstlane_b32 s0, v6
	s_delay_alu instid0(VALU_DEP_1) | instskip(NEXT) | instid1(SALU_CYCLE_1)
	s_mul_i32 s1, s6, s0
	s_mul_hi_u32 s1, s0, s1
	s_delay_alu instid0(SALU_CYCLE_1) | instskip(NEXT) | instid1(SALU_CYCLE_1)
	s_add_i32 s0, s0, s1
	s_mul_hi_u32 s0, s4, s0
	s_delay_alu instid0(SALU_CYCLE_1) | instskip(NEXT) | instid1(SALU_CYCLE_1)
	s_mul_i32 s1, s0, s20
	s_sub_i32 s1, s4, s1
	s_add_i32 s4, s0, 1
	s_sub_i32 s5, s1, s20
	s_cmp_ge_u32 s1, s20
	s_cselect_b32 s0, s4, s0
	s_cselect_b32 s1, s5, s1
	s_add_i32 s4, s0, 1
	s_cmp_ge_u32 s1, s20
	s_cselect_b32 s0, s4, s0
.LBB67_13:                              ;   in Loop: Header=BB67_9 Depth=1
	s_delay_alu instid0(SALU_CYCLE_1)
	s_cmp_lg_u32 s16, s0
	s_cbranch_scc0 .LBB67_17
; %bb.14:                               ;   in Loop: Header=BB67_9 Depth=1
	s_add_i32 s1, s14, s20
	s_mov_b32 s5, s12
	s_lshl_b32 s1, s1, 2
	s_mov_b32 s15, s16
	s_add_i32 s4, s1, s17
	s_mul_hi_u32 s1, s0, s8
	s_lshl_b64 s[4:5], s[4:5], 3
	s_delay_alu instid0(SALU_CYCLE_1) | instskip(SKIP_2) | instid1(SALU_CYCLE_1)
	s_add_u32 s4, s2, s4
	s_addc_u32 s5, s3, s5
	s_add_i32 s1, s1, s0
	s_lshr_b32 s1, s1, s9
	s_delay_alu instid0(SALU_CYCLE_1) | instskip(NEXT) | instid1(SALU_CYCLE_1)
	s_mul_i32 s13, s1, s10
	s_cmp_eq_u32 s13, s0
	s_cselect_b32 s13, -1, 0
	s_cmp_lt_u32 s1, s11
	s_cselect_b32 s1, -1, 0
	s_delay_alu instid0(SALU_CYCLE_1)
	s_or_b32 s1, s1, s13
	s_mov_b32 s13, -1
	s_and_b32 vcc_lo, exec_lo, s1
	s_mov_b32 s1, s14
	s_cbranch_vccnz .LBB67_16
; %bb.15:                               ;   in Loop: Header=BB67_9 Depth=1
	s_add_i32 s1, s14, -1
	s_mov_b32 s13, 0
	s_mov_b32 s15, s0
.LBB67_16:                              ;   in Loop: Header=BB67_9 Depth=1
	v_lshl_add_u32 v9, s14, 9, v0
	s_load_b64 s[4:5], s[4:5], 0x0
	s_delay_alu instid0(VALU_DEP_1) | instskip(NEXT) | instid1(VALU_DEP_1)
	v_ashrrev_i32_e32 v10, 31, v9
	v_lshlrev_b64 v[9:10], 2, v[9:10]
	s_delay_alu instid0(VALU_DEP_1) | instskip(NEXT) | instid1(VALU_DEP_2)
	v_add_co_u32 v9, vcc_lo, s18, v9
	v_add_co_ci_u32_e32 v10, vcc_lo, s19, v10, vcc_lo
	s_waitcnt lgkmcnt(0)
	v_max_f32_e64 v11, s4, s4
	global_load_b32 v10, v[9:10], off
	v_max_f32_e32 v9, v8, v8
	s_delay_alu instid0(VALU_DEP_1) | instskip(NEXT) | instid1(VALU_DEP_1)
	v_max_f32_e32 v9, v9, v11
	v_sub_f32_e32 v12, v8, v9
	s_delay_alu instid0(VALU_DEP_1) | instskip(NEXT) | instid1(VALU_DEP_1)
	v_dual_mul_f32 v14, 0x3fb8aa3b, v12 :: v_dual_sub_f32 v11, s4, v9
	v_rndne_f32_e32 v18, v14
	s_delay_alu instid0(VALU_DEP_2) | instskip(SKIP_2) | instid1(VALU_DEP_4)
	v_mul_f32_e32 v13, 0x3fb8aa3b, v11
	v_fma_f32 v17, 0x3fb8aa3b, v12, -v14
	v_cmp_ngt_f32_e32 vcc_lo, 0xc2ce8ed0, v11
	v_sub_f32_e32 v14, v14, v18
	s_delay_alu instid0(VALU_DEP_4) | instskip(SKIP_2) | instid1(VALU_DEP_3)
	v_fma_f32 v15, 0x3fb8aa3b, v11, -v13
	v_rndne_f32_e32 v16, v13
	v_fmac_f32_e32 v17, 0x32a5705f, v12
	v_fmac_f32_e32 v15, 0x32a5705f, v11
	s_delay_alu instid0(VALU_DEP_2) | instskip(NEXT) | instid1(VALU_DEP_1)
	v_dual_sub_f32 v13, v13, v16 :: v_dual_add_f32 v14, v14, v17
	v_add_f32_e32 v13, v13, v15
	s_delay_alu instid0(VALU_DEP_2) | instskip(SKIP_2) | instid1(VALU_DEP_3)
	v_exp_f32_e32 v14, v14
	v_cvt_i32_f32_e32 v15, v16
	v_cvt_i32_f32_e32 v16, v18
	v_exp_f32_e32 v13, v13
	s_waitcnt_depctr 0xfff
	v_ldexp_f32 v14, v14, v16
	v_ldexp_f32 v13, v13, v15
	s_delay_alu instid0(VALU_DEP_1) | instskip(SKIP_1) | instid1(VALU_DEP_4)
	v_cndmask_b32_e32 v13, 0, v13, vcc_lo
	v_cmp_ngt_f32_e32 vcc_lo, 0xc2ce8ed0, v12
	v_cndmask_b32_e32 v14, 0, v14, vcc_lo
	v_cmp_nlt_f32_e32 vcc_lo, 0x42b17218, v11
	s_delay_alu instid0(VALU_DEP_4) | instskip(SKIP_1) | instid1(VALU_DEP_4)
	v_cndmask_b32_e32 v13, 0x7f800000, v13, vcc_lo
	v_cmp_nlt_f32_e32 vcc_lo, 0x42b17218, v12
	v_cndmask_b32_e32 v14, 0x7f800000, v14, vcc_lo
	v_cmp_le_f32_e32 vcc_lo, 0xc1a00000, v11
	s_delay_alu instid0(VALU_DEP_4) | instskip(SKIP_1) | instid1(VALU_DEP_4)
	v_cndmask_b32_e32 v11, 0, v13, vcc_lo
	v_cmp_le_f32_e32 vcc_lo, 0xc1a00000, v12
	v_cndmask_b32_e32 v12, 0, v14, vcc_lo
	s_waitcnt vmcnt(0)
	s_delay_alu instid0(VALU_DEP_3) | instskip(NEXT) | instid1(VALU_DEP_1)
	v_mul_f32_e32 v10, v10, v11
	v_dual_mul_f32 v11, s5, v11 :: v_dual_fmac_f32 v10, v3, v12
	s_delay_alu instid0(VALU_DEP_1)
	v_fmac_f32_e32 v11, v7, v12
	s_cbranch_execz .LBB67_18
	s_branch .LBB67_19
.LBB67_17:                              ;   in Loop: Header=BB67_9 Depth=1
                                        ; implicit-def: $sgpr13
                                        ; implicit-def: $vgpr10
                                        ; implicit-def: $vgpr9
                                        ; implicit-def: $vgpr11
                                        ; implicit-def: $sgpr1
                                        ; implicit-def: $sgpr15
.LBB67_18:                              ;   in Loop: Header=BB67_9 Depth=1
	v_mov_b32_e32 v11, v7
	s_waitcnt vmcnt(0)
	v_dual_mov_b32 v9, v8 :: v_dual_mov_b32 v10, v3
	s_add_i32 s1, s14, -1
	s_mov_b32 s13, 0
	s_mov_b32 s15, s16
.LBB67_19:                              ;   in Loop: Header=BB67_9 Depth=1
	s_and_not1_b32 vcc_lo, exec_lo, s13
	s_cbranch_vccz .LBB67_23
; %bb.20:                               ;   in Loop: Header=BB67_9 Depth=1
	v_dual_mov_b32 v7, v11 :: v_dual_mov_b32 v8, v9
	s_waitcnt vmcnt(0)
	v_mov_b32_e32 v3, v10
	s_mov_b32 s16, s15
	s_mov_b32 s14, s1
	s_branch .LBB67_9
.LBB67_21:
                                        ; implicit-def: $sgpr16_sgpr17
	s_load_b128 s[8:11], s[0:1], 0x44
	s_branch .LBB67_2
.LBB67_22:
                                        ; implicit-def: $sgpr18_sgpr19
	s_branch .LBB67_5
.LBB67_23:
	v_div_scale_f32 v0, null, v11, v11, v10
	s_waitcnt vmcnt(0)
	s_delay_alu instid0(VALU_DEP_1) | instskip(SKIP_2) | instid1(VALU_DEP_1)
	v_rcp_f32_e32 v3, v0
	s_waitcnt_depctr 0xfff
	v_fma_f32 v4, -v0, v3, 1.0
	v_fmac_f32_e32 v3, v4, v3
	v_div_scale_f32 v4, vcc_lo, v10, v11, v10
	s_delay_alu instid0(VALU_DEP_1) | instskip(NEXT) | instid1(VALU_DEP_1)
	v_mul_f32_e32 v5, v4, v3
	v_fma_f32 v6, -v0, v5, v4
	s_delay_alu instid0(VALU_DEP_1) | instskip(NEXT) | instid1(VALU_DEP_1)
	v_fmac_f32_e32 v5, v6, v3
	v_fma_f32 v0, -v0, v5, v4
	s_delay_alu instid0(VALU_DEP_1) | instskip(NEXT) | instid1(VALU_DEP_1)
	v_div_fmas_f32 v0, v0, v3, v5
	v_div_fixup_f32 v0, v0, v11, v10
	global_store_b32 v[1:2], v0, off
.LBB67_24:
	s_nop 0
	s_sendmsg sendmsg(MSG_DEALLOC_VGPRS)
	s_endpgm
	.section	.rodata,"a",@progbits
	.p2align	6, 0x0
	.amdhsa_kernel _ZL33flash_attn_stream_k_fixup_generalILi128ELi4ELi1EEvPfPK15HIP_vector_typeIfLj2EEiiiiS1_IjLj3EES5_S5_S5_
		.amdhsa_group_segment_fixed_size 0
		.amdhsa_private_segment_fixed_size 0
		.amdhsa_kernarg_size 336
		.amdhsa_user_sgpr_count 13
		.amdhsa_user_sgpr_dispatch_ptr 0
		.amdhsa_user_sgpr_queue_ptr 0
		.amdhsa_user_sgpr_kernarg_segment_ptr 1
		.amdhsa_user_sgpr_dispatch_id 0
		.amdhsa_user_sgpr_private_segment_size 0
		.amdhsa_wavefront_size32 1
		.amdhsa_uses_dynamic_stack 0
		.amdhsa_enable_private_segment 0
		.amdhsa_system_sgpr_workgroup_id_x 1
		.amdhsa_system_sgpr_workgroup_id_y 1
		.amdhsa_system_sgpr_workgroup_id_z 1
		.amdhsa_system_sgpr_workgroup_info 0
		.amdhsa_system_vgpr_workitem_id 0
		.amdhsa_next_free_vgpr 19
		.amdhsa_next_free_sgpr 32
		.amdhsa_reserve_vcc 1
		.amdhsa_float_round_mode_32 0
		.amdhsa_float_round_mode_16_64 0
		.amdhsa_float_denorm_mode_32 3
		.amdhsa_float_denorm_mode_16_64 3
		.amdhsa_dx10_clamp 1
		.amdhsa_ieee_mode 1
		.amdhsa_fp16_overflow 0
		.amdhsa_workgroup_processor_mode 1
		.amdhsa_memory_ordered 1
		.amdhsa_forward_progress 0
		.amdhsa_shared_vgpr_count 0
		.amdhsa_exception_fp_ieee_invalid_op 0
		.amdhsa_exception_fp_denorm_src 0
		.amdhsa_exception_fp_ieee_div_zero 0
		.amdhsa_exception_fp_ieee_overflow 0
		.amdhsa_exception_fp_ieee_underflow 0
		.amdhsa_exception_fp_ieee_inexact 0
		.amdhsa_exception_int_div_zero 0
	.end_amdhsa_kernel
	.section	.text._ZL33flash_attn_stream_k_fixup_generalILi128ELi4ELi1EEvPfPK15HIP_vector_typeIfLj2EEiiiiS1_IjLj3EES5_S5_S5_,"axG",@progbits,_ZL33flash_attn_stream_k_fixup_generalILi128ELi4ELi1EEvPfPK15HIP_vector_typeIfLj2EEiiiiS1_IjLj3EES5_S5_S5_,comdat
.Lfunc_end67:
	.size	_ZL33flash_attn_stream_k_fixup_generalILi128ELi4ELi1EEvPfPK15HIP_vector_typeIfLj2EEiiiiS1_IjLj3EES5_S5_S5_, .Lfunc_end67-_ZL33flash_attn_stream_k_fixup_generalILi128ELi4ELi1EEvPfPK15HIP_vector_typeIfLj2EEiiiiS1_IjLj3EES5_S5_S5_
                                        ; -- End function
	.section	.AMDGPU.csdata,"",@progbits
; Kernel info:
; codeLenInByte = 3220
; NumSgprs: 34
; NumVgprs: 19
; ScratchSize: 0
; MemoryBound: 0
; FloatMode: 240
; IeeeMode: 1
; LDSByteSize: 0 bytes/workgroup (compile time only)
; SGPRBlocks: 4
; VGPRBlocks: 2
; NumSGPRsForWavesPerEU: 34
; NumVGPRsForWavesPerEU: 19
; Occupancy: 16
; WaveLimiterHint : 0
; COMPUTE_PGM_RSRC2:SCRATCH_EN: 0
; COMPUTE_PGM_RSRC2:USER_SGPR: 13
; COMPUTE_PGM_RSRC2:TRAP_HANDLER: 0
; COMPUTE_PGM_RSRC2:TGID_X_EN: 1
; COMPUTE_PGM_RSRC2:TGID_Y_EN: 1
; COMPUTE_PGM_RSRC2:TGID_Z_EN: 1
; COMPUTE_PGM_RSRC2:TIDIG_COMP_CNT: 0
	.section	.text._ZL15flash_attn_tileILi128ELi128ELi2ELi1ELb0EEvPKcS1_S1_S1_S1_PKiPfP15HIP_vector_typeIfLj2EEffffjfiS5_IjLj3EEiiiiiiiiiiiliiliiiiil,"axG",@progbits,_ZL15flash_attn_tileILi128ELi128ELi2ELi1ELb0EEvPKcS1_S1_S1_S1_PKiPfP15HIP_vector_typeIfLj2EEffffjfiS5_IjLj3EEiiiiiiiiiiiliiliiiiil,comdat
	.globl	_ZL15flash_attn_tileILi128ELi128ELi2ELi1ELb0EEvPKcS1_S1_S1_S1_PKiPfP15HIP_vector_typeIfLj2EEffffjfiS5_IjLj3EEiiiiiiiiiiiliiliiiiil ; -- Begin function _ZL15flash_attn_tileILi128ELi128ELi2ELi1ELb0EEvPKcS1_S1_S1_S1_PKiPfP15HIP_vector_typeIfLj2EEffffjfiS5_IjLj3EEiiiiiiiiiiiliiliiiiil
	.p2align	8
	.type	_ZL15flash_attn_tileILi128ELi128ELi2ELi1ELb0EEvPKcS1_S1_S1_S1_PKiPfP15HIP_vector_typeIfLj2EEffffjfiS5_IjLj3EEiiiiiiiiiiiliiliiiiil,@function
_ZL15flash_attn_tileILi128ELi128ELi2ELi1ELb0EEvPKcS1_S1_S1_S1_PKiPfP15HIP_vector_typeIfLj2EEffffjfiS5_IjLj3EEiiiiiiiiiiiliiliiiiil: ; @_ZL15flash_attn_tileILi128ELi128ELi2ELi1ELb0EEvPKcS1_S1_S1_S1_PKiPfP15HIP_vector_typeIfLj2EEffffjfiS5_IjLj3EEiiiiiiiiiiiliiliiiiil
; %bb.0:
	s_clause 0x3
	s_load_b128 s[8:11], s[0:1], 0x5c
	s_load_b64 s[42:43], s[0:1], 0x80
	s_load_b512 s[16:31], s[0:1], 0x0
	s_load_b64 s[44:45], s[0:1], 0xb8
	s_mov_b64 s[40:41], 0
	s_waitcnt lgkmcnt(0)
	v_cvt_f32_u32_e32 v1, s11
	s_sub_i32 s3, 0, s11
	s_delay_alu instid0(VALU_DEP_1) | instskip(SKIP_2) | instid1(VALU_DEP_1)
	v_rcp_iflag_f32_e32 v1, v1
	s_waitcnt_depctr 0xfff
	v_mul_f32_e32 v1, 0x4f7ffffe, v1
	v_cvt_u32_f32_e32 v1, v1
	s_delay_alu instid0(VALU_DEP_1) | instskip(NEXT) | instid1(VALU_DEP_1)
	v_readfirstlane_b32 s2, v1
	s_mul_i32 s3, s3, s2
	s_delay_alu instid0(SALU_CYCLE_1) | instskip(NEXT) | instid1(SALU_CYCLE_1)
	s_mul_hi_u32 s3, s2, s3
	s_add_i32 s2, s2, s3
	s_delay_alu instid0(SALU_CYCLE_1) | instskip(NEXT) | instid1(SALU_CYCLE_1)
	s_mul_hi_u32 s2, s15, s2
	s_mul_i32 s3, s2, s11
	s_add_i32 s4, s2, 1
	s_sub_i32 s3, s15, s3
	s_delay_alu instid0(SALU_CYCLE_1)
	s_sub_i32 s5, s3, s11
	s_cmp_ge_u32 s3, s11
	s_cselect_b32 s2, s4, s2
	s_cselect_b32 s3, s5, s3
	s_add_i32 s4, s2, 1
	s_cmp_ge_u32 s3, s11
	s_cselect_b32 s12, s4, s2
	s_abs_i32 s2, s43
	s_abs_i32 s6, s11
	v_cvt_f32_u32_e32 v1, s2
	s_sub_i32 s4, 0, s2
	s_mul_i32 s5, s12, s11
	s_delay_alu instid0(SALU_CYCLE_1) | instskip(NEXT) | instid1(VALU_DEP_1)
	s_sub_i32 s34, s15, s5
	v_rcp_iflag_f32_e32 v1, v1
	s_waitcnt_depctr 0xfff
	v_mul_f32_e32 v1, 0x4f7ffffe, v1
	s_delay_alu instid0(VALU_DEP_1) | instskip(NEXT) | instid1(VALU_DEP_1)
	v_cvt_u32_f32_e32 v1, v1
	v_readfirstlane_b32 s3, v1
	s_delay_alu instid0(VALU_DEP_1) | instskip(NEXT) | instid1(SALU_CYCLE_1)
	s_mul_i32 s4, s4, s3
	s_mul_hi_u32 s4, s3, s4
	s_delay_alu instid0(SALU_CYCLE_1) | instskip(SKIP_4) | instid1(SALU_CYCLE_1)
	s_add_i32 s3, s3, s4
	s_xor_b32 s4, s11, s43
	s_mul_hi_u32 s3, s6, s3
	s_ashr_i32 s4, s4, 31
	s_mul_i32 s5, s3, s2
	s_sub_i32 s5, s6, s5
	s_add_i32 s6, s3, 1
	s_sub_i32 s7, s5, s2
	s_cmp_ge_u32 s5, s2
	s_cselect_b32 s3, s6, s3
	s_cselect_b32 s5, s7, s5
	s_add_i32 s6, s3, 1
	s_cmp_ge_u32 s5, s2
	s_cselect_b32 s2, s6, s3
	s_abs_i32 s33, s34
	s_xor_b32 s2, s2, s4
	s_delay_alu instid0(SALU_CYCLE_1) | instskip(NEXT) | instid1(SALU_CYCLE_1)
	s_sub_i32 s5, s2, s4
	s_abs_i32 s15, s5
	s_delay_alu instid0(SALU_CYCLE_1) | instskip(SKIP_1) | instid1(VALU_DEP_1)
	v_cvt_f32_u32_e32 v1, s15
	s_sub_i32 s3, 0, s15
	v_rcp_iflag_f32_e32 v1, v1
	s_waitcnt_depctr 0xfff
	v_mul_f32_e32 v1, 0x4f7ffffe, v1
	s_delay_alu instid0(VALU_DEP_1) | instskip(NEXT) | instid1(VALU_DEP_1)
	v_cvt_u32_f32_e32 v1, v1
	v_readfirstlane_b32 s2, v1
	s_delay_alu instid0(VALU_DEP_1) | instskip(NEXT) | instid1(SALU_CYCLE_1)
	s_mul_i32 s3, s3, s2
	s_mul_hi_u32 s3, s2, s3
	s_delay_alu instid0(SALU_CYCLE_1)
	s_add_i32 s2, s2, s3
	s_cmp_eq_u64 s[22:23], 0
	s_cbranch_scc1 .LBB68_2
; %bb.1:
	s_abs_i32 s3, s44
	s_abs_i32 s35, s12
	v_cvt_f32_u32_e32 v1, s3
	s_sub_i32 s6, 0, s3
	s_delay_alu instid0(VALU_DEP_1) | instskip(SKIP_2) | instid1(VALU_DEP_1)
	v_rcp_iflag_f32_e32 v1, v1
	s_waitcnt_depctr 0xfff
	v_mul_f32_e32 v1, 0x4f7ffffe, v1
	v_cvt_u32_f32_e32 v1, v1
	s_delay_alu instid0(VALU_DEP_1) | instskip(NEXT) | instid1(VALU_DEP_1)
	v_readfirstlane_b32 s4, v1
	s_mul_i32 s6, s6, s4
	s_delay_alu instid0(SALU_CYCLE_1) | instskip(NEXT) | instid1(SALU_CYCLE_1)
	s_mul_hi_u32 s6, s4, s6
	s_add_i32 s4, s4, s6
	s_load_b64 s[6:7], s[0:1], 0xc8
	s_mul_hi_u32 s4, s35, s4
	s_delay_alu instid0(SALU_CYCLE_1) | instskip(NEXT) | instid1(SALU_CYCLE_1)
	s_mul_i32 s4, s4, s3
	s_sub_i32 s4, s35, s4
	s_ashr_i32 s35, s12, 31
	s_sub_i32 s36, s4, s3
	s_cmp_ge_u32 s4, s3
	s_cselect_b32 s4, s36, s4
	s_delay_alu instid0(SALU_CYCLE_1) | instskip(SKIP_2) | instid1(SALU_CYCLE_1)
	s_sub_i32 s36, s4, s3
	s_cmp_ge_u32 s4, s3
	s_cselect_b32 s3, s36, s4
	s_xor_b32 s3, s3, s35
	s_delay_alu instid0(SALU_CYCLE_1)
	s_sub_i32 s3, s3, s35
	s_waitcnt lgkmcnt(0)
	s_mul_i32 s4, s3, s7
	s_mul_hi_u32 s7, s3, s6
	s_ashr_i32 s35, s3, 31
	s_add_i32 s4, s7, s4
	s_mul_i32 s35, s35, s6
	s_mul_i32 s3, s3, s6
	s_add_i32 s4, s4, s35
	s_add_u32 s40, s22, s3
	s_addc_u32 s41, s23, s4
.LBB68_2:
	s_clause 0x1
	s_load_b128 s[36:39], s[0:1], 0x40
	s_load_b32 s3, s[0:1], 0x50
	v_mov_b32_e32 v29, 1.0
	s_mul_hi_u32 s22, s33, s2
	s_waitcnt lgkmcnt(0)
	v_cmp_le_f32_e64 s4, s37, 0
	s_delay_alu instid0(VALU_DEP_1)
	s_and_b32 vcc_lo, exec_lo, s4
	s_cbranch_vccnz .LBB68_4
; %bb.3:
	s_sub_i32 s2, s34, s3
	s_add_i32 s4, s34, 1
	s_lshl_b32 s2, s2, 1
	v_mov_b32_e32 v1, s38
	s_or_b32 s2, s2, 1
	s_cmp_lt_u32 s34, s3
	s_cselect_b32 vcc_lo, -1, 0
	s_delay_alu instid0(VALU_DEP_1)
	v_cndmask_b32_e32 v3, s39, v1, vcc_lo
	s_and_b32 s3, vcc_lo, exec_lo
	s_cselect_b32 s2, s4, s2
	s_mov_b32 s3, 0x3e76c4e1
	v_cvt_f32_i32_e32 v1, s2
	v_cmp_neq_f32_e32 vcc_lo, 1.0, v3
	s_delay_alu instid0(VALU_DEP_2) | instskip(NEXT) | instid1(VALU_DEP_1)
	v_cndmask_b32_e32 v4, 1.0, v1, vcc_lo
	v_cmp_eq_f32_e32 vcc_lo, 0, v4
	v_cndmask_b32_e64 v5, |v3|, 1.0, vcc_lo
	s_delay_alu instid0(VALU_DEP_1) | instskip(NEXT) | instid1(VALU_DEP_1)
	v_frexp_mant_f32_e32 v1, v5
	v_cmp_gt_f32_e64 s2, 0x3f2aaaab, v1
	s_delay_alu instid0(VALU_DEP_1) | instskip(NEXT) | instid1(VALU_DEP_1)
	v_cndmask_b32_e64 v2, 1.0, 2.0, s2
	v_mul_f32_e32 v1, v1, v2
	s_delay_alu instid0(VALU_DEP_1) | instskip(SKIP_1) | instid1(VALU_DEP_2)
	v_add_f32_e32 v2, 1.0, v1
	v_add_f32_e32 v7, -1.0, v1
	v_rcp_f32_e32 v6, v2
	s_waitcnt_depctr 0xfff
	v_mul_f32_e32 v8, v7, v6
	s_delay_alu instid0(VALU_DEP_1) | instskip(NEXT) | instid1(VALU_DEP_1)
	v_dual_add_f32 v9, -1.0, v2 :: v_dual_mul_f32 v10, v2, v8
	v_sub_f32_e32 v1, v1, v9
	v_cndmask_b32_e64 v3, v3, 1.0, vcc_lo
	s_delay_alu instid0(VALU_DEP_3) | instskip(NEXT) | instid1(VALU_DEP_2)
	v_fma_f32 v2, v8, v2, -v10
	v_cmp_eq_f32_e64 s4, 0, v3
	s_delay_alu instid0(VALU_DEP_2) | instskip(NEXT) | instid1(VALU_DEP_1)
	v_fmac_f32_e32 v2, v8, v1
	v_add_f32_e32 v1, v10, v2
	s_delay_alu instid0(VALU_DEP_1) | instskip(NEXT) | instid1(VALU_DEP_1)
	v_dual_sub_f32 v10, v1, v10 :: v_dual_sub_f32 v9, v7, v1
	v_dual_sub_f32 v2, v10, v2 :: v_dual_sub_f32 v7, v7, v9
	s_delay_alu instid0(VALU_DEP_1) | instskip(NEXT) | instid1(VALU_DEP_1)
	v_sub_f32_e32 v1, v7, v1
	v_add_f32_e32 v1, v2, v1
	s_delay_alu instid0(VALU_DEP_1) | instskip(NEXT) | instid1(VALU_DEP_1)
	v_add_f32_e32 v1, v9, v1
	v_mul_f32_e32 v1, v6, v1
	s_delay_alu instid0(VALU_DEP_1) | instskip(NEXT) | instid1(VALU_DEP_1)
	v_add_f32_e32 v6, v8, v1
	v_sub_f32_e32 v2, v6, v8
	v_mul_f32_e32 v7, v6, v6
	s_delay_alu instid0(VALU_DEP_2) | instskip(NEXT) | instid1(VALU_DEP_2)
	v_sub_f32_e32 v8, v1, v2
	v_fma_f32 v9, v6, v6, -v7
	s_delay_alu instid0(VALU_DEP_2) | instskip(NEXT) | instid1(VALU_DEP_1)
	v_add_f32_e32 v1, v8, v8
	v_fmac_f32_e32 v9, v6, v1
	v_cvt_f64_f32_e32 v[1:2], v5
	s_delay_alu instid0(VALU_DEP_2) | instskip(NEXT) | instid1(VALU_DEP_1)
	v_add_f32_e32 v10, v7, v9
	v_fmaak_f32 v11, s3, v10, 0x3e91f4c4
	v_sub_f32_e32 v7, v10, v7
	v_mul_f32_e32 v14, v6, v10
	s_delay_alu instid0(VALU_DEP_3) | instskip(NEXT) | instid1(VALU_DEP_3)
	v_fmaak_f32 v11, v10, v11, 0x3ecccdef
	v_sub_f32_e32 v7, v9, v7
	s_delay_alu instid0(VALU_DEP_2) | instskip(NEXT) | instid1(VALU_DEP_1)
	v_mul_f32_e32 v12, v10, v11
	v_fma_f32 v9, v10, v11, -v12
	s_delay_alu instid0(VALU_DEP_1) | instskip(NEXT) | instid1(VALU_DEP_1)
	v_fmac_f32_e32 v9, v7, v11
	v_add_f32_e32 v11, v12, v9
	v_frexp_exp_i32_f64_e32 v1, v[1:2]
	s_delay_alu instid0(VALU_DEP_2) | instskip(NEXT) | instid1(VALU_DEP_1)
	v_sub_f32_e32 v12, v11, v12
	v_sub_f32_e32 v2, v9, v12
	v_fma_f32 v12, v10, v6, -v14
	s_delay_alu instid0(VALU_DEP_2) | instskip(NEXT) | instid1(VALU_DEP_2)
	v_add_f32_e32 v2, 0x31739010, v2
	v_dual_add_f32 v13, 0x3f2aaaaa, v11 :: v_dual_fmac_f32 v12, v10, v8
	v_ldexp_f32 v8, v8, 1
	s_delay_alu instid0(VALU_DEP_2) | instskip(NEXT) | instid1(VALU_DEP_1)
	v_dual_add_f32 v9, 0xbf2aaaaa, v13 :: v_dual_fmac_f32 v12, v7, v6
	v_sub_f32_e32 v9, v11, v9
	s_delay_alu instid0(VALU_DEP_1) | instskip(NEXT) | instid1(VALU_DEP_3)
	v_add_f32_e32 v2, v2, v9
	v_add_f32_e32 v9, v14, v12
	s_delay_alu instid0(VALU_DEP_2) | instskip(NEXT) | instid1(VALU_DEP_1)
	v_add_f32_e32 v7, v13, v2
	v_sub_f32_e32 v10, v13, v7
	s_delay_alu instid0(VALU_DEP_3) | instskip(SKIP_2) | instid1(VALU_DEP_4)
	v_mul_f32_e32 v11, v9, v7
	v_sub_f32_e32 v13, v9, v14
	v_subrev_co_ci_u32_e64 v1, s2, 0, v1, s2
	v_add_f32_e32 v2, v2, v10
	s_delay_alu instid0(VALU_DEP_4) | instskip(NEXT) | instid1(VALU_DEP_4)
	v_fma_f32 v10, v9, v7, -v11
	v_sub_f32_e32 v12, v12, v13
	s_delay_alu instid0(VALU_DEP_4) | instskip(NEXT) | instid1(VALU_DEP_3)
	v_cvt_f32_i32_e32 v1, v1
	v_fmac_f32_e32 v10, v9, v2
	v_ldexp_f32 v2, v6, 1
	s_delay_alu instid0(VALU_DEP_2) | instskip(NEXT) | instid1(VALU_DEP_1)
	v_fmac_f32_e32 v10, v12, v7
	v_add_f32_e32 v6, v11, v10
	s_delay_alu instid0(VALU_DEP_1) | instskip(NEXT) | instid1(VALU_DEP_1)
	v_add_f32_e32 v7, v2, v6
	v_dual_sub_f32 v2, v7, v2 :: v_dual_sub_f32 v9, v6, v11
	s_delay_alu instid0(VALU_DEP_1) | instskip(NEXT) | instid1(VALU_DEP_2)
	v_sub_f32_e32 v2, v6, v2
	v_sub_f32_e32 v9, v10, v9
	s_delay_alu instid0(VALU_DEP_1) | instskip(NEXT) | instid1(VALU_DEP_1)
	v_add_f32_e32 v6, v8, v9
	v_dual_mul_f32 v11, 0x3f317218, v1 :: v_dual_add_f32 v2, v6, v2
	s_delay_alu instid0(VALU_DEP_1) | instskip(NEXT) | instid1(VALU_DEP_2)
	v_fma_f32 v10, 0x3f317218, v1, -v11
	v_add_f32_e32 v8, v7, v2
	s_delay_alu instid0(VALU_DEP_1) | instskip(NEXT) | instid1(VALU_DEP_1)
	v_sub_f32_e32 v7, v8, v7
	v_dual_fmamk_f32 v1, v1, 0xb102e308, v10 :: v_dual_sub_f32 v2, v2, v7
	s_delay_alu instid0(VALU_DEP_1) | instskip(NEXT) | instid1(VALU_DEP_1)
	v_add_f32_e32 v6, v11, v1
	v_add_f32_e32 v9, v6, v8
	s_delay_alu instid0(VALU_DEP_1) | instskip(NEXT) | instid1(VALU_DEP_1)
	v_dual_sub_f32 v11, v6, v11 :: v_dual_sub_f32 v10, v9, v6
	v_sub_f32_e32 v12, v9, v10
	s_delay_alu instid0(VALU_DEP_2) | instskip(NEXT) | instid1(VALU_DEP_2)
	v_sub_f32_e32 v1, v1, v11
	v_dual_sub_f32 v7, v8, v10 :: v_dual_sub_f32 v6, v6, v12
	s_delay_alu instid0(VALU_DEP_2) | instskip(NEXT) | instid1(VALU_DEP_2)
	v_add_f32_e32 v8, v1, v2
	v_add_f32_e32 v6, v7, v6
	s_delay_alu instid0(VALU_DEP_1) | instskip(NEXT) | instid1(VALU_DEP_1)
	v_add_f32_e32 v6, v8, v6
	v_dual_sub_f32 v7, v8, v1 :: v_dual_add_f32 v10, v9, v6
	s_delay_alu instid0(VALU_DEP_1) | instskip(SKIP_1) | instid1(VALU_DEP_3)
	v_sub_f32_e32 v8, v8, v7
	v_sub_f32_e32 v2, v2, v7
	v_sub_f32_e32 v7, v10, v9
	s_delay_alu instid0(VALU_DEP_3) | instskip(NEXT) | instid1(VALU_DEP_1)
	v_sub_f32_e32 v1, v1, v8
	v_add_f32_e32 v1, v2, v1
	s_delay_alu instid0(VALU_DEP_3) | instskip(NEXT) | instid1(VALU_DEP_1)
	v_sub_f32_e32 v2, v6, v7
	v_add_f32_e32 v1, v1, v2
	s_delay_alu instid0(VALU_DEP_1) | instskip(NEXT) | instid1(VALU_DEP_1)
	v_add_f32_e32 v2, v10, v1
	v_mul_f32_e32 v7, v4, v2
	v_sub_f32_e32 v6, v2, v10
	s_delay_alu instid0(VALU_DEP_2) | instskip(NEXT) | instid1(VALU_DEP_2)
	v_fma_f32 v2, v4, v2, -v7
	v_sub_f32_e32 v1, v1, v6
	v_cmp_class_f32_e64 s2, v7, 0x204
	s_delay_alu instid0(VALU_DEP_2) | instskip(NEXT) | instid1(VALU_DEP_1)
	v_fmac_f32_e32 v2, v4, v1
	v_add_f32_e32 v1, v7, v2
	s_delay_alu instid0(VALU_DEP_1) | instskip(NEXT) | instid1(VALU_DEP_1)
	v_cndmask_b32_e64 v6, v1, v7, s2
	v_cmp_eq_f32_e64 s2, 0x42b17218, v6
	s_delay_alu instid0(VALU_DEP_1) | instskip(SKIP_1) | instid1(VALU_DEP_2)
	v_cndmask_b32_e64 v8, 0, 0x37000000, s2
	v_cmp_neq_f32_e64 s2, 0x7f800000, |v6|
	v_sub_f32_e32 v9, v6, v8
	v_trunc_f32_e32 v6, v4
	s_delay_alu instid0(VALU_DEP_2) | instskip(NEXT) | instid1(VALU_DEP_1)
	v_mul_f32_e32 v10, 0x3fb8aa3b, v9
	v_fma_f32 v11, 0x3fb8aa3b, v9, -v10
	v_rndne_f32_e32 v12, v10
	s_delay_alu instid0(VALU_DEP_1) | instskip(NEXT) | instid1(VALU_DEP_1)
	v_dual_fmamk_f32 v11, v9, 0x32a5705f, v11 :: v_dual_sub_f32 v10, v10, v12
	v_add_f32_e32 v10, v10, v11
	v_sub_f32_e32 v1, v1, v7
	v_cvt_i32_f32_e32 v7, v12
	s_delay_alu instid0(VALU_DEP_3) | instskip(NEXT) | instid1(VALU_DEP_2)
	v_exp_f32_e32 v10, v10
	v_sub_f32_e32 v1, v2, v1
	s_delay_alu instid0(VALU_DEP_1)
	v_cndmask_b32_e64 v1, 0, v1, s2
	v_cmp_ngt_f32_e64 s2, 0xc2ce8ed0, v9
	s_waitcnt_depctr 0xfff
	v_ldexp_f32 v2, v10, v7
	v_mul_f32_e32 v7, 0.5, v4
	v_add_f32_e32 v1, v8, v1
	s_delay_alu instid0(VALU_DEP_3) | instskip(NEXT) | instid1(VALU_DEP_3)
	v_cndmask_b32_e64 v2, 0, v2, s2
	v_trunc_f32_e32 v10, v7
	v_cmp_nlt_f32_e64 s2, 0x42b17218, v9
	s_delay_alu instid0(VALU_DEP_2) | instskip(NEXT) | instid1(VALU_DEP_2)
	v_cmp_neq_f32_e64 s3, v10, v7
	v_cndmask_b32_e64 v2, 0x7f800000, v2, s2
	v_cmp_eq_f32_e64 s2, v6, v4
	s_delay_alu instid0(VALU_DEP_2) | instskip(NEXT) | instid1(VALU_DEP_2)
	v_fma_f32 v1, v2, v1, v2
	s_and_b32 vcc_lo, s2, s3
	v_cmp_class_f32_e64 s3, v2, 0x204
	v_cndmask_b32_e32 v6, 1.0, v3, vcc_lo
	s_delay_alu instid0(VALU_DEP_2) | instskip(SKIP_1) | instid1(VALU_DEP_2)
	v_cndmask_b32_e64 v1, v1, v2, s3
	v_cmp_gt_f32_e64 s3, 0, v4
	v_bfi_b32 v1, 0x7fffffff, v1, v6
	v_cndmask_b32_e32 v6, 0, v3, vcc_lo
	s_delay_alu instid0(VALU_DEP_3)
	s_xor_b32 s3, s3, s4
	v_cmp_eq_f32_e32 vcc_lo, 0x7f800000, v5
	v_cndmask_b32_e64 v2, 0x7f800000, 0, s3
	v_cndmask_b32_e64 v4, 0x7fc00000, v1, s2
	v_cmp_gt_f32_e64 s2, 0, v3
	s_or_b32 vcc_lo, vcc_lo, s4
	s_delay_alu instid0(VALU_DEP_3) | instskip(NEXT) | instid1(VALU_DEP_2)
	v_bfi_b32 v2, 0x7fffffff, v2, v6
	v_cndmask_b32_e64 v1, v1, v4, s2
	s_delay_alu instid0(VALU_DEP_1) | instskip(SKIP_1) | instid1(VALU_DEP_2)
	v_cndmask_b32_e32 v1, v1, v2, vcc_lo
	v_cmp_o_f32_e32 vcc_lo, v3, v3
	v_cndmask_b32_e32 v29, 0x7fc00000, v1, vcc_lo
.LBB68_4:
	v_bfe_u32 v27, v0, 10, 10
	s_load_b128 s[48:51], s[0:1], 0x70
	s_ashr_i32 s35, s34, 31
	s_ashr_i32 s2, s5, 31
	v_dual_mov_b32 v21, 0 :: v_dual_and_b32 v0, 0x3ff, v0
	v_lshl_add_u32 v1, s13, 1, v27
	v_lshlrev_b32_e32 v22, 6, v27
	s_delay_alu instid0(VALU_DEP_3) | instskip(NEXT) | instid1(VALU_DEP_3)
	v_lshlrev_b32_e32 v28, 1, v0
	v_mul_hi_u32 v2, s8, v1
	s_delay_alu instid0(VALU_DEP_1)
	v_add_nc_u32_e32 v2, v1, v2
	s_waitcnt lgkmcnt(0)
	s_mul_i32 s3, s12, s50
	s_mul_i32 s4, s34, s49
	s_ashr_i32 s5, s3, 31
	v_lshrrev_b32_e32 v2, s9, v2
	s_add_u32 s3, s16, s3
	s_addc_u32 s5, s17, s5
	s_ashr_i32 s6, s4, 31
	s_add_u32 s3, s3, s4
	v_mul_lo_u32 v2, v2, s10
	s_addc_u32 s4, s5, s6
	s_ashr_i32 s5, s48, 31
	s_delay_alu instid0(SALU_CYCLE_1) | instskip(SKIP_2) | instid1(VALU_DEP_2)
	v_alignbit_b32 v4, s5, s48, 2
	s_lshr_b32 s5, s5, 2
	s_cmp_eq_u64 s[26:27], 0
	v_sub_nc_u32_e32 v30, v1, v2
	s_delay_alu instid0(VALU_DEP_1) | instskip(NEXT) | instid1(VALU_DEP_1)
	v_mad_u64_u32 v[2:3], null, v4, v30, 0
	v_mad_u64_u32 v[4:5], null, s5, v30, v[3:4]
	s_delay_alu instid0(VALU_DEP_1) | instskip(NEXT) | instid1(VALU_DEP_1)
	v_dual_mov_b32 v3, v4 :: v_dual_lshlrev_b32 v4, 4, v0
	v_lshlrev_b64 v[2:3], 2, v[2:3]
	s_delay_alu instid0(VALU_DEP_1) | instskip(NEXT) | instid1(VALU_DEP_2)
	v_add_co_u32 v2, vcc_lo, s3, v2
	v_add_co_ci_u32_e32 v3, vcc_lo, s4, v3, vcc_lo
	s_delay_alu instid0(VALU_DEP_2) | instskip(NEXT) | instid1(VALU_DEP_2)
	v_add_co_u32 v2, vcc_lo, v2, v4
	v_add_co_ci_u32_e32 v3, vcc_lo, 0, v3, vcc_lo
	global_load_b128 v[2:5], v[2:3], off
	s_waitcnt vmcnt(0)
	v_fma_mixlo_f16 v7, v4, s36, 0
	v_fma_mixlo_f16 v6, v2, s36, 0
	v_add_lshl_u32 v2, v22, v28, 2
	s_delay_alu instid0(VALU_DEP_3) | instskip(NEXT) | instid1(VALU_DEP_3)
	v_fma_mixhi_f16 v7, v5, s36, 0
	v_fma_mixhi_f16 v6, v3, s36, 0
	ds_store_b64 v2, v[6:7] offset:4608
	s_waitcnt lgkmcnt(0)
	s_barrier
	buffer_gl0_inv
	s_cbranch_scc1 .LBB68_6
; %bb.5:
	s_load_b32 s3, s[0:1], 0xd0
	s_mov_b32 s5, 0
	s_waitcnt lgkmcnt(0)
	s_mul_i32 s3, s3, s12
	s_delay_alu instid0(SALU_CYCLE_1) | instskip(NEXT) | instid1(SALU_CYCLE_1)
	s_add_i32 s4, s3, s13
	s_lshl_b64 s[4:5], s[4:5], 2
	s_delay_alu instid0(SALU_CYCLE_1)
	s_add_u32 s4, s26, s4
	s_addc_u32 s5, s27, s5
	s_load_b32 s42, s[4:5], 0x0
.LBB68_6:
	s_clause 0x1
	s_load_b64 s[8:9], s[0:1], 0x8c
	s_load_b128 s[4:7], s[0:1], 0x98
	s_ashr_i32 s3, s12, 31
	s_load_b64 s[26:27], s[0:1], 0xa8
	s_ashr_i32 s16, s45, 1
	s_mul_i32 s13, s22, s15
	v_lshlrev_b32_e32 v20, 2, v0
	v_mov_b32_e32 v2, 0xfeffffff
	v_mov_b32_e32 v26, 0
	v_lshrrev_b32_e32 v34, 3, v0
	v_mul_u32_u24_e32 v33, 0x90, v0
	v_and_b32_e32 v35, 28, v20
	v_lshrrev_b32_e32 v31, 4, v0
	v_and_b32_e32 v32, 60, v20
	v_lshlrev_b32_e32 v24, 3, v0
	v_mbcnt_lo_u32_b32 v23, -1, 0
	s_waitcnt lgkmcnt(0)
	s_ashr_i32 s17, s8, 2
	s_ashr_i32 s8, s6, 2
	s_mul_i32 s5, s12, s5
	s_mul_hi_u32 s6, s12, s4
	s_mul_i32 s23, s3, s4
	s_add_i32 s5, s6, s5
	s_mul_i32 s4, s12, s4
	s_add_i32 s5, s5, s23
	s_add_u32 s4, s18, s4
	s_addc_u32 s5, s19, s5
	s_sub_i32 s6, s33, s13
	s_xor_b32 s2, s35, s2
	s_add_i32 s13, s22, 1
	s_sub_i32 s18, s6, s15
	s_cmp_ge_u32 s6, s15
	s_mul_i32 s3, s3, s26
	s_cselect_b32 s13, s13, s22
	s_cselect_b32 s6, s18, s6
	s_add_i32 s18, s13, 1
	s_cmp_ge_u32 s6, s15
	s_mul_hi_u32 s15, s12, s26
	s_cselect_b32 s6, s18, s13
	s_mul_i32 s13, s12, s27
	s_xor_b32 s6, s6, s2
	s_delay_alu instid0(SALU_CYCLE_1) | instskip(NEXT) | instid1(SALU_CYCLE_1)
	s_sub_i32 s2, s6, s2
	s_mul_i32 s6, s2, s9
	s_mul_i32 s9, s12, s26
	s_ashr_i32 s18, s6, 31
	s_add_u32 s4, s4, s6
	s_addc_u32 s5, s5, s18
	s_add_i32 s6, s15, s13
	s_mul_i32 s2, s2, s7
	s_add_i32 s6, s6, s3
	s_add_u32 s3, s20, s9
	s_addc_u32 s6, s21, s6
	s_ashr_i32 s7, s2, 31
	s_add_u32 s9, s3, s2
	s_addc_u32 s13, s6, s7
	s_lshl_b32 s15, s14, 5
	s_sub_i32 s6, s42, 32
	s_delay_alu instid0(SALU_CYCLE_1)
	s_cmp_ge_i32 s15, s6
	s_cbranch_scc1 .LBB68_12
; %bb.7:
	v_lshl_add_u32 v2, v27, 2, v34
	v_lshl_add_u32 v8, v27, 1, v31
	s_lshl_b32 s2, s17, 3
	s_cmp_lg_u64 s[40:41], 0
	v_mad_u64_u32 v[3:4], null, v30, s16, v[0:1]
	v_mul_lo_u32 v5, s17, v2
	v_mul_lo_u32 v12, s8, v8
	s_cselect_b32 s7, -1, 0
	s_lshl_b32 s3, s8, 2
	v_dual_mov_b32 v25, 0 :: v_dual_lshlrev_b32 v6, 2, v35
	v_dual_mov_b32 v21, 0 :: v_dual_lshlrev_b32 v4, 2, v32
	s_delay_alu instid0(VALU_DEP_4) | instskip(NEXT) | instid1(VALU_DEP_4)
	v_dual_mov_b32 v50, 0xfeffffff :: v_dual_add_nc_u32 v7, s2, v5
	v_add_nc_u32_e32 v14, s3, v12
	s_delay_alu instid0(VALU_DEP_4) | instskip(NEXT) | instid1(VALU_DEP_4)
	v_mad_u32_u24 v38, 0x90, v2, v6
	v_lshl_or_b32 v39, v8, 8, v4
	s_delay_alu instid0(VALU_DEP_4)
	v_add_nc_u32_e32 v9, s2, v7
	v_ashrrev_i32_e32 v6, 31, v5
	v_add_nc_u32_e32 v18, s3, v14
	v_ashrrev_i32_e32 v8, 31, v7
	v_ashrrev_i32_e32 v13, 31, v12
	v_add_nc_u32_e32 v16, s2, v9
	v_ashrrev_i32_e32 v10, 31, v9
	v_add_nc_u32_e32 v51, s3, v18
	v_ashrrev_i32_e32 v15, 31, v14
	v_ashrrev_i32_e32 v19, 31, v18
	;; [unrolled: 1-line block ×3, first 2 shown]
	v_dual_mov_b32 v26, 0 :: v_dual_add_nc_u32 v37, 0x1400, v22
	v_ashrrev_i32_e32 v52, 31, v51
	v_lshlrev_b64 v[4:5], 2, v[5:6]
	v_lshlrev_b64 v[6:7], 2, v[7:8]
	;; [unrolled: 1-line block ×8, first 2 shown]
	v_lshl_add_u32 v36, v27, 8, 0x1200
	v_add_nc_u32_e32 v40, 0x480, v38
	v_add_nc_u32_e32 v41, 0x900, v38
	;; [unrolled: 1-line block ×3, first 2 shown]
	v_lshl_add_u32 v43, v0, 1, v37
	v_add_nc_u32_e32 v44, 0x400, v39
	v_add_nc_u32_e32 v45, 0x800, v39
	;; [unrolled: 1-line block ×3, first 2 shown]
	v_lshlrev_b32_e32 v47, 2, v35
	v_lshlrev_b32_e32 v48, 2, v32
	v_mbcnt_lo_u32_b32 v49, -1, 0
	s_add_u32 s2, s0, 0xd0
	s_addc_u32 s3, s1, 0
.LBB68_8:                               ; =>This Inner Loop Header: Depth=1
	s_mul_hi_i32 s19, s15, s17
	s_mul_i32 s18, s15, s17
	s_delay_alu instid0(SALU_CYCLE_1) | instskip(NEXT) | instid1(SALU_CYCLE_1)
	s_lshl_b64 s[18:19], s[18:19], 2
	s_add_u32 s18, s4, s18
	s_addc_u32 s19, s5, s19
	v_add_co_u32 v2, vcc_lo, s18, v4
	v_add_co_ci_u32_e32 v51, vcc_lo, s19, v5, vcc_lo
	v_add_co_u32 v52, vcc_lo, s18, v6
	v_add_co_ci_u32_e32 v53, vcc_lo, s19, v7, vcc_lo
	s_delay_alu instid0(VALU_DEP_4) | instskip(NEXT) | instid1(VALU_DEP_4)
	v_add_co_u32 v67, vcc_lo, v2, v47
	v_add_co_ci_u32_e32 v68, vcc_lo, 0, v51, vcc_lo
	s_delay_alu instid0(VALU_DEP_4) | instskip(NEXT) | instid1(VALU_DEP_4)
	v_add_co_u32 v69, vcc_lo, v52, v47
	v_add_co_ci_u32_e32 v70, vcc_lo, 0, v53, vcc_lo
	v_add_co_u32 v2, vcc_lo, s18, v8
	v_add_co_ci_u32_e32 v51, vcc_lo, s19, v9, vcc_lo
	;; [unrolled: 2-line block ×3, first 2 shown]
	s_delay_alu instid0(VALU_DEP_4) | instskip(NEXT) | instid1(VALU_DEP_4)
	v_add_co_u32 v71, vcc_lo, v2, v47
	v_add_co_ci_u32_e32 v72, vcc_lo, 0, v51, vcc_lo
	s_delay_alu instid0(VALU_DEP_4) | instskip(NEXT) | instid1(VALU_DEP_4)
	v_add_co_u32 v73, vcc_lo, v52, v47
	v_add_co_ci_u32_e32 v74, vcc_lo, 0, v53, vcc_lo
	s_clause 0x3
	global_load_b128 v[51:54], v[67:68], off
	global_load_b128 v[55:58], v[69:70], off
	;; [unrolled: 1-line block ×4, first 2 shown]
	v_mov_b32_e32 v2, 0
	s_and_not1_b32 vcc_lo, exec_lo, s7
	s_waitcnt vmcnt(3)
	ds_store_b128 v38, v[51:54]
	s_waitcnt vmcnt(2)
	ds_store_b128 v40, v[55:58]
	;; [unrolled: 2-line block ×4, first 2 shown]
	s_waitcnt lgkmcnt(0)
	s_barrier
	buffer_gl0_inv
	ds_load_b128 v[51:54], v33
	ds_load_b128 v[55:58], v36
	s_waitcnt lgkmcnt(0)
	;;#ASMSTART
	v_dot2_f32_f16 v2, v51, v55, v2
	;;#ASMEND
	;;#ASMSTART
	v_dot2_f32_f16 v2, v52, v56, v2
	;;#ASMEND
	;;#ASMSTART
	v_dot2_f32_f16 v2, v53, v57, v2
	;;#ASMEND
	;;#ASMSTART
	v_dot2_f32_f16 v2, v54, v58, v2
	;;#ASMEND
	ds_load_b128 v[51:54], v33 offset:16
	ds_load_b128 v[55:58], v36 offset:16
	s_waitcnt lgkmcnt(0)
	;;#ASMSTART
	v_dot2_f32_f16 v2, v51, v55, v2
	;;#ASMEND
	;;#ASMSTART
	v_dot2_f32_f16 v2, v52, v56, v2
	;;#ASMEND
	;;#ASMSTART
	v_dot2_f32_f16 v2, v53, v57, v2
	;;#ASMEND
	;;#ASMSTART
	v_dot2_f32_f16 v2, v54, v58, v2
	;;#ASMEND
	ds_load_b128 v[51:54], v33 offset:32
	ds_load_b128 v[55:58], v36 offset:32
	;; [unrolled: 15-line block ×7, first 2 shown]
	s_waitcnt lgkmcnt(0)
	;;#ASMSTART
	v_dot2_f32_f16 v2, v51, v55, v2
	;;#ASMEND
	;;#ASMSTART
	v_dot2_f32_f16 v2, v52, v56, v2
	;;#ASMEND
	;; [unrolled: 3-line block ×4, first 2 shown]
	s_barrier
	buffer_gl0_inv
	s_clause 0x3
	global_load_b128 v[51:54], v[67:68], off offset:128
	global_load_b128 v[55:58], v[69:70], off offset:128
	;; [unrolled: 1-line block ×4, first 2 shown]
	s_waitcnt vmcnt(3)
	ds_store_b128 v38, v[51:54]
	s_waitcnt vmcnt(2)
	ds_store_b128 v40, v[55:58]
	;; [unrolled: 2-line block ×4, first 2 shown]
	s_waitcnt lgkmcnt(0)
	s_barrier
	buffer_gl0_inv
	ds_load_b128 v[51:54], v33
	ds_load_b128 v[55:58], v36 offset:128
	s_waitcnt lgkmcnt(0)
	;;#ASMSTART
	v_dot2_f32_f16 v2, v51, v55, v2
	;;#ASMEND
	;;#ASMSTART
	v_dot2_f32_f16 v2, v52, v56, v2
	;;#ASMEND
	;;#ASMSTART
	v_dot2_f32_f16 v2, v53, v57, v2
	;;#ASMEND
	;;#ASMSTART
	v_dot2_f32_f16 v2, v54, v58, v2
	;;#ASMEND
	ds_load_b128 v[51:54], v33 offset:16
	ds_load_b128 v[55:58], v36 offset:144
	s_waitcnt lgkmcnt(0)
	;;#ASMSTART
	v_dot2_f32_f16 v2, v51, v55, v2
	;;#ASMEND
	;;#ASMSTART
	v_dot2_f32_f16 v2, v52, v56, v2
	;;#ASMEND
	;;#ASMSTART
	v_dot2_f32_f16 v2, v53, v57, v2
	;;#ASMEND
	;;#ASMSTART
	v_dot2_f32_f16 v2, v54, v58, v2
	;;#ASMEND
	ds_load_b128 v[51:54], v33 offset:32
	;; [unrolled: 15-line block ×6, first 2 shown]
	ds_load_b128 v[55:58], v36 offset:224
	s_waitcnt lgkmcnt(0)
	;;#ASMSTART
	v_dot2_f32_f16 v2, v51, v55, v2
	;;#ASMEND
	v_mov_b32_e32 v51, 0
	;;#ASMSTART
	v_dot2_f32_f16 v2, v52, v56, v2
	;;#ASMEND
	;;#ASMSTART
	v_dot2_f32_f16 v2, v53, v57, v2
	;;#ASMEND
	;; [unrolled: 3-line block ×3, first 2 shown]
	ds_load_b128 v[52:55], v33 offset:112
	ds_load_b128 v[56:59], v36 offset:240
	s_waitcnt lgkmcnt(0)
	;;#ASMSTART
	v_dot2_f32_f16 v2, v52, v56, v2
	;;#ASMEND
	;;#ASMSTART
	v_dot2_f32_f16 v2, v53, v57, v2
	;;#ASMEND
	;; [unrolled: 3-line block ×4, first 2 shown]
	s_cbranch_vccnz .LBB68_10
; %bb.9:                                ;   in Loop: Header=BB68_8 Depth=1
	v_add_nc_u32_e32 v51, s15, v3
	s_delay_alu instid0(VALU_DEP_1) | instskip(NEXT) | instid1(VALU_DEP_1)
	v_ashrrev_i32_e32 v52, 31, v51
	v_lshlrev_b64 v[51:52], 1, v[51:52]
	s_delay_alu instid0(VALU_DEP_1) | instskip(NEXT) | instid1(VALU_DEP_2)
	v_add_co_u32 v51, vcc_lo, s40, v51
	v_add_co_ci_u32_e32 v52, vcc_lo, s41, v52, vcc_lo
	flat_load_u16 v51, v[51:52]
	s_waitcnt vmcnt(0) lgkmcnt(0)
	v_cvt_f32_f16_e32 v51, v51
	s_delay_alu instid0(VALU_DEP_1)
	v_mul_f32_e32 v51, v29, v51
.LBB68_10:                              ;   in Loop: Header=BB68_8 Depth=1
	s_mul_hi_i32 s19, s15, s8
	s_mul_i32 s18, s15, s8
	s_delay_alu instid0(SALU_CYCLE_1)
	s_lshl_b64 s[18:19], s[18:19], 2
	s_barrier
	s_add_u32 s18, s9, s18
	s_addc_u32 s19, s13, s19
	v_add_co_u32 v52, vcc_lo, s18, v12
	v_add_co_ci_u32_e32 v53, vcc_lo, s19, v13, vcc_lo
	v_add_co_u32 v54, vcc_lo, s18, v14
	v_add_co_ci_u32_e32 v55, vcc_lo, s19, v15, vcc_lo
	s_delay_alu instid0(VALU_DEP_4) | instskip(NEXT) | instid1(VALU_DEP_4)
	v_add_co_u32 v52, vcc_lo, v52, v48
	v_add_co_ci_u32_e32 v53, vcc_lo, 0, v53, vcc_lo
	s_delay_alu instid0(VALU_DEP_4) | instskip(NEXT) | instid1(VALU_DEP_4)
	v_add_co_u32 v56, vcc_lo, v54, v48
	v_add_co_ci_u32_e32 v57, vcc_lo, 0, v55, vcc_lo
	v_add_co_u32 v54, vcc_lo, s18, v16
	v_add_co_ci_u32_e32 v55, vcc_lo, s19, v17, vcc_lo
	;; [unrolled: 2-line block ×3, first 2 shown]
	s_delay_alu instid0(VALU_DEP_4) | instskip(NEXT) | instid1(VALU_DEP_4)
	v_add_co_u32 v60, vcc_lo, v54, v48
	v_add_co_ci_u32_e32 v61, vcc_lo, 0, v55, vcc_lo
	s_delay_alu instid0(VALU_DEP_4) | instskip(NEXT) | instid1(VALU_DEP_4)
	v_add_co_u32 v64, vcc_lo, v58, v48
	v_add_co_ci_u32_e32 v65, vcc_lo, 0, v59, vcc_lo
	buffer_gl0_inv
	s_clause 0x3
	global_load_b128 v[52:55], v[52:53], off
	global_load_b128 v[56:59], v[56:57], off
	;; [unrolled: 1-line block ×4, first 2 shown]
	v_add_f32_e32 v51, v2, v51
	v_xor_b32_e32 v2, 16, v49
	s_or_b32 s18, s15, 16
	s_delay_alu instid0(SALU_CYCLE_1) | instskip(SKIP_1) | instid1(VALU_DEP_1)
	s_mul_hi_i32 s19, s18, s8
	s_mul_i32 s18, s18, s8
	v_cmp_gt_i32_e32 vcc_lo, 32, v2
	s_lshl_b64 s[18:19], s[18:19], 2
	s_delay_alu instid0(SALU_CYCLE_1) | instskip(SKIP_3) | instid1(VALU_DEP_1)
	s_add_u32 s18, s9, s18
	s_addc_u32 s19, s13, s19
	v_cndmask_b32_e32 v2, v49, v2, vcc_lo
	v_dual_max_f32 v68, v50, v50 :: v_dual_add_f32 v69, 0x40051340, v51
	v_max_f32_e32 v68, v68, v69
	v_xor_b32_e32 v69, 8, v49
	s_delay_alu instid0(VALU_DEP_1) | instskip(SKIP_4) | instid1(VALU_DEP_1)
	v_cmp_gt_i32_e32 vcc_lo, 32, v69
	v_dual_cndmask_b32 v69, v49, v69 :: v_dual_lshlrev_b32 v2, 2, v2
	ds_bpermute_b32 v2, v2, v68
	s_waitcnt lgkmcnt(0)
	v_dual_max_f32 v2, v2, v2 :: v_dual_lshlrev_b32 v69, 2, v69
	v_max_f32_e32 v2, v68, v2
	ds_bpermute_b32 v68, v69, v2
	v_xor_b32_e32 v69, 4, v49
	s_delay_alu instid0(VALU_DEP_1) | instskip(SKIP_2) | instid1(VALU_DEP_1)
	v_cmp_gt_i32_e32 vcc_lo, 32, v69
	v_cndmask_b32_e32 v69, v49, v69, vcc_lo
	s_waitcnt lgkmcnt(0)
	v_dual_max_f32 v68, v68, v68 :: v_dual_lshlrev_b32 v69, 2, v69
	s_delay_alu instid0(VALU_DEP_1) | instskip(SKIP_2) | instid1(VALU_DEP_1)
	v_max_f32_e32 v2, v2, v68
	ds_bpermute_b32 v68, v69, v2
	v_xor_b32_e32 v69, 2, v49
	v_cmp_gt_i32_e32 vcc_lo, 32, v69
	v_cndmask_b32_e32 v69, v49, v69, vcc_lo
	s_waitcnt lgkmcnt(0)
	s_delay_alu instid0(VALU_DEP_1) | instskip(NEXT) | instid1(VALU_DEP_1)
	v_dual_max_f32 v68, v68, v68 :: v_dual_lshlrev_b32 v69, 2, v69
	v_max_f32_e32 v2, v2, v68
	ds_bpermute_b32 v68, v69, v2
	v_xor_b32_e32 v69, 1, v49
	s_delay_alu instid0(VALU_DEP_1) | instskip(SKIP_4) | instid1(VALU_DEP_3)
	v_cmp_gt_i32_e32 vcc_lo, 32, v69
	v_cndmask_b32_e32 v69, v49, v69, vcc_lo
	v_add_co_u32 v71, vcc_lo, s18, v12
	v_add_co_ci_u32_e32 v72, vcc_lo, s19, v13, vcc_lo
	s_waitcnt lgkmcnt(0)
	v_dual_max_f32 v68, v68, v68 :: v_dual_lshlrev_b32 v69, 2, v69
	s_delay_alu instid0(VALU_DEP_1) | instskip(SKIP_3) | instid1(VALU_DEP_1)
	v_max_f32_e32 v2, v2, v68
	ds_bpermute_b32 v68, v69, v2
	s_waitcnt lgkmcnt(0)
	v_max_f32_e32 v68, v68, v68
	v_max_f32_e32 v2, v2, v68
	s_delay_alu instid0(VALU_DEP_1) | instskip(NEXT) | instid1(VALU_DEP_1)
	v_sub_f32_e32 v50, v50, v2
	v_mul_f32_e32 v109, 0x3fb8aa3b, v50
	s_delay_alu instid0(VALU_DEP_1) | instskip(SKIP_1) | instid1(VALU_DEP_2)
	v_rndne_f32_e32 v111, v109
	v_fma_f32 v110, 0x3fb8aa3b, v50, -v109
	v_sub_f32_e32 v109, v109, v111
	v_sub_f32_e32 v51, v51, v2
	s_delay_alu instid0(VALU_DEP_3) | instskip(NEXT) | instid1(VALU_DEP_1)
	v_fmac_f32_e32 v110, 0x32a5705f, v50
	v_dual_mul_f32 v68, 0x3fb8aa3b, v51 :: v_dual_add_f32 v109, v109, v110
	v_cvt_i32_f32_e32 v110, v111
	s_delay_alu instid0(VALU_DEP_2) | instskip(SKIP_3) | instid1(VALU_DEP_2)
	v_fma_f32 v69, 0x3fb8aa3b, v51, -v68
	v_rndne_f32_e32 v70, v68
	v_add_nc_u32_e32 v107, 0x800, v24
	v_exp_f32_e32 v109, v109
	v_dual_fmac_f32 v69, 0x32a5705f, v51 :: v_dual_sub_f32 v68, v68, v70
	v_cvt_i32_f32_e32 v70, v70
	s_delay_alu instid0(VALU_DEP_2) | instskip(SKIP_2) | instid1(VALU_DEP_3)
	v_add_f32_e32 v68, v68, v69
	v_add_co_u32 v69, vcc_lo, s18, v14
	v_add_co_ci_u32_e32 v73, vcc_lo, s19, v15, vcc_lo
	v_exp_f32_e32 v68, v68
	v_add_co_u32 v74, vcc_lo, s18, v16
	v_add_co_ci_u32_e32 v75, vcc_lo, s19, v17, vcc_lo
	v_add_co_u32 v76, vcc_lo, s18, v18
	v_add_co_ci_u32_e32 v77, vcc_lo, s19, v19, vcc_lo
	;; [unrolled: 2-line block ×3, first 2 shown]
	s_delay_alu instid0(TRANS32_DEP_1) | instskip(SKIP_2) | instid1(VALU_DEP_3)
	v_ldexp_f32 v68, v68, v70
	v_cmp_ngt_f32_e32 vcc_lo, 0xc2ce8ed0, v51
	v_ldexp_f32 v109, v109, v110
	v_cndmask_b32_e32 v68, 0, v68, vcc_lo
	v_add_co_u32 v95, vcc_lo, v69, v48
	v_add_co_ci_u32_e32 v96, vcc_lo, 0, v73, vcc_lo
	v_cmp_nlt_f32_e32 vcc_lo, 0x42b17218, v51
	s_delay_alu instid0(VALU_DEP_4) | instskip(SKIP_2) | instid1(VALU_DEP_3)
	v_cndmask_b32_e32 v108, 0x7f800000, v68, vcc_lo
	v_add_co_u32 v99, vcc_lo, v74, v48
	v_add_co_ci_u32_e32 v100, vcc_lo, 0, v75, vcc_lo
	v_cvt_f16_f32_e32 v51, v108
	v_add_co_u32 v103, vcc_lo, v76, v48
	v_add_co_ci_u32_e32 v104, vcc_lo, 0, v77, vcc_lo
	v_cmp_ngt_f32_e32 vcc_lo, 0xc2ce8ed0, v50
	ds_store_b16 v43, v51
	s_waitcnt vmcnt(3)
	ds_store_b128 v39, v[52:55]
	s_waitcnt vmcnt(2)
	ds_store_b128 v44, v[56:59]
	;; [unrolled: 2-line block ×4, first 2 shown]
	v_cndmask_b32_e32 v109, 0, v109, vcc_lo
	s_waitcnt lgkmcnt(0)
	s_barrier
	buffer_gl0_inv
	ds_load_2addr_b64 v[51:54], v24 offset1:32
	ds_load_b128 v[55:58], v37
	ds_load_b128 v[59:62], v37 offset:16
	ds_load_2addr_b64 v[63:66], v24 offset0:64 offset1:96
	ds_load_2addr_b64 v[67:70], v24 offset0:128 offset1:160
	;; [unrolled: 1-line block ×3, first 2 shown]
	ds_load_2addr_b64 v[75:78], v107 offset1:32
	ds_load_2addr_b64 v[79:82], v107 offset0:64 offset1:96
	ds_load_2addr_b64 v[83:86], v107 offset0:128 offset1:160
	;; [unrolled: 1-line block ×3, first 2 shown]
	s_waitcnt lgkmcnt(0)
	s_barrier
	buffer_gl0_inv
	s_clause 0x3
	global_load_b128 v[91:94], v[91:92], off
	global_load_b128 v[95:98], v[95:96], off
	global_load_b128 v[99:102], v[99:100], off
	global_load_b128 v[103:106], v[103:104], off
	v_cmp_nlt_f32_e32 vcc_lo, 0x42b17218, v50
	s_waitcnt vmcnt(3)
	ds_store_b128 v39, v[91:94]
	s_waitcnt vmcnt(2)
	ds_store_b128 v44, v[95:98]
	;; [unrolled: 2-line block ×4, first 2 shown]
	v_cndmask_b32_e32 v109, 0x7f800000, v109, vcc_lo
	v_pk_mul_f16 v51, v51, v55 op_sel_hi:[1,0]
	v_pk_mul_f16 v52, v52, v55 op_sel_hi:[1,0]
	s_waitcnt lgkmcnt(0)
	s_barrier
	v_cvt_f16_f32_e32 v50, v109
	buffer_gl0_inv
	v_fma_f32 v21, v21, v109, v108
	v_pk_fma_f16 v25, v25, v50, v51 op_sel_hi:[1,0,1]
	v_pk_fma_f16 v26, v26, v50, v52 op_sel_hi:[1,0,1]
	s_delay_alu instid0(VALU_DEP_2) | instskip(NEXT) | instid1(VALU_DEP_2)
	v_pk_fma_f16 v25, v53, v55, v25 op_sel:[0,1,0]
	v_pk_fma_f16 v26, v54, v55, v26 op_sel:[0,1,0]
	s_delay_alu instid0(VALU_DEP_2) | instskip(NEXT) | instid1(VALU_DEP_2)
	v_pk_fma_f16 v25, v63, v56, v25 op_sel_hi:[1,0,1]
	v_pk_fma_f16 v26, v64, v56, v26 op_sel_hi:[1,0,1]
	s_delay_alu instid0(VALU_DEP_2) | instskip(NEXT) | instid1(VALU_DEP_2)
	v_pk_fma_f16 v25, v65, v56, v25 op_sel:[0,1,0]
	v_pk_fma_f16 v26, v66, v56, v26 op_sel:[0,1,0]
	s_delay_alu instid0(VALU_DEP_2) | instskip(NEXT) | instid1(VALU_DEP_2)
	v_pk_fma_f16 v25, v67, v57, v25 op_sel_hi:[1,0,1]
	v_pk_fma_f16 v26, v68, v57, v26 op_sel_hi:[1,0,1]
	s_delay_alu instid0(VALU_DEP_2) | instskip(NEXT) | instid1(VALU_DEP_2)
	v_pk_fma_f16 v25, v69, v57, v25 op_sel:[0,1,0]
	v_pk_fma_f16 v26, v70, v57, v26 op_sel:[0,1,0]
	ds_load_2addr_b64 v[50:53], v24 offset1:32
	ds_load_b128 v[54:57], v37 offset:32
	v_pk_fma_f16 v25, v71, v58, v25 op_sel_hi:[1,0,1]
	v_pk_fma_f16 v26, v72, v58, v26 op_sel_hi:[1,0,1]
	s_delay_alu instid0(VALU_DEP_2) | instskip(NEXT) | instid1(VALU_DEP_2)
	v_pk_fma_f16 v25, v73, v58, v25 op_sel:[0,1,0]
	v_pk_fma_f16 v26, v74, v58, v26 op_sel:[0,1,0]
	s_delay_alu instid0(VALU_DEP_2) | instskip(NEXT) | instid1(VALU_DEP_2)
	v_pk_fma_f16 v25, v75, v59, v25 op_sel_hi:[1,0,1]
	v_pk_fma_f16 v26, v76, v59, v26 op_sel_hi:[1,0,1]
	s_delay_alu instid0(VALU_DEP_2) | instskip(NEXT) | instid1(VALU_DEP_2)
	v_pk_fma_f16 v25, v77, v59, v25 op_sel:[0,1,0]
	v_pk_fma_f16 v26, v78, v59, v26 op_sel:[0,1,0]
	s_delay_alu instid0(VALU_DEP_2) | instskip(NEXT) | instid1(VALU_DEP_2)
	;; [unrolled: 6-line block ×3, first 2 shown]
	v_pk_fma_f16 v25, v83, v61, v25 op_sel_hi:[1,0,1]
	v_pk_fma_f16 v26, v84, v61, v26 op_sel_hi:[1,0,1]
	s_delay_alu instid0(VALU_DEP_2) | instskip(NEXT) | instid1(VALU_DEP_2)
	v_pk_fma_f16 v25, v85, v61, v25 op_sel:[0,1,0]
	v_pk_fma_f16 v26, v86, v61, v26 op_sel:[0,1,0]
	ds_load_2addr_b64 v[58:61], v24 offset0:64 offset1:96
	v_pk_fma_f16 v25, v87, v62, v25 op_sel_hi:[1,0,1]
	v_pk_fma_f16 v26, v88, v62, v26 op_sel_hi:[1,0,1]
	s_delay_alu instid0(VALU_DEP_2) | instskip(NEXT) | instid1(VALU_DEP_2)
	v_pk_fma_f16 v25, v89, v62, v25 op_sel:[0,1,0]
	v_pk_fma_f16 v26, v90, v62, v26 op_sel:[0,1,0]
	ds_load_b128 v[62:65], v37 offset:48
	ds_load_2addr_b64 v[66:69], v24 offset0:128 offset1:160
	s_waitcnt lgkmcnt(3)
	v_pk_fma_f16 v25, v50, v54, v25 op_sel_hi:[1,0,1]
	v_pk_fma_f16 v26, v51, v54, v26 op_sel_hi:[1,0,1]
	s_delay_alu instid0(VALU_DEP_2) | instskip(NEXT) | instid1(VALU_DEP_2)
	v_pk_fma_f16 v25, v52, v54, v25 op_sel:[0,1,0]
	v_pk_fma_f16 v26, v53, v54, v26 op_sel:[0,1,0]
	ds_load_2addr_b64 v[50:53], v24 offset0:192 offset1:224
	s_waitcnt lgkmcnt(3)
	v_pk_fma_f16 v25, v58, v55, v25 op_sel_hi:[1,0,1]
	v_pk_fma_f16 v26, v59, v55, v26 op_sel_hi:[1,0,1]
	s_delay_alu instid0(VALU_DEP_2) | instskip(NEXT) | instid1(VALU_DEP_2)
	v_pk_fma_f16 v25, v60, v55, v25 op_sel:[0,1,0]
	v_pk_fma_f16 v26, v61, v55, v26 op_sel:[0,1,0]
	ds_load_2addr_b64 v[58:61], v107 offset1:32
	s_waitcnt lgkmcnt(2)
	v_pk_fma_f16 v25, v66, v56, v25 op_sel_hi:[1,0,1]
	v_pk_fma_f16 v26, v67, v56, v26 op_sel_hi:[1,0,1]
	s_delay_alu instid0(VALU_DEP_2) | instskip(NEXT) | instid1(VALU_DEP_2)
	v_pk_fma_f16 v25, v68, v56, v25 op_sel:[0,1,0]
	v_pk_fma_f16 v26, v69, v56, v26 op_sel:[0,1,0]
	ds_load_2addr_b64 v[66:69], v107 offset0:64 offset1:96
	s_waitcnt lgkmcnt(2)
	v_pk_fma_f16 v25, v50, v57, v25 op_sel_hi:[1,0,1]
	v_pk_fma_f16 v26, v51, v57, v26 op_sel_hi:[1,0,1]
	s_delay_alu instid0(VALU_DEP_2) | instskip(NEXT) | instid1(VALU_DEP_2)
	v_pk_fma_f16 v25, v52, v57, v25 op_sel:[0,1,0]
	v_pk_fma_f16 v26, v53, v57, v26 op_sel:[0,1,0]
	ds_load_2addr_b64 v[50:53], v107 offset0:128 offset1:160
	ds_load_2addr_b64 v[54:57], v107 offset0:192 offset1:224
	s_waitcnt lgkmcnt(0)
	v_pk_fma_f16 v25, v58, v62, v25 op_sel_hi:[1,0,1]
	v_pk_fma_f16 v26, v59, v62, v26 op_sel_hi:[1,0,1]
	s_barrier
	buffer_gl0_inv
	s_load_b32 s18, s[2:3], 0x4
	v_pk_fma_f16 v25, v60, v62, v25 op_sel:[0,1,0]
	v_pk_fma_f16 v26, v61, v62, v26 op_sel:[0,1,0]
	s_delay_alu instid0(VALU_DEP_2) | instskip(NEXT) | instid1(VALU_DEP_2)
	v_pk_fma_f16 v25, v66, v63, v25 op_sel_hi:[1,0,1]
	v_pk_fma_f16 v26, v67, v63, v26 op_sel_hi:[1,0,1]
	s_delay_alu instid0(VALU_DEP_2) | instskip(NEXT) | instid1(VALU_DEP_2)
	v_pk_fma_f16 v25, v68, v63, v25 op_sel:[0,1,0]
	v_pk_fma_f16 v26, v69, v63, v26 op_sel:[0,1,0]
	s_delay_alu instid0(VALU_DEP_2) | instskip(NEXT) | instid1(VALU_DEP_2)
	v_pk_fma_f16 v25, v50, v64, v25 op_sel_hi:[1,0,1]
	v_pk_fma_f16 v26, v51, v64, v26 op_sel_hi:[1,0,1]
	s_waitcnt lgkmcnt(0)
	s_lshl_b32 s18, s18, 5
	s_delay_alu instid0(VALU_DEP_2) | instskip(NEXT) | instid1(VALU_DEP_2)
	v_pk_fma_f16 v25, v52, v64, v25 op_sel:[0,1,0]
	v_pk_fma_f16 v26, v53, v64, v26 op_sel:[0,1,0]
	s_add_i32 s15, s18, s15
	s_delay_alu instid0(SALU_CYCLE_1) | instskip(NEXT) | instid1(VALU_DEP_2)
	s_cmp_lt_i32 s15, s6
	v_pk_fma_f16 v25, v54, v65, v25 op_sel_hi:[1,0,1]
	s_delay_alu instid0(VALU_DEP_2) | instskip(NEXT) | instid1(VALU_DEP_2)
	v_pk_fma_f16 v26, v55, v65, v26 op_sel_hi:[1,0,1]
	v_pk_fma_f16 v25, v56, v65, v25 op_sel:[0,1,0]
	s_delay_alu instid0(VALU_DEP_2)
	v_pk_fma_f16 v26, v57, v65, v26 op_sel:[0,1,0]
	s_cbranch_scc0 .LBB68_13
; %bb.11:                               ;   in Loop: Header=BB68_8 Depth=1
	v_mov_b32_e32 v50, v2
	s_branch .LBB68_8
.LBB68_12:
	v_mov_b32_e32 v25, 0
.LBB68_13:
	s_cmp_gt_i32 s42, s15
	s_cbranch_scc1 .LBB68_15
; %bb.14:
	v_mbcnt_lo_u32_b32 v8, -1, 0
	v_mov_b32_e32 v10, 32
	s_delay_alu instid0(VALU_DEP_2)
	v_xor_b32_e32 v3, 16, v8
	v_xor_b32_e32 v4, 8, v8
	;; [unrolled: 1-line block ×5, first 2 shown]
	s_cbranch_execz .LBB68_16
	s_branch .LBB68_21
.LBB68_15:
                                        ; implicit-def: $vgpr8
                                        ; implicit-def: $vgpr10
                                        ; implicit-def: $vgpr3
                                        ; implicit-def: $vgpr4
                                        ; implicit-def: $vgpr5
                                        ; implicit-def: $vgpr6
                                        ; implicit-def: $vgpr7
.LBB68_16:
	v_lshl_add_u32 v11, v27, 2, v34
	s_mul_hi_i32 s3, s15, s17
	s_mul_i32 s2, s15, s17
	s_sub_i32 s18, s42, s15
	s_lshl_b64 s[2:3], s[2:3], 2
	v_mul_lo_u32 v8, s17, v11
	s_mov_b64 s[6:7], src_private_base
	s_add_u32 s4, s4, s2
	s_addc_u32 s5, s5, s3
	s_lshl_b32 s6, s17, 3
	v_lshlrev_b32_e32 v12, 2, v35
	s_mov_b32 s20, 0
	v_add_nc_u32_e32 v13, 8, v11
	v_ashrrev_i32_e32 v9, 31, v8
	s_mov_b32 s21, s20
	s_mov_b32 s22, s20
	v_dual_mov_b32 v14, s20 :: v_dual_mov_b32 v15, s21
	s_delay_alu instid0(VALU_DEP_2) | instskip(SKIP_2) | instid1(VALU_DEP_2)
	v_lshlrev_b64 v[3:4], 2, v[8:9]
	v_add_nc_u32_e32 v8, s6, v8
	v_mov_b32_e32 v16, s22
	v_ashrrev_i32_e32 v9, 31, v8
	s_delay_alu instid0(VALU_DEP_4) | instskip(SKIP_1) | instid1(VALU_DEP_3)
	v_add_co_u32 v3, vcc_lo, s4, v3
	v_add_co_ci_u32_e32 v4, vcc_lo, s5, v4, vcc_lo
	v_lshlrev_b64 v[9:10], 2, v[8:9]
	s_delay_alu instid0(VALU_DEP_3) | instskip(NEXT) | instid1(VALU_DEP_3)
	v_add_co_u32 v17, vcc_lo, v3, v12
	v_add_co_ci_u32_e32 v18, vcc_lo, 0, v4, vcc_lo
	v_cmp_gt_i32_e32 vcc_lo, s18, v11
	s_delay_alu instid0(VALU_DEP_4)
	v_add_co_u32 v9, s2, s4, v9
	v_mov_b32_e32 v3, 0
	v_add_co_ci_u32_e64 v10, s2, s5, v10, s2
	v_cndmask_b32_e32 v5, s7, v18, vcc_lo
	v_cndmask_b32_e32 v4, 0, v17, vcc_lo
	v_add_co_u32 v19, s2, v9, v12
	s_clause 0x1
	scratch_store_b32 off, v3, off
	scratch_store_b96 off, v[14:16], off offset:4
	v_add_co_ci_u32_e64 v34, s2, 0, v10, s2
	v_cmp_gt_i32_e64 s2, s18, v13
	v_add_nc_u32_e32 v13, 16, v11
	flat_load_b128 v[4:7], v[4:5]
	v_mad_u32_u24 v35, 0x90, v11, v12
	s_clause 0x1
	scratch_store_b32 off, v3, off
	scratch_store_b96 off, v[14:16], off offset:4
	v_cndmask_b32_e64 v10, s7, v34, s2
	v_cndmask_b32_e64 v9, 0, v19, s2
	v_add_nc_u32_e32 v8, s6, v8
	s_waitcnt vmcnt(0) lgkmcnt(0)
	ds_store_b128 v35, v[4:7]
	flat_load_b128 v[4:7], v[9:10]
	v_ashrrev_i32_e32 v9, 31, v8
	s_clause 0x1
	scratch_store_b32 off, v3, off
	scratch_store_b96 off, v[14:16], off offset:4
	v_lshlrev_b64 v[9:10], 2, v[8:9]
	v_add_nc_u32_e32 v8, s6, v8
	s_delay_alu instid0(VALU_DEP_2) | instskip(NEXT) | instid1(VALU_DEP_1)
	v_add_co_u32 v9, s3, s4, v9
	v_add_co_ci_u32_e64 v10, s3, s5, v10, s3
	s_delay_alu instid0(VALU_DEP_2) | instskip(NEXT) | instid1(VALU_DEP_1)
	v_add_co_u32 v36, s3, v9, v12
	v_add_co_ci_u32_e64 v37, s3, 0, v10, s3
	v_cmp_gt_i32_e64 s3, s18, v13
	s_delay_alu instid0(VALU_DEP_1) | instskip(NEXT) | instid1(VALU_DEP_4)
	v_cndmask_b32_e64 v10, s7, v37, s3
	v_cndmask_b32_e64 v9, 0, v36, s3
	s_waitcnt vmcnt(0) lgkmcnt(0)
	ds_store_b128 v35, v[4:7] offset:1152
	flat_load_b128 v[4:7], v[9:10]
	v_ashrrev_i32_e32 v9, 31, v8
	v_add_nc_u32_e32 v10, 24, v11
	s_clause 0x1
	scratch_store_b32 off, v3, off
	scratch_store_b96 off, v[14:16], off offset:4
	v_lshlrev_b64 v[8:9], 2, v[8:9]
	s_delay_alu instid0(VALU_DEP_1) | instskip(NEXT) | instid1(VALU_DEP_1)
	v_add_co_u32 v8, s4, s4, v8
	v_add_co_ci_u32_e64 v9, s4, s5, v9, s4
	v_add_co_u32 v17, s5, 0x80, v17
	s_delay_alu instid0(VALU_DEP_3) | instskip(NEXT) | instid1(VALU_DEP_1)
	v_add_co_u32 v38, s4, v8, v12
	v_add_co_ci_u32_e64 v39, s4, 0, v9, s4
	v_cmp_gt_i32_e64 s4, s18, v10
	v_add_co_ci_u32_e64 v18, s5, 0, v18, s5
	v_cndmask_b32_e32 v17, 0, v17, vcc_lo
	s_delay_alu instid0(VALU_DEP_3) | instskip(SKIP_1) | instid1(VALU_DEP_4)
	v_cndmask_b32_e64 v9, s7, v39, s4
	v_cndmask_b32_e64 v8, 0, v38, s4
	v_cndmask_b32_e32 v18, s7, v18, vcc_lo
	s_waitcnt vmcnt(0) lgkmcnt(0)
	ds_store_b128 v35, v[4:7] offset:2304
	flat_load_b128 v[4:7], v[8:9]
	v_dual_mov_b32 v9, 0 :: v_dual_lshlrev_b32 v8, 8, v27
	s_waitcnt vmcnt(0) lgkmcnt(0)
	ds_store_b128 v35, v[4:7] offset:3456
	s_waitcnt lgkmcnt(0)
	s_waitcnt_vscnt null, 0x0
	s_barrier
	buffer_gl0_inv
	ds_load_b128 v[4:7], v33
	ds_load_b128 v[10:13], v8 offset:4608
	s_waitcnt lgkmcnt(0)
	;;#ASMSTART
	v_dot2_f32_f16 v9, v4, v10, v9
	;;#ASMEND
	;;#ASMSTART
	v_dot2_f32_f16 v9, v5, v11, v9
	;;#ASMEND
	;;#ASMSTART
	v_dot2_f32_f16 v9, v6, v12, v9
	;;#ASMEND
	;;#ASMSTART
	v_dot2_f32_f16 v9, v7, v13, v9
	;;#ASMEND
	ds_load_b128 v[4:7], v33 offset:16
	ds_load_b128 v[10:13], v8 offset:4624
	s_waitcnt lgkmcnt(0)
	;;#ASMSTART
	v_dot2_f32_f16 v9, v4, v10, v9
	;;#ASMEND
	;;#ASMSTART
	v_dot2_f32_f16 v9, v5, v11, v9
	;;#ASMEND
	;;#ASMSTART
	v_dot2_f32_f16 v9, v6, v12, v9
	;;#ASMEND
	;;#ASMSTART
	v_dot2_f32_f16 v9, v7, v13, v9
	;;#ASMEND
	ds_load_b128 v[4:7], v33 offset:32
	ds_load_b128 v[10:13], v8 offset:4640
	s_waitcnt lgkmcnt(0)
	;;#ASMSTART
	v_dot2_f32_f16 v9, v4, v10, v9
	;;#ASMEND
	;;#ASMSTART
	v_dot2_f32_f16 v9, v5, v11, v9
	;;#ASMEND
	;;#ASMSTART
	v_dot2_f32_f16 v9, v6, v12, v9
	;;#ASMEND
	;;#ASMSTART
	v_dot2_f32_f16 v9, v7, v13, v9
	;;#ASMEND
	ds_load_b128 v[4:7], v33 offset:48
	ds_load_b128 v[10:13], v8 offset:4656
	s_waitcnt lgkmcnt(0)
	;;#ASMSTART
	v_dot2_f32_f16 v9, v4, v10, v9
	;;#ASMEND
	;;#ASMSTART
	v_dot2_f32_f16 v9, v5, v11, v9
	;;#ASMEND
	;;#ASMSTART
	v_dot2_f32_f16 v9, v6, v12, v9
	;;#ASMEND
	;;#ASMSTART
	v_dot2_f32_f16 v9, v7, v13, v9
	;;#ASMEND
	ds_load_b128 v[4:7], v33 offset:64
	ds_load_b128 v[10:13], v8 offset:4672
	s_waitcnt lgkmcnt(0)
	;;#ASMSTART
	v_dot2_f32_f16 v9, v4, v10, v9
	;;#ASMEND
	;;#ASMSTART
	v_dot2_f32_f16 v9, v5, v11, v9
	;;#ASMEND
	;;#ASMSTART
	v_dot2_f32_f16 v9, v6, v12, v9
	;;#ASMEND
	;;#ASMSTART
	v_dot2_f32_f16 v9, v7, v13, v9
	;;#ASMEND
	ds_load_b128 v[4:7], v33 offset:80
	ds_load_b128 v[10:13], v8 offset:4688
	s_waitcnt lgkmcnt(0)
	;;#ASMSTART
	v_dot2_f32_f16 v9, v4, v10, v9
	;;#ASMEND
	;;#ASMSTART
	v_dot2_f32_f16 v9, v5, v11, v9
	;;#ASMEND
	;;#ASMSTART
	v_dot2_f32_f16 v9, v6, v12, v9
	;;#ASMEND
	;;#ASMSTART
	v_dot2_f32_f16 v9, v7, v13, v9
	;;#ASMEND
	ds_load_b128 v[4:7], v33 offset:96
	ds_load_b128 v[10:13], v8 offset:4704
	s_waitcnt lgkmcnt(0)
	;;#ASMSTART
	v_dot2_f32_f16 v9, v4, v10, v9
	;;#ASMEND
	;;#ASMSTART
	v_dot2_f32_f16 v9, v5, v11, v9
	;;#ASMEND
	;;#ASMSTART
	v_dot2_f32_f16 v9, v6, v12, v9
	;;#ASMEND
	;;#ASMSTART
	v_dot2_f32_f16 v9, v7, v13, v9
	;;#ASMEND
	ds_load_b128 v[4:7], v33 offset:112
	ds_load_b128 v[10:13], v8 offset:4720
	s_waitcnt lgkmcnt(0)
	;;#ASMSTART
	v_dot2_f32_f16 v9, v4, v10, v9
	;;#ASMEND
	;;#ASMSTART
	v_dot2_f32_f16 v9, v5, v11, v9
	;;#ASMEND
	;; [unrolled: 3-line block ×4, first 2 shown]
	s_barrier
	buffer_gl0_inv
	s_clause 0x1
	scratch_store_b32 off, v3, off
	scratch_store_b96 off, v[14:16], off offset:4
	flat_load_b128 v[4:7], v[17:18]
	v_add_co_u32 v10, vcc_lo, 0x80, v19
	v_add_co_ci_u32_e32 v11, vcc_lo, 0, v34, vcc_lo
	s_clause 0x1
	scratch_store_b32 off, v3, off
	scratch_store_b96 off, v[14:16], off offset:4
	v_cndmask_b32_e64 v10, 0, v10, s2
	v_cndmask_b32_e64 v11, s7, v11, s2
	s_mov_b32 s2, exec_lo
	s_waitcnt vmcnt(0) lgkmcnt(0)
	ds_store_b128 v35, v[4:7]
	flat_load_b128 v[4:7], v[10:11]
	v_add_co_u32 v10, vcc_lo, 0x80, v36
	v_add_co_ci_u32_e32 v11, vcc_lo, 0, v37, vcc_lo
	s_clause 0x1
	scratch_store_b32 off, v3, off
	scratch_store_b96 off, v[14:16], off offset:4
	v_cndmask_b32_e64 v10, 0, v10, s3
	v_cndmask_b32_e64 v11, s7, v11, s3
	s_waitcnt vmcnt(0) lgkmcnt(0)
	ds_store_b128 v35, v[4:7] offset:1152
	flat_load_b128 v[4:7], v[10:11]
	v_add_co_u32 v10, vcc_lo, 0x80, v38
	v_add_co_ci_u32_e32 v11, vcc_lo, 0, v39, vcc_lo
	s_clause 0x1
	scratch_store_b32 off, v3, off
	scratch_store_b96 off, v[14:16], off offset:4
	v_cndmask_b32_e64 v10, 0, v10, s4
	v_cndmask_b32_e64 v11, s7, v11, s4
	s_waitcnt vmcnt(0) lgkmcnt(0)
	ds_store_b128 v35, v[4:7] offset:2304
	flat_load_b128 v[4:7], v[10:11]
	s_waitcnt vmcnt(0) lgkmcnt(0)
	ds_store_b128 v35, v[4:7] offset:3456
	s_waitcnt lgkmcnt(0)
	s_waitcnt_vscnt null, 0x0
	s_barrier
	buffer_gl0_inv
	ds_load_b128 v[4:7], v33
	ds_load_b128 v[10:13], v8 offset:4736
	s_waitcnt lgkmcnt(0)
	;;#ASMSTART
	v_dot2_f32_f16 v9, v4, v10, v9
	;;#ASMEND
	;;#ASMSTART
	v_dot2_f32_f16 v9, v5, v11, v9
	;;#ASMEND
	;;#ASMSTART
	v_dot2_f32_f16 v9, v6, v12, v9
	;;#ASMEND
	;;#ASMSTART
	v_dot2_f32_f16 v9, v7, v13, v9
	;;#ASMEND
	ds_load_b128 v[4:7], v33 offset:16
	ds_load_b128 v[10:13], v8 offset:4752
	s_waitcnt lgkmcnt(0)
	;;#ASMSTART
	v_dot2_f32_f16 v9, v4, v10, v9
	;;#ASMEND
	;;#ASMSTART
	v_dot2_f32_f16 v9, v5, v11, v9
	;;#ASMEND
	;;#ASMSTART
	v_dot2_f32_f16 v9, v6, v12, v9
	;;#ASMEND
	;;#ASMSTART
	v_dot2_f32_f16 v9, v7, v13, v9
	;;#ASMEND
	ds_load_b128 v[4:7], v33 offset:32
	ds_load_b128 v[10:13], v8 offset:4768
	s_waitcnt lgkmcnt(0)
	;;#ASMSTART
	v_dot2_f32_f16 v9, v4, v10, v9
	;;#ASMEND
	;;#ASMSTART
	v_dot2_f32_f16 v9, v5, v11, v9
	;;#ASMEND
	;;#ASMSTART
	v_dot2_f32_f16 v9, v6, v12, v9
	;;#ASMEND
	;;#ASMSTART
	v_dot2_f32_f16 v9, v7, v13, v9
	;;#ASMEND
	ds_load_b128 v[4:7], v33 offset:48
	ds_load_b128 v[10:13], v8 offset:4784
	s_waitcnt lgkmcnt(0)
	;;#ASMSTART
	v_dot2_f32_f16 v9, v4, v10, v9
	;;#ASMEND
	;;#ASMSTART
	v_dot2_f32_f16 v9, v5, v11, v9
	;;#ASMEND
	;;#ASMSTART
	v_dot2_f32_f16 v9, v6, v12, v9
	;;#ASMEND
	;;#ASMSTART
	v_dot2_f32_f16 v9, v7, v13, v9
	;;#ASMEND
	ds_load_b128 v[4:7], v33 offset:64
	ds_load_b128 v[10:13], v8 offset:4800
	s_waitcnt lgkmcnt(0)
	;;#ASMSTART
	v_dot2_f32_f16 v9, v4, v10, v9
	;;#ASMEND
	;;#ASMSTART
	v_dot2_f32_f16 v9, v5, v11, v9
	;;#ASMEND
	;;#ASMSTART
	v_dot2_f32_f16 v9, v6, v12, v9
	;;#ASMEND
	;;#ASMSTART
	v_dot2_f32_f16 v9, v7, v13, v9
	;;#ASMEND
	ds_load_b128 v[4:7], v33 offset:80
	ds_load_b128 v[10:13], v8 offset:4816
	s_waitcnt lgkmcnt(0)
	;;#ASMSTART
	v_dot2_f32_f16 v9, v4, v10, v9
	;;#ASMEND
	;;#ASMSTART
	v_dot2_f32_f16 v9, v5, v11, v9
	;;#ASMEND
	;;#ASMSTART
	v_dot2_f32_f16 v9, v6, v12, v9
	;;#ASMEND
	;;#ASMSTART
	v_dot2_f32_f16 v9, v7, v13, v9
	;;#ASMEND
	ds_load_b128 v[4:7], v33 offset:96
	ds_load_b128 v[10:13], v8 offset:4832
	s_waitcnt lgkmcnt(0)
	;;#ASMSTART
	v_dot2_f32_f16 v9, v4, v10, v9
	;;#ASMEND
	;;#ASMSTART
	v_dot2_f32_f16 v9, v5, v11, v9
	;;#ASMEND
	v_mov_b32_e32 v5, v2
	;;#ASMSTART
	v_dot2_f32_f16 v9, v6, v12, v9
	;;#ASMEND
	;;#ASMSTART
	v_dot2_f32_f16 v9, v7, v13, v9
	;;#ASMEND
	ds_load_b128 v[10:13], v33 offset:112
	ds_load_b128 v[14:17], v8 offset:4848
	s_waitcnt lgkmcnt(0)
	;;#ASMSTART
	v_dot2_f32_f16 v9, v10, v14, v9
	;;#ASMEND
	;;#ASMSTART
	v_dot2_f32_f16 v9, v11, v15, v9
	;;#ASMEND
	;; [unrolled: 3-line block ×4, first 2 shown]
	v_cmpx_gt_i32_e64 s18, v0
	s_cbranch_execz .LBB68_20
; %bb.17:
	s_cmp_eq_u64 s[40:41], 0
	s_cbranch_scc1 .LBB68_19
; %bb.18:
	v_mul_lo_u32 v3, v30, s16
	s_delay_alu instid0(VALU_DEP_1) | instskip(NEXT) | instid1(VALU_DEP_1)
	v_add3_u32 v3, v3, v0, s15
	v_ashrrev_i32_e32 v4, 31, v3
	s_delay_alu instid0(VALU_DEP_1) | instskip(NEXT) | instid1(VALU_DEP_1)
	v_lshlrev_b64 v[3:4], 1, v[3:4]
	v_add_co_u32 v3, vcc_lo, s40, v3
	s_delay_alu instid0(VALU_DEP_2) | instskip(SKIP_3) | instid1(VALU_DEP_1)
	v_add_co_ci_u32_e32 v4, vcc_lo, s41, v4, vcc_lo
	flat_load_u16 v3, v[3:4]
	s_waitcnt vmcnt(0) lgkmcnt(0)
	v_cvt_f32_f16_e32 v3, v3
	v_mul_f32_e32 v3, v29, v3
.LBB68_19:
	s_delay_alu instid0(VALU_DEP_1) | instskip(NEXT) | instid1(VALU_DEP_1)
	v_dual_add_f32 v9, v9, v3 :: v_dual_max_f32 v4, v2, v2
	v_add_f32_e32 v3, 0x40051340, v9
	s_delay_alu instid0(VALU_DEP_1)
	v_max_f32_e32 v5, v4, v3
.LBB68_20:
	s_or_b32 exec_lo, exec_lo, s2
	v_xor_b32_e32 v3, 16, v23
	s_mov_b32 s4, 0
	s_mul_hi_i32 s7, s15, s8
	s_mul_i32 s6, s15, s8
	s_mov_b32 s5, s4
	v_cmp_gt_i32_e32 vcc_lo, 32, v3
	s_lshl_b64 s[16:17], s[6:7], 2
	s_mov_b32 s6, s4
	v_lshl_add_u32 v30, v27, 1, v31
	s_mov_b64 s[2:3], src_private_base
	v_cndmask_b32_e32 v4, v23, v3, vcc_lo
	s_lshl_b32 s2, s8, 2
	s_add_u32 s7, s9, s16
	v_mul_lo_u32 v14, s8, v30
	s_addc_u32 s16, s13, s17
	v_lshlrev_b32_e32 v4, 2, v4
	v_lshlrev_b32_e32 v70, 2, v32
	v_add3_u32 v13, 0x1400, v22, v28
	s_barrier
	ds_bpermute_b32 v6, v4, v5
	v_xor_b32_e32 v4, 8, v23
	v_max_f32_e32 v5, v5, v5
	v_ashrrev_i32_e32 v15, 31, v14
	s_waitcnt lgkmcnt(0)
	buffer_gl0_inv
	v_add_nc_u32_e32 v72, 4, v30
	v_cmp_gt_i32_e32 vcc_lo, 32, v4
	v_lshl_or_b32 v73, v30, 8, v70
	v_lshlrev_b64 v[15:16], 2, v[14:15]
	v_add_nc_u32_e32 v74, 8, v30
	v_dual_cndmask_b32 v7, v23, v4 :: v_dual_add_nc_u32 v76, 12, v30
	v_mov_b32_e32 v71, 0
	v_dual_mov_b32 v65, s6 :: v_dual_mov_b32 v64, s5
	v_mov_b32_e32 v63, s4
	s_clause 0x1
	scratch_store_b32 off, v71, off
	scratch_store_b96 off, v[63:65], off offset:4
	v_dual_max_f32 v6, v6, v6 :: v_dual_lshlrev_b32 v7, 2, v7
	v_add_nc_u32_e32 v17, s2, v14
	s_delay_alu instid0(VALU_DEP_2) | instskip(SKIP_1) | instid1(VALU_DEP_3)
	v_dual_max_f32 v6, v5, v6 :: v_dual_add_nc_u32 v79, 0x800, v24
	v_xor_b32_e32 v5, 4, v23
	v_ashrrev_i32_e32 v18, 31, v17
	ds_bpermute_b32 v7, v7, v6
	v_cmp_gt_i32_e32 vcc_lo, 32, v5
	v_lshlrev_b64 v[18:19], 2, v[17:18]
	s_waitcnt lgkmcnt(0)
	v_max_f32_e32 v7, v7, v7
	s_delay_alu instid0(VALU_DEP_1) | instskip(NEXT) | instid1(VALU_DEP_1)
	v_dual_cndmask_b32 v8, v23, v5 :: v_dual_max_f32 v7, v6, v7
	v_lshlrev_b32_e32 v8, 2, v8
	v_xor_b32_e32 v6, 2, v23
	ds_bpermute_b32 v8, v8, v7
	v_cmp_gt_i32_e32 vcc_lo, 32, v6
	v_cndmask_b32_e32 v10, v23, v6, vcc_lo
	s_waitcnt lgkmcnt(0)
	v_max_f32_e32 v8, v8, v8
	s_delay_alu instid0(VALU_DEP_1) | instskip(SKIP_1) | instid1(VALU_DEP_1)
	v_max_f32_e32 v8, v7, v8
	v_xor_b32_e32 v7, 1, v23
	v_cmp_gt_i32_e32 vcc_lo, 32, v7
	v_cndmask_b32_e32 v11, v23, v7, vcc_lo
	s_delay_alu instid0(VALU_DEP_1) | instskip(SKIP_4) | instid1(VALU_DEP_1)
	v_lshlrev_b32_e32 v11, 2, v11
	v_lshlrev_b32_e32 v10, 2, v10
	ds_bpermute_b32 v10, v10, v8
	s_waitcnt lgkmcnt(0)
	v_max_f32_e32 v10, v10, v10
	v_max_f32_e32 v8, v8, v10
	ds_bpermute_b32 v10, v11, v8
	s_waitcnt lgkmcnt(0)
	v_max_f32_e32 v10, v10, v10
	s_delay_alu instid0(VALU_DEP_1) | instskip(NEXT) | instid1(VALU_DEP_1)
	v_max_f32_e32 v8, v8, v10
	v_sub_f32_e32 v9, v9, v8
	v_sub_f32_e32 v2, v2, v8
	s_delay_alu instid0(VALU_DEP_2) | instskip(SKIP_1) | instid1(VALU_DEP_2)
	v_mul_f32_e32 v10, 0x3fb8aa3b, v9
	v_cmp_ngt_f32_e32 vcc_lo, 0xc2ce8ed0, v9
	v_fma_f32 v11, 0x3fb8aa3b, v9, -v10
	v_rndne_f32_e32 v12, v10
	s_delay_alu instid0(VALU_DEP_1) | instskip(NEXT) | instid1(VALU_DEP_1)
	v_dual_fmac_f32 v11, 0x32a5705f, v9 :: v_dual_sub_f32 v10, v10, v12
	v_add_f32_e32 v10, v10, v11
	v_cvt_i32_f32_e32 v11, v12
	s_delay_alu instid0(VALU_DEP_2) | instskip(SKIP_2) | instid1(VALU_DEP_1)
	v_exp_f32_e32 v10, v10
	s_waitcnt_depctr 0xfff
	v_ldexp_f32 v10, v10, v11
	v_cndmask_b32_e32 v10, 0, v10, vcc_lo
	v_add_co_u32 v11, vcc_lo, s7, v15
	v_add_co_ci_u32_e32 v12, vcc_lo, s16, v16, vcc_lo
	v_cmp_nlt_f32_e32 vcc_lo, 0x42b17218, v9
	s_delay_alu instid0(VALU_DEP_4) | instskip(NEXT) | instid1(VALU_DEP_4)
	v_cndmask_b32_e32 v9, 0x7f800000, v10, vcc_lo
	v_add_co_u32 v10, vcc_lo, v11, v70
	s_delay_alu instid0(VALU_DEP_4) | instskip(SKIP_1) | instid1(VALU_DEP_4)
	v_add_co_ci_u32_e32 v11, vcc_lo, 0, v12, vcc_lo
	v_cmp_gt_u32_e32 vcc_lo, s18, v0
	v_cndmask_b32_e32 v9, 0, v9, vcc_lo
	v_cmp_gt_i32_e32 vcc_lo, s18, v30
	s_delay_alu instid0(VALU_DEP_2)
	v_cvt_f16_f32_e32 v12, v9
	v_cndmask_b32_e32 v11, s3, v11, vcc_lo
	v_cndmask_b32_e32 v10, 0, v10, vcc_lo
	v_add_co_u32 v14, vcc_lo, s7, v18
	ds_store_b16 v13, v12
	v_add_co_ci_u32_e32 v27, vcc_lo, s16, v19, vcc_lo
	flat_load_b128 v[10:13], v[10:11]
	v_add_co_u32 v14, vcc_lo, v14, v70
	v_add_co_ci_u32_e32 v27, vcc_lo, 0, v27, vcc_lo
	v_cmp_gt_i32_e32 vcc_lo, s18, v72
	s_clause 0x1
	scratch_store_b32 off, v71, off
	scratch_store_b96 off, v[63:65], off offset:4
	v_cndmask_b32_e32 v28, s3, v27, vcc_lo
	v_cndmask_b32_e32 v27, 0, v14, vcc_lo
	s_waitcnt vmcnt(0) lgkmcnt(0)
	ds_store_b128 v73, v[10:13]
	flat_load_b128 v[10:13], v[27:28]
	v_add_nc_u32_e32 v27, s2, v17
	s_delay_alu instid0(VALU_DEP_1) | instskip(NEXT) | instid1(VALU_DEP_1)
	v_ashrrev_i32_e32 v28, 31, v27
	v_lshlrev_b64 v[66:67], 2, v[27:28]
	v_add_nc_u32_e32 v27, s2, v27
	s_clause 0x1
	scratch_store_b32 off, v71, off
	scratch_store_b96 off, v[63:65], off offset:4
	s_or_b32 s2, s15, 16
	s_delay_alu instid0(SALU_CYCLE_1) | instskip(SKIP_3) | instid1(VALU_DEP_2)
	s_mul_hi_i32 s5, s2, s8
	v_add_co_u32 v14, vcc_lo, s7, v66
	v_add_co_ci_u32_e32 v17, vcc_lo, s16, v67, vcc_lo
	s_mul_i32 s4, s2, s8
	v_add_co_u32 v14, vcc_lo, v14, v70
	s_delay_alu instid0(VALU_DEP_2) | instskip(SKIP_2) | instid1(SALU_CYCLE_1)
	v_add_co_ci_u32_e32 v17, vcc_lo, 0, v17, vcc_lo
	v_cmp_gt_i32_e32 vcc_lo, s18, v74
	s_lshl_b64 s[4:5], s[4:5], 2
	s_add_u32 s2, s9, s4
	s_addc_u32 s4, s13, s5
	v_cndmask_b32_e32 v29, s3, v17, vcc_lo
	v_lshl_or_b32 v75, v72, 8, v70
	v_cndmask_b32_e32 v28, 0, v14, vcc_lo
	v_lshl_or_b32 v77, v74, 8, v70
	v_lshl_or_b32 v78, v76, 8, v70
	s_waitcnt vmcnt(0) lgkmcnt(0)
	ds_store_b128 v75, v[10:13]
	flat_load_b128 v[10:13], v[28:29]
	v_ashrrev_i32_e32 v28, 31, v27
	s_clause 0x1
	scratch_store_b32 off, v71, off
	scratch_store_b96 off, v[63:65], off offset:4
	v_lshlrev_b64 v[68:69], 2, v[27:28]
	s_delay_alu instid0(VALU_DEP_1) | instskip(NEXT) | instid1(VALU_DEP_2)
	v_add_co_u32 v14, vcc_lo, s7, v68
	v_add_co_ci_u32_e32 v17, vcc_lo, s16, v69, vcc_lo
	s_delay_alu instid0(VALU_DEP_2) | instskip(NEXT) | instid1(VALU_DEP_2)
	v_add_co_u32 v14, vcc_lo, v14, v70
	v_add_co_ci_u32_e32 v17, vcc_lo, 0, v17, vcc_lo
	v_cmp_gt_i32_e32 vcc_lo, s18, v76
	s_add_i32 s18, s18, -16
	s_delay_alu instid0(VALU_DEP_2) | instskip(SKIP_3) | instid1(VALU_DEP_2)
	v_cndmask_b32_e32 v28, s3, v17, vcc_lo
	v_cndmask_b32_e32 v27, 0, v14, vcc_lo
	v_add_co_u32 v14, vcc_lo, s2, v15
	v_add_co_ci_u32_e32 v15, vcc_lo, s4, v16, vcc_lo
	v_add_co_u32 v14, vcc_lo, v14, v70
	s_delay_alu instid0(VALU_DEP_2) | instskip(SKIP_1) | instid1(VALU_DEP_2)
	v_add_co_ci_u32_e32 v15, vcc_lo, 0, v15, vcc_lo
	v_cmp_gt_i32_e32 vcc_lo, s18, v30
	v_cndmask_b32_e32 v60, s3, v15, vcc_lo
	s_delay_alu instid0(VALU_DEP_4) | instskip(SKIP_2) | instid1(VALU_DEP_2)
	v_cndmask_b32_e32 v59, 0, v14, vcc_lo
	v_add_co_u32 v18, vcc_lo, s2, v18
	v_add_co_ci_u32_e32 v19, vcc_lo, s4, v19, vcc_lo
	v_add_co_u32 v18, vcc_lo, v18, v70
	s_delay_alu instid0(VALU_DEP_2) | instskip(SKIP_1) | instid1(VALU_DEP_2)
	v_add_co_ci_u32_e32 v19, vcc_lo, 0, v19, vcc_lo
	v_cmp_gt_i32_e32 vcc_lo, s18, v72
	v_cndmask_b32_e32 v19, s3, v19, vcc_lo
	s_delay_alu instid0(VALU_DEP_4)
	v_cndmask_b32_e32 v18, 0, v18, vcc_lo
	s_waitcnt vmcnt(0) lgkmcnt(0)
	ds_store_b128 v77, v[10:13]
	flat_load_b128 v[10:13], v[27:28]
	s_waitcnt vmcnt(0) lgkmcnt(0)
	ds_store_b128 v78, v[10:13]
	s_waitcnt lgkmcnt(0)
	s_waitcnt_vscnt null, 0x0
	s_barrier
	buffer_gl0_inv
	ds_load_2addr_b64 v[10:13], v24 offset1:32
	ds_load_b128 v[14:17], v22 offset:5120
	ds_load_b128 v[27:30], v22 offset:5136
	ds_load_2addr_b64 v[31:34], v24 offset0:64 offset1:96
	ds_load_2addr_b64 v[35:38], v24 offset0:128 offset1:160
	;; [unrolled: 1-line block ×3, first 2 shown]
	ds_load_2addr_b64 v[43:46], v79 offset1:32
	ds_load_2addr_b64 v[47:50], v79 offset0:64 offset1:96
	ds_load_2addr_b64 v[51:54], v79 offset0:128 offset1:160
	;; [unrolled: 1-line block ×3, first 2 shown]
	s_waitcnt lgkmcnt(0)
	s_barrier
	buffer_gl0_inv
	s_clause 0x1
	scratch_store_b32 off, v71, off
	scratch_store_b96 off, v[63:65], off offset:4
	flat_load_b128 v[59:62], v[59:60]
	s_clause 0x1
	scratch_store_b32 off, v71, off
	scratch_store_b96 off, v[63:65], off offset:4
	v_pk_mul_f16 v10, v10, v14 op_sel_hi:[1,0]
	v_pk_mul_f16 v11, v11, v14 op_sel_hi:[1,0]
	s_waitcnt vmcnt(0) lgkmcnt(0)
	ds_store_b128 v73, v[59:62]
	flat_load_b128 v[59:62], v[18:19]
	v_add_co_u32 v18, vcc_lo, s2, v66
	v_add_co_ci_u32_e32 v19, vcc_lo, s4, v67, vcc_lo
	s_clause 0x1
	scratch_store_b32 off, v71, off
	scratch_store_b96 off, v[63:65], off offset:4
	v_add_co_u32 v18, vcc_lo, v18, v70
	v_add_co_ci_u32_e32 v19, vcc_lo, 0, v19, vcc_lo
	v_cmp_gt_i32_e32 vcc_lo, s18, v74
	s_delay_alu instid0(VALU_DEP_2) | instskip(NEXT) | instid1(VALU_DEP_4)
	v_cndmask_b32_e32 v19, s3, v19, vcc_lo
	v_cndmask_b32_e32 v18, 0, v18, vcc_lo
	s_waitcnt vmcnt(0) lgkmcnt(0)
	ds_store_b128 v75, v[59:62]
	flat_load_b128 v[59:62], v[18:19]
	v_add_co_u32 v18, vcc_lo, s2, v68
	v_add_co_ci_u32_e32 v19, vcc_lo, s4, v69, vcc_lo
	s_clause 0x1
	scratch_store_b32 off, v71, off
	scratch_store_b96 off, v[63:65], off offset:4
	v_add_co_u32 v18, vcc_lo, v18, v70
	v_add_co_ci_u32_e32 v19, vcc_lo, 0, v19, vcc_lo
	v_cmp_gt_i32_e32 vcc_lo, s18, v76
	s_delay_alu instid0(VALU_DEP_2) | instskip(NEXT) | instid1(VALU_DEP_4)
	v_cndmask_b32_e32 v19, s3, v19, vcc_lo
	v_cndmask_b32_e32 v18, 0, v18, vcc_lo
	v_cmp_ngt_f32_e32 vcc_lo, 0xc2ce8ed0, v2
	s_waitcnt vmcnt(0) lgkmcnt(0)
	ds_store_b128 v77, v[59:62]
	flat_load_b128 v[59:62], v[18:19]
	v_mul_f32_e32 v18, 0x3fb8aa3b, v2
	s_delay_alu instid0(VALU_DEP_1) | instskip(SKIP_1) | instid1(VALU_DEP_1)
	v_fma_f32 v19, 0x3fb8aa3b, v2, -v18
	v_rndne_f32_e32 v63, v18
	v_dual_fmac_f32 v19, 0x32a5705f, v2 :: v_dual_sub_f32 v18, v18, v63
	s_delay_alu instid0(VALU_DEP_1) | instskip(SKIP_1) | instid1(VALU_DEP_2)
	v_add_f32_e32 v18, v18, v19
	v_cvt_i32_f32_e32 v19, v63
	v_exp_f32_e32 v18, v18
	s_waitcnt_depctr 0xfff
	v_ldexp_f32 v18, v18, v19
	s_delay_alu instid0(VALU_DEP_1) | instskip(SKIP_1) | instid1(VALU_DEP_2)
	v_cndmask_b32_e32 v18, 0, v18, vcc_lo
	v_cmp_nlt_f32_e32 vcc_lo, 0x42b17218, v2
	v_cndmask_b32_e32 v18, 0x7f800000, v18, vcc_lo
	s_delay_alu instid0(VALU_DEP_1) | instskip(SKIP_1) | instid1(VALU_DEP_2)
	v_cvt_f16_f32_e32 v2, v18
	v_fma_f32 v21, v21, v18, v9
	v_pk_fma_f16 v10, v25, v2, v10 op_sel_hi:[1,0,1]
	v_pk_fma_f16 v2, v26, v2, v11 op_sel_hi:[1,0,1]
	s_delay_alu instid0(VALU_DEP_2) | instskip(NEXT) | instid1(VALU_DEP_2)
	v_pk_fma_f16 v10, v12, v14, v10 op_sel:[0,1,0]
	v_pk_fma_f16 v2, v13, v14, v2 op_sel:[0,1,0]
	s_delay_alu instid0(VALU_DEP_2) | instskip(NEXT) | instid1(VALU_DEP_2)
	v_pk_fma_f16 v10, v31, v15, v10 op_sel_hi:[1,0,1]
	v_pk_fma_f16 v2, v32, v15, v2 op_sel_hi:[1,0,1]
	s_delay_alu instid0(VALU_DEP_2) | instskip(NEXT) | instid1(VALU_DEP_2)
	v_pk_fma_f16 v10, v33, v15, v10 op_sel:[0,1,0]
	v_pk_fma_f16 v2, v34, v15, v2 op_sel:[0,1,0]
	s_delay_alu instid0(VALU_DEP_2) | instskip(NEXT) | instid1(VALU_DEP_2)
	;; [unrolled: 6-line block ×7, first 2 shown]
	v_pk_fma_f16 v19, v55, v30, v19 op_sel_hi:[1,0,1]
	v_pk_fma_f16 v2, v56, v30, v2 op_sel_hi:[1,0,1]
	s_delay_alu instid0(VALU_DEP_2) | instskip(NEXT) | instid1(VALU_DEP_2)
	v_pk_fma_f16 v19, v57, v30, v19 op_sel:[0,1,0]
	v_pk_fma_f16 v2, v58, v30, v2 op_sel:[0,1,0]
	s_waitcnt vmcnt(0) lgkmcnt(0)
	ds_store_b128 v78, v[59:62]
	s_waitcnt lgkmcnt(0)
	s_waitcnt_vscnt null, 0x0
	s_barrier
	buffer_gl0_inv
	ds_load_2addr_b64 v[10:13], v24 offset1:32
	ds_load_b128 v[14:17], v22 offset:5152
	ds_load_2addr_b64 v[25:28], v24 offset0:64 offset1:96
	ds_load_b128 v[29:32], v22 offset:5168
	ds_load_2addr_b64 v[33:36], v24 offset0:128 offset1:160
	s_waitcnt lgkmcnt(3)
	v_pk_fma_f16 v10, v10, v14, v19 op_sel_hi:[1,0,1]
	v_pk_fma_f16 v2, v11, v14, v2 op_sel_hi:[1,0,1]
	s_delay_alu instid0(VALU_DEP_2) | instskip(NEXT) | instid1(VALU_DEP_2)
	v_pk_fma_f16 v19, v12, v14, v10 op_sel:[0,1,0]
	v_pk_fma_f16 v2, v13, v14, v2 op_sel:[0,1,0]
	ds_load_2addr_b64 v[10:13], v24 offset0:192 offset1:224
	s_waitcnt lgkmcnt(3)
	v_pk_fma_f16 v14, v25, v15, v19 op_sel_hi:[1,0,1]
	v_pk_fma_f16 v2, v26, v15, v2 op_sel_hi:[1,0,1]
	s_delay_alu instid0(VALU_DEP_2) | instskip(NEXT) | instid1(VALU_DEP_2)
	v_pk_fma_f16 v14, v27, v15, v14 op_sel:[0,1,0]
	v_pk_fma_f16 v2, v28, v15, v2 op_sel:[0,1,0]
	ds_load_2addr_b64 v[24:27], v79 offset1:32
	s_waitcnt lgkmcnt(2)
	v_pk_fma_f16 v14, v33, v16, v14 op_sel_hi:[1,0,1]
	v_pk_fma_f16 v2, v34, v16, v2 op_sel_hi:[1,0,1]
	s_delay_alu instid0(VALU_DEP_2) | instskip(NEXT) | instid1(VALU_DEP_2)
	v_pk_fma_f16 v14, v35, v16, v14 op_sel:[0,1,0]
	v_pk_fma_f16 v2, v36, v16, v2 op_sel:[0,1,0]
	ds_load_2addr_b64 v[33:36], v79 offset0:64 offset1:96
	s_waitcnt lgkmcnt(2)
	v_pk_fma_f16 v10, v10, v17, v14 op_sel_hi:[1,0,1]
	v_pk_fma_f16 v2, v11, v17, v2 op_sel_hi:[1,0,1]
	s_delay_alu instid0(VALU_DEP_2) | instskip(NEXT) | instid1(VALU_DEP_2)
	v_pk_fma_f16 v14, v12, v17, v10 op_sel:[0,1,0]
	v_pk_fma_f16 v2, v13, v17, v2 op_sel:[0,1,0]
	ds_load_2addr_b64 v[10:13], v79 offset0:128 offset1:160
	;; [unrolled: 7-line block ×3, first 2 shown]
	s_waitcnt lgkmcnt(0)
	s_barrier
	v_pk_fma_f16 v19, v33, v30, v19 op_sel_hi:[1,0,1]
	v_pk_fma_f16 v2, v34, v30, v2 op_sel_hi:[1,0,1]
	buffer_gl0_inv
	v_pk_fma_f16 v19, v35, v30, v19 op_sel:[0,1,0]
	v_pk_fma_f16 v2, v36, v30, v2 op_sel:[0,1,0]
	s_delay_alu instid0(VALU_DEP_2) | instskip(NEXT) | instid1(VALU_DEP_2)
	v_pk_fma_f16 v10, v10, v31, v19 op_sel_hi:[1,0,1]
	v_pk_fma_f16 v2, v11, v31, v2 op_sel_hi:[1,0,1]
	s_delay_alu instid0(VALU_DEP_2) | instskip(NEXT) | instid1(VALU_DEP_2)
	v_pk_fma_f16 v10, v12, v31, v10 op_sel:[0,1,0]
	v_pk_fma_f16 v2, v13, v31, v2 op_sel:[0,1,0]
	s_delay_alu instid0(VALU_DEP_2) | instskip(SKIP_1) | instid1(VALU_DEP_3)
	v_pk_fma_f16 v11, v14, v32, v10 op_sel_hi:[1,0,1]
	v_mov_b32_e32 v10, 32
	v_pk_fma_f16 v12, v15, v32, v2 op_sel_hi:[1,0,1]
	v_mov_b32_e32 v2, v8
	v_mov_b32_e32 v8, v23
	v_pk_fma_f16 v25, v16, v32, v11 op_sel:[0,1,0]
	s_delay_alu instid0(VALU_DEP_4)
	v_pk_fma_f16 v26, v17, v32, v12 op_sel:[0,1,0]
.LBB68_21:
	v_cmp_lt_i32_e32 vcc_lo, v3, v10
	s_cmp_eq_u64 s[24:25], 0
	s_cselect_b32 s2, -1, 0
	s_cmp_lg_u32 s14, 0
	v_cndmask_b32_e32 v3, v8, v3, vcc_lo
	v_cmp_lt_i32_e32 vcc_lo, v4, v10
	s_cselect_b32 s3, -1, 0
	s_delay_alu instid0(SALU_CYCLE_1) | instskip(SKIP_2) | instid1(VALU_DEP_2)
	s_or_b32 s2, s3, s2
	v_cndmask_b32_e32 v4, v8, v4, vcc_lo
	v_cmp_lt_i32_e32 vcc_lo, v5, v10
	v_lshlrev_b32_e32 v4, 2, v4
	v_lshlrev_b32_e32 v3, 2, v3
	v_cndmask_b32_e32 v5, v8, v5, vcc_lo
	v_cmp_lt_i32_e32 vcc_lo, v6, v10
	ds_bpermute_b32 v3, v3, v21
	v_lshlrev_b32_e32 v5, 2, v5
	s_waitcnt lgkmcnt(0)
	v_add_f32_e32 v3, v21, v3
	ds_bpermute_b32 v4, v4, v3
	s_waitcnt lgkmcnt(0)
	v_add_f32_e32 v3, v3, v4
	ds_bpermute_b32 v4, v5, v3
	v_cndmask_b32_e32 v5, v8, v6, vcc_lo
	v_cmp_lt_i32_e32 vcc_lo, v7, v10
	s_delay_alu instid0(VALU_DEP_2)
	v_lshlrev_b32_e32 v5, 2, v5
	s_waitcnt lgkmcnt(0)
	v_add_f32_e32 v3, v3, v4
	ds_bpermute_b32 v4, v5, v3
	v_cndmask_b32_e32 v5, v8, v7, vcc_lo
	s_and_b32 vcc_lo, exec_lo, s2
	s_delay_alu instid0(VALU_DEP_1)
	v_lshlrev_b32_e32 v5, 2, v5
	s_waitcnt lgkmcnt(0)
	v_add_f32_e32 v3, v3, v4
	ds_bpermute_b32 v4, v5, v3
	s_waitcnt lgkmcnt(0)
	v_add_f32_e32 v3, v3, v4
	s_cbranch_vccnz .LBB68_23
; %bb.22:
	s_lshl_b64 s[2:3], s[34:35], 2
	v_dual_mov_b32 v4, 0 :: v_dual_max_f32 v5, v2, v2
	s_add_u32 s2, s24, s2
	s_addc_u32 s3, s25, s3
	global_load_b32 v4, v4, s[2:3]
	s_waitcnt vmcnt(0)
	v_max_f32_e32 v6, v4, v4
	s_delay_alu instid0(VALU_DEP_1) | instskip(NEXT) | instid1(VALU_DEP_1)
	v_max_f32_e32 v5, v5, v6
	v_sub_f32_e32 v2, v2, v5
	s_delay_alu instid0(VALU_DEP_1) | instskip(NEXT) | instid1(VALU_DEP_1)
	v_mul_f32_e32 v6, 0x3fb8aa3b, v2
	v_rndne_f32_e32 v9, v6
	v_fma_f32 v8, 0x3fb8aa3b, v2, -v6
	s_delay_alu instid0(VALU_DEP_2) | instskip(SKIP_1) | instid1(VALU_DEP_1)
	v_sub_f32_e32 v6, v6, v9
	v_sub_f32_e32 v4, v4, v5
	v_mul_f32_e32 v7, 0x3fb8aa3b, v4
	s_delay_alu instid0(VALU_DEP_4) | instskip(SKIP_1) | instid1(VALU_DEP_3)
	v_fmac_f32_e32 v8, 0x32a5705f, v2
	v_cmp_ngt_f32_e32 vcc_lo, 0xc2ce8ed0, v2
	v_fma_f32 v10, 0x3fb8aa3b, v4, -v7
	v_rndne_f32_e32 v11, v7
	s_delay_alu instid0(VALU_DEP_4) | instskip(SKIP_1) | instid1(VALU_DEP_3)
	v_add_f32_e32 v6, v6, v8
	v_cvt_i32_f32_e32 v8, v9
	v_dual_fmac_f32 v10, 0x32a5705f, v4 :: v_dual_sub_f32 v7, v7, v11
	s_delay_alu instid0(VALU_DEP_3) | instskip(SKIP_1) | instid1(VALU_DEP_2)
	v_exp_f32_e32 v6, v6
	v_cvt_i32_f32_e32 v9, v11
	v_add_f32_e32 v7, v7, v10
	s_delay_alu instid0(VALU_DEP_1) | instskip(SKIP_2) | instid1(VALU_DEP_1)
	v_exp_f32_e32 v7, v7
	s_waitcnt_depctr 0xfff
	v_ldexp_f32 v6, v6, v8
	v_cndmask_b32_e32 v6, 0, v6, vcc_lo
	v_cmp_ngt_f32_e32 vcc_lo, 0xc2ce8ed0, v4
	v_ldexp_f32 v7, v7, v9
	s_delay_alu instid0(VALU_DEP_1) | instskip(SKIP_3) | instid1(VALU_DEP_2)
	v_cndmask_b32_e32 v7, 0, v7, vcc_lo
	v_cmp_nlt_f32_e32 vcc_lo, 0x42b17218, v2
	v_cndmask_b32_e32 v2, 0x7f800000, v6, vcc_lo
	v_cmp_nlt_f32_e32 vcc_lo, 0x42b17218, v4
	v_cvt_f16_f32_e32 v6, v2
	v_cndmask_b32_e32 v4, 0x7f800000, v7, vcc_lo
	s_delay_alu instid0(VALU_DEP_2) | instskip(NEXT) | instid1(VALU_DEP_2)
	v_pk_mul_f16 v25, v6, v25 op_sel_hi:[0,1]
	v_fmac_f32_e32 v4, v3, v2
	v_pk_mul_f16 v26, v6, v26 op_sel_hi:[0,1]
	s_delay_alu instid0(VALU_DEP_2)
	v_dual_mov_b32 v2, v5 :: v_dual_mov_b32 v3, v4
.LBB68_23:
	s_mov_b32 s2, exec_lo
	v_cmpx_gt_i32_e64 s10, v1
	s_cbranch_execz .LBB68_26
; %bb.24:
	s_delay_alu instid0(VALU_DEP_2) | instskip(SKIP_2) | instid1(VALU_DEP_2)
	v_div_scale_f32 v8, null, v3, v3, 1.0
	s_load_b32 s0, s[0:1], 0xd4
	v_div_scale_f32 v10, vcc_lo, 1.0, v3, 1.0
	v_rcp_f32_e32 v9, v8
	s_waitcnt_depctr 0xfff
	v_fma_f32 v4, -v8, v9, 1.0
	s_delay_alu instid0(VALU_DEP_1) | instskip(SKIP_4) | instid1(VALU_DEP_1)
	v_fmac_f32_e32 v9, v4, v9
	v_mad_u64_u32 v[4:5], null, s12, s10, v[1:2]
	s_waitcnt lgkmcnt(0)
	s_cmp_lg_u32 s0, 1
	s_cselect_b32 s1, -1, 0
	v_mad_u64_u32 v[6:7], null, v4, s11, s[34:35]
	v_cvt_f32_f16_e32 v7, v25
	s_delay_alu instid0(VALU_DEP_2) | instskip(SKIP_1) | instid1(VALU_DEP_1)
	v_mad_u64_u32 v[4:5], null, s0, v6, s[14:15]
	v_dual_mov_b32 v6, 0 :: v_dual_mul_f32 v11, v10, v9
	v_fma_f32 v1, -v8, v11, v10
	s_delay_alu instid0(VALU_DEP_3) | instskip(NEXT) | instid1(VALU_DEP_2)
	v_lshl_add_u32 v5, v4, 7, v20
	v_fmac_f32_e32 v11, v1, v9
	s_delay_alu instid0(VALU_DEP_1) | instskip(SKIP_2) | instid1(VALU_DEP_3)
	v_fma_f32 v1, -v8, v11, v10
	v_lshrrev_b32_e32 v8, 16, v25
	v_lshrrev_b32_e32 v10, 16, v26
	v_div_fmas_f32 v1, v1, v9, v11
	v_cmp_eq_u32_e32 vcc_lo, 0, v0
	v_cvt_f32_f16_e32 v9, v26
	v_cvt_f32_f16_e32 v8, v8
	;; [unrolled: 1-line block ×3, first 2 shown]
	v_div_fixup_f32 v1, v1, v3, 1.0
	s_delay_alu instid0(VALU_DEP_1) | instskip(SKIP_1) | instid1(VALU_DEP_2)
	v_cndmask_b32_e64 v11, v1, 1.0, s1
	v_lshlrev_b64 v[0:1], 2, v[5:6]
	v_mul_f32_e32 v5, v11, v7
	v_mul_f32_e32 v6, v11, v8
	s_delay_alu instid0(VALU_DEP_3)
	v_add_co_u32 v0, s0, s28, v0
	v_mul_f32_e32 v7, v11, v9
	v_mul_f32_e32 v8, v11, v10
	v_add_co_ci_u32_e64 v1, s0, s29, v1, s0
	s_and_b32 s0, vcc_lo, s1
	global_store_b128 v[0:1], v[5:8], off
	s_and_b32 exec_lo, exec_lo, s0
	s_cbranch_execz .LBB68_26
; %bb.25:
	v_ashrrev_i32_e32 v5, 31, v4
	s_delay_alu instid0(VALU_DEP_1) | instskip(NEXT) | instid1(VALU_DEP_1)
	v_lshlrev_b64 v[0:1], 3, v[4:5]
	v_add_co_u32 v0, vcc_lo, s30, v0
	s_delay_alu instid0(VALU_DEP_2)
	v_add_co_ci_u32_e32 v1, vcc_lo, s31, v1, vcc_lo
	global_store_b64 v[0:1], v[2:3], off
.LBB68_26:
	s_nop 0
	s_sendmsg sendmsg(MSG_DEALLOC_VGPRS)
	s_endpgm
	.section	.rodata,"a",@progbits
	.p2align	6, 0x0
	.amdhsa_kernel _ZL15flash_attn_tileILi128ELi128ELi2ELi1ELb0EEvPKcS1_S1_S1_S1_PKiPfP15HIP_vector_typeIfLj2EEffffjfiS5_IjLj3EEiiiiiiiiiiiliiliiiiil
		.amdhsa_group_segment_fixed_size 5248
		.amdhsa_private_segment_fixed_size 32
		.amdhsa_kernarg_size 464
		.amdhsa_user_sgpr_count 13
		.amdhsa_user_sgpr_dispatch_ptr 0
		.amdhsa_user_sgpr_queue_ptr 0
		.amdhsa_user_sgpr_kernarg_segment_ptr 1
		.amdhsa_user_sgpr_dispatch_id 0
		.amdhsa_user_sgpr_private_segment_size 0
		.amdhsa_wavefront_size32 1
		.amdhsa_uses_dynamic_stack 0
		.amdhsa_enable_private_segment 1
		.amdhsa_system_sgpr_workgroup_id_x 1
		.amdhsa_system_sgpr_workgroup_id_y 1
		.amdhsa_system_sgpr_workgroup_id_z 1
		.amdhsa_system_sgpr_workgroup_info 0
		.amdhsa_system_vgpr_workitem_id 1
		.amdhsa_next_free_vgpr 112
		.amdhsa_next_free_sgpr 52
		.amdhsa_reserve_vcc 1
		.amdhsa_float_round_mode_32 0
		.amdhsa_float_round_mode_16_64 0
		.amdhsa_float_denorm_mode_32 3
		.amdhsa_float_denorm_mode_16_64 3
		.amdhsa_dx10_clamp 1
		.amdhsa_ieee_mode 1
		.amdhsa_fp16_overflow 0
		.amdhsa_workgroup_processor_mode 1
		.amdhsa_memory_ordered 1
		.amdhsa_forward_progress 0
		.amdhsa_shared_vgpr_count 0
		.amdhsa_exception_fp_ieee_invalid_op 0
		.amdhsa_exception_fp_denorm_src 0
		.amdhsa_exception_fp_ieee_div_zero 0
		.amdhsa_exception_fp_ieee_overflow 0
		.amdhsa_exception_fp_ieee_underflow 0
		.amdhsa_exception_fp_ieee_inexact 0
		.amdhsa_exception_int_div_zero 0
	.end_amdhsa_kernel
	.section	.text._ZL15flash_attn_tileILi128ELi128ELi2ELi1ELb0EEvPKcS1_S1_S1_S1_PKiPfP15HIP_vector_typeIfLj2EEffffjfiS5_IjLj3EEiiiiiiiiiiiliiliiiiil,"axG",@progbits,_ZL15flash_attn_tileILi128ELi128ELi2ELi1ELb0EEvPKcS1_S1_S1_S1_PKiPfP15HIP_vector_typeIfLj2EEffffjfiS5_IjLj3EEiiiiiiiiiiiliiliiiiil,comdat
.Lfunc_end68:
	.size	_ZL15flash_attn_tileILi128ELi128ELi2ELi1ELb0EEvPKcS1_S1_S1_S1_PKiPfP15HIP_vector_typeIfLj2EEffffjfiS5_IjLj3EEiiiiiiiiiiiliiliiiiil, .Lfunc_end68-_ZL15flash_attn_tileILi128ELi128ELi2ELi1ELb0EEvPKcS1_S1_S1_S1_PKiPfP15HIP_vector_typeIfLj2EEffffjfiS5_IjLj3EEiiiiiiiiiiiliiliiiiil
                                        ; -- End function
	.section	.AMDGPU.csdata,"",@progbits
; Kernel info:
; codeLenInByte = 12308
; NumSgprs: 54
; NumVgprs: 112
; ScratchSize: 32
; MemoryBound: 0
; FloatMode: 240
; IeeeMode: 1
; LDSByteSize: 5248 bytes/workgroup (compile time only)
; SGPRBlocks: 6
; VGPRBlocks: 13
; NumSGPRsForWavesPerEU: 54
; NumVGPRsForWavesPerEU: 112
; Occupancy: 12
; WaveLimiterHint : 1
; COMPUTE_PGM_RSRC2:SCRATCH_EN: 1
; COMPUTE_PGM_RSRC2:USER_SGPR: 13
; COMPUTE_PGM_RSRC2:TRAP_HANDLER: 0
; COMPUTE_PGM_RSRC2:TGID_X_EN: 1
; COMPUTE_PGM_RSRC2:TGID_Y_EN: 1
; COMPUTE_PGM_RSRC2:TGID_Z_EN: 1
; COMPUTE_PGM_RSRC2:TIDIG_COMP_CNT: 1
	.section	.text._ZL33flash_attn_stream_k_fixup_uniformILi128ELi2ELi1EEvPfPK15HIP_vector_typeIfLj2EEiiiiiiS1_IjLj3EES5_S5_,"axG",@progbits,_ZL33flash_attn_stream_k_fixup_uniformILi128ELi2ELi1EEvPfPK15HIP_vector_typeIfLj2EEiiiiiiS1_IjLj3EES5_S5_,comdat
	.globl	_ZL33flash_attn_stream_k_fixup_uniformILi128ELi2ELi1EEvPfPK15HIP_vector_typeIfLj2EEiiiiiiS1_IjLj3EES5_S5_ ; -- Begin function _ZL33flash_attn_stream_k_fixup_uniformILi128ELi2ELi1EEvPfPK15HIP_vector_typeIfLj2EEiiiiiiS1_IjLj3EES5_S5_
	.p2align	8
	.type	_ZL33flash_attn_stream_k_fixup_uniformILi128ELi2ELi1EEvPfPK15HIP_vector_typeIfLj2EEiiiiiiS1_IjLj3EES5_S5_,@function
_ZL33flash_attn_stream_k_fixup_uniformILi128ELi2ELi1EEvPfPK15HIP_vector_typeIfLj2EEiiiiiiS1_IjLj3EES5_S5_: ; @_ZL33flash_attn_stream_k_fixup_uniformILi128ELi2ELi1EEvPfPK15HIP_vector_typeIfLj2EEiiiiiiS1_IjLj3EES5_S5_
; %bb.0:
	s_clause 0x1
	s_load_b256 s[4:11], s[0:1], 0x1c
	s_load_b128 s[16:19], s[0:1], 0x3c
	s_waitcnt lgkmcnt(0)
	s_mul_hi_u32 s2, s7, s13
	s_delay_alu instid0(SALU_CYCLE_1) | instskip(NEXT) | instid1(SALU_CYCLE_1)
	s_add_i32 s2, s13, s2
	s_lshr_b32 s2, s2, s8
	s_delay_alu instid0(SALU_CYCLE_1) | instskip(SKIP_2) | instid1(SALU_CYCLE_1)
	s_mul_i32 s3, s2, s9
	s_load_b64 s[8:9], s[0:1], 0x10
	s_sub_i32 s7, s13, s3
	s_mul_hi_u32 s3, s7, s10
	s_delay_alu instid0(SALU_CYCLE_1) | instskip(NEXT) | instid1(SALU_CYCLE_1)
	s_add_i32 s3, s7, s3
	s_lshr_b32 s3, s3, s11
	s_delay_alu instid0(SALU_CYCLE_1) | instskip(NEXT) | instid1(SALU_CYCLE_1)
	s_mul_i32 s10, s3, s16
	s_sub_i32 s10, s7, s10
	s_delay_alu instid0(SALU_CYCLE_1) | instskip(NEXT) | instid1(SALU_CYCLE_1)
	s_mul_hi_u32 s7, s10, s17
	s_add_i32 s7, s10, s7
	s_delay_alu instid0(SALU_CYCLE_1) | instskip(NEXT) | instid1(SALU_CYCLE_1)
	s_lshr_b32 s7, s7, s18
	s_mul_i32 s11, s7, s19
	s_delay_alu instid0(SALU_CYCLE_1) | instskip(NEXT) | instid1(SALU_CYCLE_1)
	s_sub_i32 s10, s10, s11
	s_lshl_b32 s11, s10, 1
	s_delay_alu instid0(SALU_CYCLE_1) | instskip(SKIP_4) | instid1(SALU_CYCLE_1)
	s_add_i32 s11, s11, s14
	s_waitcnt lgkmcnt(0)
	s_cmp_lt_i32 s11, s8
	s_cselect_b32 s11, -1, 0
	s_add_i32 s12, s7, s15
	s_cmp_lt_i32 s12, s5
	s_cselect_b32 s12, -1, 0
	s_delay_alu instid0(SALU_CYCLE_1) | instskip(NEXT) | instid1(SALU_CYCLE_1)
	s_and_b32 s11, s11, s12
	s_and_not1_b32 vcc_lo, exec_lo, s11
	s_cbranch_vccnz .LBB69_6
; %bb.1:
	s_mul_i32 s2, s2, s8
	s_mul_i32 s5, s3, s5
	s_add_i32 s2, s2, s14
	s_delay_alu instid0(SALU_CYCLE_1) | instskip(NEXT) | instid1(SALU_CYCLE_1)
	s_mul_i32 s2, s2, s9
	s_add_i32 s8, s2, s15
	s_load_b128 s[0:3], s[0:1], 0x0
	s_add_i32 s5, s8, s5
	s_mul_i32 s8, s9, s10
	s_add_i32 s5, s5, s7
	s_lshl_b32 s7, s8, 8
	s_lshl_b32 s5, s5, 7
	s_add_i32 s10, s14, s15
	s_add_i32 s7, s7, s5
	s_mul_i32 s5, s13, s6
	v_or_b32_e32 v1, s7, v0
	s_add_i32 s9, s5, s6
	s_delay_alu instid0(VALU_DEP_1) | instskip(NEXT) | instid1(VALU_DEP_1)
	v_ashrrev_i32_e32 v2, 31, v1
	v_lshlrev_b64 v[1:2], 2, v[1:2]
	s_waitcnt lgkmcnt(0)
	s_delay_alu instid0(VALU_DEP_1) | instskip(NEXT) | instid1(VALU_DEP_2)
	v_add_co_u32 v1, vcc_lo, s0, v1
	v_add_co_ci_u32_e32 v2, vcc_lo, s1, v2, vcc_lo
	s_lshl_b32 s0, s9, 1
	s_delay_alu instid0(SALU_CYCLE_1) | instskip(SKIP_2) | instid1(SALU_CYCLE_1)
	s_add_i32 s0, s10, s0
	global_load_b32 v5, v[1:2], off
	s_add_i32 s0, s0, -2
	s_ashr_i32 s1, s0, 31
	s_delay_alu instid0(SALU_CYCLE_1) | instskip(NEXT) | instid1(SALU_CYCLE_1)
	s_lshl_b64 s[0:1], s[0:1], 3
	s_add_u32 s0, s2, s0
	s_addc_u32 s1, s3, s1
	s_add_i32 s7, s9, -2
	s_load_b32 s11, s[0:1], 0x4
	s_cmp_lt_i32 s7, s5
	s_cbranch_scc1 .LBB69_4
; %bb.2:
	s_lshl_b32 s14, s4, 3
	s_load_b32 s12, s[0:1], 0x0
	s_ashr_i32 s15, s14, 31
	s_delay_alu instid0(SALU_CYCLE_1) | instskip(NEXT) | instid1(SALU_CYCLE_1)
	s_lshl_b64 s[0:1], s[14:15], 2
	s_add_u32 s7, s2, s0
	s_addc_u32 s8, s3, s1
	s_add_i32 s13, s13, 1
	s_lshl_b32 s1, s10, 7
	s_mul_i32 s0, s6, s13
	s_delay_alu instid0(SALU_CYCLE_1)
	s_lshl_b32 s6, s0, 8
	s_lshl_b32 s0, s0, 1
	s_add_i32 s1, s1, s6
	s_add_i32 s0, s10, s0
	v_or_b32_e32 v0, s1, v0
	s_lshl_b32 s1, s4, 1
	s_waitcnt lgkmcnt(0)
	v_mov_b32_e32 v6, s11
	s_add_i32 s0, s0, s1
	s_add_i32 s4, s9, -1
	v_dual_mov_b32 v0, s12 :: v_dual_add_nc_u32 v3, 0xfffffe00, v0
	s_add_i32 s0, s0, -4
.LBB69_3:                               ; =>This Inner Loop Header: Depth=1
	s_delay_alu instid0(VALU_DEP_1) | instskip(SKIP_1) | instid1(SALU_CYCLE_1)
	v_ashrrev_i32_e32 v4, 31, v3
	s_ashr_i32 s1, s0, 31
	s_lshl_b64 s[10:11], s[0:1], 3
	s_delay_alu instid0(SALU_CYCLE_1) | instskip(NEXT) | instid1(VALU_DEP_1)
	s_add_u32 s10, s2, s10
	v_lshlrev_b64 v[7:8], 2, v[3:4]
	s_addc_u32 s11, s3, s11
	s_add_i32 s4, s4, -1
	s_add_i32 s0, s0, -2
	s_cmp_le_i32 s4, s5
	s_load_b64 s[10:11], s[10:11], 0x0
	v_add_co_u32 v7, vcc_lo, s7, v7
	v_add_co_ci_u32_e32 v8, vcc_lo, s8, v8, vcc_lo
	global_load_b32 v4, v[7:8], off
	v_max_f32_e32 v7, v0, v0
	s_waitcnt lgkmcnt(0)
	v_max_f32_e64 v8, s10, s10
	s_delay_alu instid0(VALU_DEP_1) | instskip(NEXT) | instid1(VALU_DEP_1)
	v_max_f32_e32 v7, v7, v8
	v_sub_f32_e32 v8, s10, v7
	s_delay_alu instid0(VALU_DEP_1) | instskip(NEXT) | instid1(VALU_DEP_1)
	v_dual_sub_f32 v0, v0, v7 :: v_dual_mul_f32 v9, 0x3fb8aa3b, v8
	v_fma_f32 v10, 0x3fb8aa3b, v8, -v9
	v_rndne_f32_e32 v11, v9
	s_delay_alu instid0(VALU_DEP_3) | instskip(NEXT) | instid1(VALU_DEP_2)
	v_mul_f32_e32 v12, 0x3fb8aa3b, v0
	v_dual_fmac_f32 v10, 0x32a5705f, v8 :: v_dual_sub_f32 v9, v9, v11
	v_cvt_i32_f32_e32 v11, v11
	s_delay_alu instid0(VALU_DEP_3) | instskip(SKIP_1) | instid1(VALU_DEP_4)
	v_fma_f32 v13, 0x3fb8aa3b, v0, -v12
	v_rndne_f32_e32 v14, v12
	v_add_f32_e32 v9, v9, v10
	v_cmp_ngt_f32_e32 vcc_lo, 0xc2ce8ed0, v8
	s_delay_alu instid0(VALU_DEP_3) | instskip(NEXT) | instid1(VALU_DEP_3)
	v_sub_f32_e32 v10, v12, v14
	v_exp_f32_e32 v9, v9
	s_waitcnt_depctr 0xfff
	v_ldexp_f32 v9, v9, v11
	v_cvt_i32_f32_e32 v11, v14
	s_delay_alu instid0(VALU_DEP_2) | instskip(SKIP_1) | instid1(VALU_DEP_2)
	v_cndmask_b32_e32 v9, 0, v9, vcc_lo
	v_cmp_nlt_f32_e32 vcc_lo, 0x42b17218, v8
	v_cndmask_b32_e32 v9, 0x7f800000, v9, vcc_lo
	v_cmp_ngt_f32_e32 vcc_lo, 0xc2ce8ed0, v0
	v_fmac_f32_e32 v13, 0x32a5705f, v0
	s_delay_alu instid0(VALU_DEP_1) | instskip(NEXT) | instid1(VALU_DEP_1)
	v_add_f32_e32 v10, v10, v13
	v_exp_f32_e32 v10, v10
	s_waitcnt_depctr 0xfff
	v_ldexp_f32 v10, v10, v11
	s_delay_alu instid0(VALU_DEP_1)
	v_dual_mov_b32 v11, v6 :: v_dual_cndmask_b32 v10, 0, v10
	v_cmp_le_f32_e32 vcc_lo, 0xc1a00000, v8
	s_waitcnt vmcnt(1)
	v_dual_cndmask_b32 v8, 0, v9 :: v_dual_mov_b32 v9, v5
	v_cmp_nlt_f32_e32 vcc_lo, 0x42b17218, v0
	v_cndmask_b32_e32 v5, 0x7f800000, v10, vcc_lo
	s_delay_alu instid0(VALU_DEP_3) | instskip(SKIP_2) | instid1(VALU_DEP_3)
	v_mul_f32_e32 v10, s11, v8
	v_cmp_le_f32_e32 vcc_lo, 0xc1a00000, v0
	v_mov_b32_e32 v0, v7
	v_mov_b32_e32 v6, v10
	s_waitcnt vmcnt(0)
	v_dual_cndmask_b32 v12, 0, v5 :: v_dual_mul_f32 v5, v4, v8
	s_delay_alu instid0(VALU_DEP_1) | instskip(NEXT) | instid1(VALU_DEP_2)
	v_dual_fmac_f32 v6, v11, v12 :: v_dual_add_nc_u32 v3, 0xffffff00, v3
	v_fmac_f32_e32 v5, v9, v12
	s_cbranch_scc0 .LBB69_3
	s_branch .LBB69_5
.LBB69_4:
	s_waitcnt lgkmcnt(0)
	v_mov_b32_e32 v6, s11
.LBB69_5:
	s_waitcnt vmcnt(0)
	s_delay_alu instid0(VALU_DEP_1) | instskip(NEXT) | instid1(VALU_DEP_1)
	v_div_scale_f32 v0, null, v6, v6, v5
	v_rcp_f32_e32 v3, v0
	s_waitcnt_depctr 0xfff
	v_fma_f32 v4, -v0, v3, 1.0
	s_delay_alu instid0(VALU_DEP_1) | instskip(SKIP_1) | instid1(VALU_DEP_1)
	v_fmac_f32_e32 v3, v4, v3
	v_div_scale_f32 v4, vcc_lo, v5, v6, v5
	v_mul_f32_e32 v7, v4, v3
	s_delay_alu instid0(VALU_DEP_1) | instskip(NEXT) | instid1(VALU_DEP_1)
	v_fma_f32 v8, -v0, v7, v4
	v_fmac_f32_e32 v7, v8, v3
	s_delay_alu instid0(VALU_DEP_1) | instskip(NEXT) | instid1(VALU_DEP_1)
	v_fma_f32 v0, -v0, v7, v4
	v_div_fmas_f32 v0, v0, v3, v7
	s_delay_alu instid0(VALU_DEP_1)
	v_div_fixup_f32 v0, v0, v6, v5
	global_store_b32 v[1:2], v0, off
.LBB69_6:
	s_nop 0
	s_sendmsg sendmsg(MSG_DEALLOC_VGPRS)
	s_endpgm
	.section	.rodata,"a",@progbits
	.p2align	6, 0x0
	.amdhsa_kernel _ZL33flash_attn_stream_k_fixup_uniformILi128ELi2ELi1EEvPfPK15HIP_vector_typeIfLj2EEiiiiiiS1_IjLj3EES5_S5_
		.amdhsa_group_segment_fixed_size 0
		.amdhsa_private_segment_fixed_size 0
		.amdhsa_kernarg_size 76
		.amdhsa_user_sgpr_count 13
		.amdhsa_user_sgpr_dispatch_ptr 0
		.amdhsa_user_sgpr_queue_ptr 0
		.amdhsa_user_sgpr_kernarg_segment_ptr 1
		.amdhsa_user_sgpr_dispatch_id 0
		.amdhsa_user_sgpr_private_segment_size 0
		.amdhsa_wavefront_size32 1
		.amdhsa_uses_dynamic_stack 0
		.amdhsa_enable_private_segment 0
		.amdhsa_system_sgpr_workgroup_id_x 1
		.amdhsa_system_sgpr_workgroup_id_y 1
		.amdhsa_system_sgpr_workgroup_id_z 1
		.amdhsa_system_sgpr_workgroup_info 0
		.amdhsa_system_vgpr_workitem_id 0
		.amdhsa_next_free_vgpr 15
		.amdhsa_next_free_sgpr 20
		.amdhsa_reserve_vcc 1
		.amdhsa_float_round_mode_32 0
		.amdhsa_float_round_mode_16_64 0
		.amdhsa_float_denorm_mode_32 3
		.amdhsa_float_denorm_mode_16_64 3
		.amdhsa_dx10_clamp 1
		.amdhsa_ieee_mode 1
		.amdhsa_fp16_overflow 0
		.amdhsa_workgroup_processor_mode 1
		.amdhsa_memory_ordered 1
		.amdhsa_forward_progress 0
		.amdhsa_shared_vgpr_count 0
		.amdhsa_exception_fp_ieee_invalid_op 0
		.amdhsa_exception_fp_denorm_src 0
		.amdhsa_exception_fp_ieee_div_zero 0
		.amdhsa_exception_fp_ieee_overflow 0
		.amdhsa_exception_fp_ieee_underflow 0
		.amdhsa_exception_fp_ieee_inexact 0
		.amdhsa_exception_int_div_zero 0
	.end_amdhsa_kernel
	.section	.text._ZL33flash_attn_stream_k_fixup_uniformILi128ELi2ELi1EEvPfPK15HIP_vector_typeIfLj2EEiiiiiiS1_IjLj3EES5_S5_,"axG",@progbits,_ZL33flash_attn_stream_k_fixup_uniformILi128ELi2ELi1EEvPfPK15HIP_vector_typeIfLj2EEiiiiiiS1_IjLj3EES5_S5_,comdat
.Lfunc_end69:
	.size	_ZL33flash_attn_stream_k_fixup_uniformILi128ELi2ELi1EEvPfPK15HIP_vector_typeIfLj2EEiiiiiiS1_IjLj3EES5_S5_, .Lfunc_end69-_ZL33flash_attn_stream_k_fixup_uniformILi128ELi2ELi1EEvPfPK15HIP_vector_typeIfLj2EEiiiiiiS1_IjLj3EES5_S5_
                                        ; -- End function
	.section	.AMDGPU.csdata,"",@progbits
; Kernel info:
; codeLenInByte = 976
; NumSgprs: 22
; NumVgprs: 15
; ScratchSize: 0
; MemoryBound: 0
; FloatMode: 240
; IeeeMode: 1
; LDSByteSize: 0 bytes/workgroup (compile time only)
; SGPRBlocks: 2
; VGPRBlocks: 1
; NumSGPRsForWavesPerEU: 22
; NumVGPRsForWavesPerEU: 15
; Occupancy: 16
; WaveLimiterHint : 0
; COMPUTE_PGM_RSRC2:SCRATCH_EN: 0
; COMPUTE_PGM_RSRC2:USER_SGPR: 13
; COMPUTE_PGM_RSRC2:TRAP_HANDLER: 0
; COMPUTE_PGM_RSRC2:TGID_X_EN: 1
; COMPUTE_PGM_RSRC2:TGID_Y_EN: 1
; COMPUTE_PGM_RSRC2:TGID_Z_EN: 1
; COMPUTE_PGM_RSRC2:TIDIG_COMP_CNT: 0
	.section	.text._ZL33flash_attn_stream_k_fixup_generalILi128ELi2ELi1EEvPfPK15HIP_vector_typeIfLj2EEiiiiS1_IjLj3EES5_S5_S5_,"axG",@progbits,_ZL33flash_attn_stream_k_fixup_generalILi128ELi2ELi1EEvPfPK15HIP_vector_typeIfLj2EEiiiiS1_IjLj3EES5_S5_S5_,comdat
	.globl	_ZL33flash_attn_stream_k_fixup_generalILi128ELi2ELi1EEvPfPK15HIP_vector_typeIfLj2EEiiiiS1_IjLj3EES5_S5_S5_ ; -- Begin function _ZL33flash_attn_stream_k_fixup_generalILi128ELi2ELi1EEvPfPK15HIP_vector_typeIfLj2EEiiiiS1_IjLj3EES5_S5_S5_
	.p2align	8
	.type	_ZL33flash_attn_stream_k_fixup_generalILi128ELi2ELi1EEvPfPK15HIP_vector_typeIfLj2EEiiiiS1_IjLj3EES5_S5_S5_,@function
_ZL33flash_attn_stream_k_fixup_generalILi128ELi2ELi1EEvPfPK15HIP_vector_typeIfLj2EEiiiiS1_IjLj3EES5_S5_S5_: ; @_ZL33flash_attn_stream_k_fixup_generalILi128ELi2ELi1EEvPfPK15HIP_vector_typeIfLj2EEiiiiS1_IjLj3EES5_S5_S5_
; %bb.0:
	s_clause 0x1
	s_load_b128 s[4:7], s[0:1], 0x10
	s_load_b32 s20, s[0:1], 0x50
	s_mov_b32 s2, 0
	s_waitcnt lgkmcnt(0)
	s_mul_hi_i32 s3, s7, s13
	s_mul_i32 s12, s7, s13
	s_cmp_lg_u64 s[2:3], 0
	s_cbranch_scc0 .LBB70_21
; %bb.1:
	v_cvt_f32_ubyte0_e32 v1, 0
	v_cvt_f32_u32_e32 v2, s20
	s_sub_u32 s10, 0, s20
	s_subb_u32 s11, 0, 0
	s_delay_alu instid0(VALU_DEP_1) | instskip(NEXT) | instid1(VALU_DEP_1)
	v_fmamk_f32 v1, v1, 0x4f800000, v2
	v_rcp_f32_e32 v1, v1
	s_waitcnt_depctr 0xfff
	v_mul_f32_e32 v1, 0x5f7ffffc, v1
	s_delay_alu instid0(VALU_DEP_1) | instskip(NEXT) | instid1(VALU_DEP_1)
	v_mul_f32_e32 v2, 0x2f800000, v1
	v_trunc_f32_e32 v2, v2
	s_delay_alu instid0(VALU_DEP_1) | instskip(SKIP_1) | instid1(VALU_DEP_2)
	v_fmamk_f32 v1, v2, 0xcf800000, v1
	v_cvt_u32_f32_e32 v2, v2
	v_cvt_u32_f32_e32 v1, v1
	s_delay_alu instid0(VALU_DEP_2) | instskip(NEXT) | instid1(VALU_DEP_2)
	v_readfirstlane_b32 s8, v2
	v_readfirstlane_b32 s9, v1
	s_delay_alu instid0(VALU_DEP_2) | instskip(NEXT) | instid1(VALU_DEP_1)
	s_mul_i32 s16, s10, s8
	s_mul_hi_u32 s18, s10, s9
	s_mul_i32 s17, s11, s9
	s_add_i32 s16, s18, s16
	s_mul_i32 s19, s10, s9
	s_add_i32 s16, s16, s17
	s_mul_hi_u32 s18, s9, s19
	s_mul_hi_u32 s21, s8, s19
	s_mul_i32 s17, s8, s19
	s_mul_hi_u32 s19, s9, s16
	s_mul_i32 s9, s9, s16
	s_mul_hi_u32 s22, s8, s16
	s_add_u32 s9, s18, s9
	s_addc_u32 s18, 0, s19
	s_add_u32 s9, s9, s17
	s_mul_i32 s16, s8, s16
	s_addc_u32 s9, s18, s21
	s_addc_u32 s17, s22, 0
	s_add_u32 s9, s9, s16
	s_addc_u32 s16, 0, s17
	v_add_co_u32 v1, s9, v1, s9
	s_delay_alu instid0(VALU_DEP_1) | instskip(SKIP_1) | instid1(VALU_DEP_1)
	s_cmp_lg_u32 s9, 0
	s_addc_u32 s8, s8, s16
	v_readfirstlane_b32 s9, v1
	s_mul_i32 s16, s10, s8
	s_delay_alu instid0(VALU_DEP_1)
	s_mul_hi_u32 s17, s10, s9
	s_mul_i32 s11, s11, s9
	s_add_i32 s16, s17, s16
	s_mul_i32 s10, s10, s9
	s_add_i32 s16, s16, s11
	s_mul_hi_u32 s17, s8, s10
	s_mul_i32 s18, s8, s10
	s_mul_hi_u32 s10, s9, s10
	s_mul_hi_u32 s19, s9, s16
	s_mul_i32 s9, s9, s16
	s_mul_hi_u32 s11, s8, s16
	s_add_u32 s9, s10, s9
	s_addc_u32 s10, 0, s19
	s_add_u32 s9, s9, s18
	s_mul_i32 s16, s8, s16
	s_addc_u32 s9, s10, s17
	s_addc_u32 s10, s11, 0
	s_add_u32 s9, s9, s16
	s_addc_u32 s10, 0, s10
	v_add_co_u32 v1, s9, v1, s9
	s_delay_alu instid0(VALU_DEP_1) | instskip(SKIP_2) | instid1(SALU_CYCLE_1)
	s_cmp_lg_u32 s9, 0
	s_addc_u32 s16, s8, s10
	s_ashr_i32 s8, s3, 31
	s_add_u32 s10, s12, s8
	s_addc_u32 s11, s3, s8
	v_readfirstlane_b32 s3, v1
	s_mov_b32 s9, s8
	s_delay_alu instid0(SALU_CYCLE_1) | instskip(NEXT) | instid1(SALU_CYCLE_1)
	s_xor_b64 s[10:11], s[10:11], s[8:9]
	s_mul_i32 s18, s10, s16
	s_delay_alu instid0(VALU_DEP_1)
	s_mul_hi_u32 s19, s10, s3
	s_mul_hi_u32 s17, s10, s16
	;; [unrolled: 1-line block ×3, first 2 shown]
	s_mul_i32 s3, s11, s3
	s_add_u32 s18, s19, s18
	s_addc_u32 s17, 0, s17
	s_mul_hi_u32 s21, s11, s16
	s_add_u32 s3, s18, s3
	s_mul_i32 s16, s11, s16
	s_addc_u32 s3, s17, s22
	s_addc_u32 s17, s21, 0
	s_add_u32 s3, s3, s16
	s_addc_u32 s16, 0, s17
	s_mul_i32 s18, s20, s3
	s_add_u32 s17, s3, 1
	v_sub_co_u32 v1, s10, s10, s18
	s_mul_hi_u32 s18, s20, s3
	s_addc_u32 s19, s16, 0
	s_mul_i32 s21, s20, s16
	s_delay_alu instid0(VALU_DEP_1)
	v_sub_co_u32 v2, s22, v1, s20
	s_add_u32 s23, s3, 2
	s_addc_u32 s24, s16, 0
	s_add_i32 s18, s18, s21
	s_cmp_lg_u32 s10, 0
	v_readfirstlane_b32 s10, v2
	s_subb_u32 s11, s11, s18
	s_cmp_lg_u32 s22, 0
	s_subb_u32 s18, s11, 0
	s_delay_alu instid0(VALU_DEP_1) | instskip(SKIP_4) | instid1(SALU_CYCLE_1)
	s_cmp_ge_u32 s10, s20
	s_cselect_b32 s10, -1, 0
	s_cmp_eq_u32 s18, 0
	v_readfirstlane_b32 s18, v1
	s_cselect_b32 s10, s10, -1
	s_cmp_lg_u32 s10, 0
	s_cselect_b32 s10, s23, s17
	s_cselect_b32 s17, s24, s19
	s_cmp_ge_u32 s18, s20
	s_cselect_b32 s18, -1, 0
	s_cmp_eq_u32 s11, 0
	s_cselect_b32 s11, s18, -1
	s_delay_alu instid0(SALU_CYCLE_1) | instskip(SKIP_2) | instid1(SALU_CYCLE_1)
	s_cmp_lg_u32 s11, 0
	s_cselect_b32 s11, s17, s16
	s_cselect_b32 s10, s10, s3
	s_xor_b64 s[10:11], s[10:11], s[8:9]
	s_delay_alu instid0(SALU_CYCLE_1)
	s_sub_u32 s16, s10, s8
	s_load_b128 s[8:11], s[0:1], 0x44
	s_and_not1_b32 vcc_lo, exec_lo, s2
	s_cbranch_vccnz .LBB70_3
.LBB70_2:
	v_cvt_f32_u32_e32 v1, s20
	s_sub_i32 s3, 0, s20
	s_delay_alu instid0(VALU_DEP_1) | instskip(SKIP_2) | instid1(VALU_DEP_1)
	v_rcp_iflag_f32_e32 v1, v1
	s_waitcnt_depctr 0xfff
	v_mul_f32_e32 v1, 0x4f7ffffe, v1
	v_cvt_u32_f32_e32 v1, v1
	s_delay_alu instid0(VALU_DEP_1) | instskip(NEXT) | instid1(VALU_DEP_1)
	v_readfirstlane_b32 s2, v1
	s_mul_i32 s3, s3, s2
	s_delay_alu instid0(SALU_CYCLE_1) | instskip(NEXT) | instid1(SALU_CYCLE_1)
	s_mul_hi_u32 s3, s2, s3
	s_add_i32 s2, s2, s3
	s_delay_alu instid0(SALU_CYCLE_1) | instskip(NEXT) | instid1(SALU_CYCLE_1)
	s_mul_hi_u32 s2, s12, s2
	s_mul_i32 s3, s2, s20
	s_waitcnt lgkmcnt(0)
	s_add_i32 s11, s2, 1
	s_sub_i32 s3, s12, s3
	s_delay_alu instid0(SALU_CYCLE_1)
	s_sub_i32 s12, s3, s20
	s_cmp_ge_u32 s3, s20
	s_cselect_b32 s2, s11, s2
	s_cselect_b32 s3, s12, s3
	s_add_i32 s11, s2, 1
	s_cmp_ge_u32 s3, s20
	s_cselect_b32 s16, s11, s2
.LBB70_3:
	s_waitcnt lgkmcnt(0)
	s_add_i32 s11, s13, 1
	s_mov_b32 s2, 0
	s_mul_hi_i32 s3, s7, s11
	s_mul_i32 s11, s7, s11
	s_cmp_lg_u64 s[2:3], 0
	s_cbranch_scc0 .LBB70_22
; %bb.4:
	v_cvt_f32_ubyte0_e32 v1, 0
	v_cvt_f32_u32_e32 v2, s20
	s_sub_u32 s18, 0, s20
	s_subb_u32 s19, 0, 0
	s_delay_alu instid0(VALU_DEP_1) | instskip(NEXT) | instid1(VALU_DEP_1)
	v_fmamk_f32 v1, v1, 0x4f800000, v2
	v_rcp_f32_e32 v1, v1
	s_waitcnt_depctr 0xfff
	v_mul_f32_e32 v1, 0x5f7ffffc, v1
	s_delay_alu instid0(VALU_DEP_1) | instskip(NEXT) | instid1(VALU_DEP_1)
	v_mul_f32_e32 v2, 0x2f800000, v1
	v_trunc_f32_e32 v2, v2
	s_delay_alu instid0(VALU_DEP_1) | instskip(SKIP_1) | instid1(VALU_DEP_2)
	v_fmamk_f32 v1, v2, 0xcf800000, v1
	v_cvt_u32_f32_e32 v2, v2
	v_cvt_u32_f32_e32 v1, v1
	s_delay_alu instid0(VALU_DEP_2) | instskip(NEXT) | instid1(VALU_DEP_2)
	v_readfirstlane_b32 s12, v2
	v_readfirstlane_b32 s17, v1
	s_delay_alu instid0(VALU_DEP_2) | instskip(NEXT) | instid1(VALU_DEP_1)
	s_mul_i32 s21, s18, s12
	s_mul_hi_u32 s23, s18, s17
	s_mul_i32 s22, s19, s17
	s_add_i32 s21, s23, s21
	s_mul_i32 s24, s18, s17
	s_add_i32 s21, s21, s22
	s_mul_hi_u32 s23, s17, s24
	s_mul_hi_u32 s25, s12, s24
	s_mul_i32 s22, s12, s24
	s_mul_hi_u32 s24, s17, s21
	s_mul_i32 s17, s17, s21
	s_mul_hi_u32 s26, s12, s21
	s_add_u32 s17, s23, s17
	s_addc_u32 s23, 0, s24
	s_add_u32 s17, s17, s22
	s_mul_i32 s21, s12, s21
	s_addc_u32 s17, s23, s25
	s_addc_u32 s22, s26, 0
	s_add_u32 s17, s17, s21
	s_addc_u32 s21, 0, s22
	v_add_co_u32 v1, s17, v1, s17
	s_delay_alu instid0(VALU_DEP_1) | instskip(SKIP_1) | instid1(VALU_DEP_1)
	s_cmp_lg_u32 s17, 0
	s_addc_u32 s12, s12, s21
	v_readfirstlane_b32 s17, v1
	s_mul_i32 s21, s18, s12
	s_delay_alu instid0(VALU_DEP_1)
	s_mul_hi_u32 s22, s18, s17
	s_mul_i32 s19, s19, s17
	s_add_i32 s21, s22, s21
	s_mul_i32 s18, s18, s17
	s_add_i32 s21, s21, s19
	s_mul_hi_u32 s22, s12, s18
	s_mul_i32 s23, s12, s18
	s_mul_hi_u32 s18, s17, s18
	s_mul_hi_u32 s24, s17, s21
	s_mul_i32 s17, s17, s21
	s_mul_hi_u32 s19, s12, s21
	s_add_u32 s17, s18, s17
	s_addc_u32 s18, 0, s24
	s_add_u32 s17, s17, s23
	s_mul_i32 s21, s12, s21
	s_addc_u32 s17, s18, s22
	s_addc_u32 s18, s19, 0
	s_add_u32 s17, s17, s21
	s_addc_u32 s18, 0, s18
	v_add_co_u32 v1, s17, v1, s17
	s_delay_alu instid0(VALU_DEP_1) | instskip(SKIP_2) | instid1(SALU_CYCLE_1)
	s_cmp_lg_u32 s17, 0
	s_addc_u32 s12, s12, s18
	s_ashr_i32 s18, s3, 31
	s_add_u32 s22, s11, s18
	s_addc_u32 s23, s3, s18
	v_readfirstlane_b32 s3, v1
	s_mov_b32 s19, s18
	s_delay_alu instid0(SALU_CYCLE_1) | instskip(NEXT) | instid1(SALU_CYCLE_1)
	s_xor_b64 s[22:23], s[22:23], s[18:19]
	s_mul_i32 s21, s22, s12
	s_delay_alu instid0(VALU_DEP_1)
	s_mul_hi_u32 s24, s22, s3
	s_mul_hi_u32 s17, s22, s12
	;; [unrolled: 1-line block ×3, first 2 shown]
	s_mul_i32 s3, s23, s3
	s_add_u32 s21, s24, s21
	s_addc_u32 s17, 0, s17
	s_mul_hi_u32 s25, s23, s12
	s_add_u32 s3, s21, s3
	s_mul_i32 s12, s23, s12
	s_addc_u32 s3, s17, s26
	s_addc_u32 s17, s25, 0
	s_add_u32 s3, s3, s12
	s_addc_u32 s12, 0, s17
	s_mul_i32 s21, s20, s3
	s_add_u32 s17, s3, 1
	v_sub_co_u32 v1, s21, s22, s21
	s_mul_hi_u32 s22, s20, s3
	s_addc_u32 s24, s12, 0
	s_mul_i32 s25, s20, s12
	s_delay_alu instid0(VALU_DEP_1)
	v_sub_co_u32 v2, s26, v1, s20
	s_add_u32 s27, s3, 2
	s_addc_u32 s28, s12, 0
	s_add_i32 s22, s22, s25
	s_cmp_lg_u32 s21, 0
	v_readfirstlane_b32 s21, v2
	s_subb_u32 s22, s23, s22
	s_cmp_lg_u32 s26, 0
	s_subb_u32 s23, s22, 0
	s_delay_alu instid0(VALU_DEP_1) | instskip(SKIP_4) | instid1(SALU_CYCLE_1)
	s_cmp_ge_u32 s21, s20
	s_cselect_b32 s21, -1, 0
	s_cmp_eq_u32 s23, 0
	v_readfirstlane_b32 s23, v1
	s_cselect_b32 s21, s21, -1
	s_cmp_lg_u32 s21, 0
	s_cselect_b32 s17, s27, s17
	s_cselect_b32 s21, s28, s24
	s_cmp_ge_u32 s23, s20
	s_cselect_b32 s23, -1, 0
	s_cmp_eq_u32 s22, 0
	s_cselect_b32 s22, s23, -1
	s_delay_alu instid0(SALU_CYCLE_1) | instskip(SKIP_2) | instid1(SALU_CYCLE_1)
	s_cmp_lg_u32 s22, 0
	s_cselect_b32 s23, s21, s12
	s_cselect_b32 s22, s17, s3
	s_xor_b64 s[22:23], s[22:23], s[18:19]
	s_delay_alu instid0(SALU_CYCLE_1)
	s_sub_u32 s18, s22, s18
	s_and_not1_b32 vcc_lo, exec_lo, s2
	s_cbranch_vccnz .LBB70_6
.LBB70_5:
	v_cvt_f32_u32_e32 v1, s20
	s_sub_i32 s3, 0, s20
	s_delay_alu instid0(VALU_DEP_1) | instskip(SKIP_2) | instid1(VALU_DEP_1)
	v_rcp_iflag_f32_e32 v1, v1
	s_waitcnt_depctr 0xfff
	v_mul_f32_e32 v1, 0x4f7ffffe, v1
	v_cvt_u32_f32_e32 v1, v1
	s_delay_alu instid0(VALU_DEP_1) | instskip(NEXT) | instid1(VALU_DEP_1)
	v_readfirstlane_b32 s2, v1
	s_mul_i32 s3, s3, s2
	s_delay_alu instid0(SALU_CYCLE_1) | instskip(NEXT) | instid1(SALU_CYCLE_1)
	s_mul_hi_u32 s3, s2, s3
	s_add_i32 s2, s2, s3
	s_delay_alu instid0(SALU_CYCLE_1) | instskip(NEXT) | instid1(SALU_CYCLE_1)
	s_mul_hi_u32 s2, s11, s2
	s_mul_i32 s3, s2, s20
	s_delay_alu instid0(SALU_CYCLE_1)
	s_sub_i32 s3, s11, s3
	s_add_i32 s11, s2, 1
	s_sub_i32 s12, s3, s20
	s_cmp_ge_u32 s3, s20
	s_cselect_b32 s2, s11, s2
	s_cselect_b32 s3, s12, s3
	s_add_i32 s11, s2, 1
	s_cmp_ge_u32 s3, s20
	s_cselect_b32 s18, s11, s2
.LBB70_6:
	s_delay_alu instid0(SALU_CYCLE_1) | instskip(SKIP_3) | instid1(SALU_CYCLE_1)
	s_cmp_eq_u32 s16, s18
	s_mul_hi_u32 s2, s16, s8
	s_cselect_b32 s3, -1, 0
	s_add_i32 s2, s2, s16
	s_lshr_b32 s11, s2, s9
	s_delay_alu instid0(SALU_CYCLE_1) | instskip(NEXT) | instid1(SALU_CYCLE_1)
	s_mul_i32 s2, s11, s10
	s_cmp_eq_u32 s2, s16
	s_mul_hi_u32 s2, s18, s8
	s_cselect_b32 s12, -1, 0
	s_add_i32 s2, s2, s18
	s_delay_alu instid0(SALU_CYCLE_1) | instskip(NEXT) | instid1(SALU_CYCLE_1)
	s_lshr_b32 s2, s2, s9
	s_cmp_eq_u32 s11, s2
	s_mul_i32 s2, s2, s10
	s_cselect_b32 s17, -1, 0
	s_cmp_lg_u32 s2, s18
	s_cselect_b32 s2, -1, 0
	s_or_b32 s3, s3, s12
	s_and_b32 s2, s17, s2
	s_delay_alu instid0(SALU_CYCLE_1) | instskip(NEXT) | instid1(SALU_CYCLE_1)
	s_or_b32 s2, s3, s2
	s_and_b32 vcc_lo, exec_lo, s2
	s_cbranch_vccnz .LBB70_24
; %bb.7:
	s_load_b256 s[24:31], s[0:1], 0x20
	s_waitcnt lgkmcnt(0)
	s_mul_hi_u32 s2, s16, s24
	s_delay_alu instid0(SALU_CYCLE_1) | instskip(NEXT) | instid1(SALU_CYCLE_1)
	s_add_i32 s2, s2, s16
	s_lshr_b32 s18, s2, s25
	s_load_b32 s2, s[0:1], 0x40
	s_mul_i32 s3, s18, s26
	s_delay_alu instid0(SALU_CYCLE_1) | instskip(NEXT) | instid1(SALU_CYCLE_1)
	s_sub_i32 s3, s16, s3
	s_mul_hi_u32 s12, s3, s27
	s_delay_alu instid0(SALU_CYCLE_1) | instskip(NEXT) | instid1(SALU_CYCLE_1)
	s_add_i32 s12, s3, s12
	s_lshr_b32 s21, s12, s28
	s_delay_alu instid0(SALU_CYCLE_1) | instskip(NEXT) | instid1(SALU_CYCLE_1)
	s_mul_i32 s12, s21, s29
	s_sub_i32 s3, s3, s12
	s_delay_alu instid0(SALU_CYCLE_1) | instskip(NEXT) | instid1(SALU_CYCLE_1)
	s_mul_hi_u32 s12, s3, s30
	s_add_i32 s12, s3, s12
	s_delay_alu instid0(SALU_CYCLE_1) | instskip(SKIP_3) | instid1(SALU_CYCLE_1)
	s_lshr_b32 s22, s12, s31
	s_mov_b32 s12, 0
	s_waitcnt lgkmcnt(0)
	s_mul_i32 s2, s22, s2
	s_sub_i32 s2, s3, s2
	s_delay_alu instid0(SALU_CYCLE_1) | instskip(NEXT) | instid1(SALU_CYCLE_1)
	s_mul_hi_u32 s3, s2, s8
	s_add_i32 s2, s2, s3
	s_delay_alu instid0(SALU_CYCLE_1) | instskip(NEXT) | instid1(SALU_CYCLE_1)
	s_lshr_b32 s23, s2, s9
	s_lshl_b32 s2, s23, 1
	s_delay_alu instid0(SALU_CYCLE_1) | instskip(NEXT) | instid1(SALU_CYCLE_1)
	s_add_i32 s2, s2, s14
	s_cmp_lt_i32 s2, s4
	s_cselect_b32 s2, -1, 0
	s_add_i32 s3, s22, s15
	s_delay_alu instid0(SALU_CYCLE_1) | instskip(SKIP_1) | instid1(SALU_CYCLE_1)
	s_cmp_lt_i32 s3, s6
	s_cselect_b32 s3, -1, 0
	s_and_b32 s2, s2, s3
	s_delay_alu instid0(SALU_CYCLE_1)
	s_and_not1_b32 vcc_lo, exec_lo, s2
	s_cbranch_vccnz .LBB70_24
; %bb.8:
	s_load_b128 s[0:3], s[0:1], 0x0
	s_lshl_b32 s24, s20, 3
	s_mov_b32 s25, s12
	s_add_i32 s17, s14, s15
	s_lshl_b64 s[24:25], s[24:25], 2
	s_mul_i32 s4, s18, s4
	s_mul_i32 s21, s21, s6
	v_cvt_f32_ubyte0_e32 v4, 0
	v_cvt_f32_u32_e32 v5, s20
	s_waitcnt lgkmcnt(0)
	s_add_u32 s18, s2, s24
	s_addc_u32 s19, s3, s25
	s_add_i32 s4, s4, s14
	s_delay_alu instid0(SALU_CYCLE_1) | instskip(SKIP_4) | instid1(SALU_CYCLE_1)
	s_mul_i32 s4, s4, s5
	s_mul_i32 s5, s5, s23
	s_add_i32 s4, s4, s15
	s_lshl_b32 s5, s5, 8
	s_add_i32 s4, s4, s21
	s_add_i32 s4, s4, s22
	s_delay_alu instid0(SALU_CYCLE_1) | instskip(NEXT) | instid1(SALU_CYCLE_1)
	s_lshl_b32 s4, s4, 7
	s_add_i32 s5, s5, s4
	s_delay_alu instid0(SALU_CYCLE_1) | instskip(SKIP_1) | instid1(VALU_DEP_2)
	v_or_b32_e32 v1, s5, v0
	v_lshl_or_b32 v0, s17, 7, v0
	v_ashrrev_i32_e32 v2, 31, v1
	s_delay_alu instid0(VALU_DEP_1) | instskip(NEXT) | instid1(VALU_DEP_1)
	v_lshlrev_b64 v[1:2], 2, v[1:2]
	v_add_co_u32 v1, vcc_lo, s0, v1
	s_delay_alu instid0(VALU_DEP_2) | instskip(SKIP_1) | instid1(SALU_CYCLE_1)
	v_add_co_ci_u32_e32 v2, vcc_lo, s1, v2, vcc_lo
	s_lshl_b32 s0, s13, 1
	s_add_i32 s0, s0, s17
	global_load_b32 v3, v[1:2], off
	s_ashr_i32 s1, s0, 31
	s_delay_alu instid0(SALU_CYCLE_1) | instskip(NEXT) | instid1(SALU_CYCLE_1)
	s_lshl_b64 s[0:1], s[0:1], 3
	s_add_u32 s0, s2, s0
	s_addc_u32 s1, s3, s1
	s_add_i32 s14, s13, -1
	s_load_b64 s[0:1], s[0:1], 0x0
	v_fmac_f32_e32 v5, 0x4f800000, v4
	s_sub_i32 s6, 0, s20
	s_waitcnt lgkmcnt(0)
	v_mov_b32_e32 v8, s0
	s_delay_alu instid0(VALU_DEP_2) | instskip(SKIP_2) | instid1(VALU_DEP_2)
	v_rcp_f32_e32 v4, v5
	v_cvt_f32_u32_e32 v5, s20
	v_mov_b32_e32 v7, s1
	v_rcp_iflag_f32_e32 v5, v5
	s_waitcnt_depctr 0xfff
	v_mul_f32_e32 v4, 0x5f7ffffc, v4
	s_delay_alu instid0(VALU_DEP_1) | instskip(SKIP_1) | instid1(VALU_DEP_2)
	v_mul_f32_e32 v6, 0x2f800000, v4
	v_mul_f32_e32 v9, 0x4f7ffffe, v5
	v_trunc_f32_e32 v6, v6
	s_delay_alu instid0(VALU_DEP_1) | instskip(SKIP_1) | instid1(VALU_DEP_4)
	v_fmac_f32_e32 v4, 0xcf800000, v6
	v_cvt_u32_f32_e32 v5, v6
	v_cvt_u32_f32_e32 v6, v9
	s_delay_alu instid0(VALU_DEP_3)
	v_cvt_u32_f32_e32 v4, v4
.LBB70_9:                               ; =>This Inner Loop Header: Depth=1
	s_mul_hi_i32 s13, s14, s7
	s_mul_i32 s4, s14, s7
	s_cmp_lg_u64 s[12:13], 0
	s_mov_b32 s5, -1
                                        ; implicit-def: $sgpr0_sgpr1
	s_cbranch_scc0 .LBB70_11
; %bb.10:                               ;   in Loop: Header=BB70_9 Depth=1
	v_readfirstlane_b32 s0, v4
	v_readfirstlane_b32 s1, v5
	s_sub_u32 s5, 0, s20
	s_subb_u32 s15, 0, 0
	s_delay_alu instid0(VALU_DEP_2) | instskip(NEXT) | instid1(VALU_DEP_1)
	s_mul_hi_u32 s21, s5, s0
	s_mul_i32 s22, s5, s1
	s_mul_i32 s23, s15, s0
	s_add_i32 s21, s21, s22
	s_mul_i32 s22, s5, s0
	s_add_i32 s21, s21, s23
	s_mul_hi_u32 s23, s0, s22
	s_mul_i32 s24, s0, s21
	s_mul_hi_u32 s0, s0, s21
	s_add_u32 s23, s23, s24
	s_mul_i32 s25, s1, s22
	s_addc_u32 s0, 0, s0
	s_mul_hi_u32 s22, s1, s22
	s_mul_hi_u32 s24, s1, s21
	s_add_u32 s23, s23, s25
	s_addc_u32 s0, s0, s22
	s_mul_i32 s21, s1, s21
	s_addc_u32 s22, s24, 0
	s_add_u32 s0, s0, s21
	s_addc_u32 s21, 0, s22
	v_add_co_u32 v9, s0, v4, s0
	s_delay_alu instid0(VALU_DEP_1) | instskip(SKIP_1) | instid1(VALU_DEP_1)
	s_cmp_lg_u32 s0, 0
	s_addc_u32 s1, s1, s21
	v_readfirstlane_b32 s0, v9
	s_mul_i32 s21, s5, s1
	s_delay_alu instid0(VALU_DEP_1)
	s_mul_hi_u32 s22, s5, s0
	s_mul_i32 s15, s15, s0
	s_add_i32 s21, s22, s21
	s_mul_i32 s5, s5, s0
	s_add_i32 s21, s21, s15
	s_mul_hi_u32 s15, s1, s5
	s_mul_i32 s23, s1, s5
	s_mul_i32 s24, s0, s21
	s_mul_hi_u32 s5, s0, s5
	s_mul_hi_u32 s0, s0, s21
	s_add_u32 s5, s5, s24
	s_addc_u32 s0, 0, s0
	s_mul_hi_u32 s22, s1, s21
	s_add_u32 s5, s5, s23
	s_addc_u32 s0, s0, s15
	s_mul_i32 s5, s1, s21
	s_addc_u32 s15, s22, 0
	s_add_u32 s0, s0, s5
	s_addc_u32 s5, 0, s15
	v_add_co_u32 v9, s0, v9, s0
	s_delay_alu instid0(VALU_DEP_1) | instskip(SKIP_2) | instid1(SALU_CYCLE_1)
	s_cmp_lg_u32 s0, 0
	s_addc_u32 s5, s1, s5
	s_ashr_i32 s0, s13, 31
	s_add_u32 s22, s4, s0
	s_addc_u32 s23, s13, s0
	v_readfirstlane_b32 s13, v9
	s_mov_b32 s1, s0
	s_delay_alu instid0(SALU_CYCLE_1) | instskip(NEXT) | instid1(SALU_CYCLE_1)
	s_xor_b64 s[22:23], s[22:23], s[0:1]
	s_mul_i32 s15, s22, s5
	s_delay_alu instid0(VALU_DEP_1)
	s_mul_hi_u32 s21, s22, s13
	s_mul_hi_u32 s24, s22, s5
	s_add_u32 s15, s21, s15
	s_mul_i32 s25, s23, s13
	s_addc_u32 s21, 0, s24
	s_mul_hi_u32 s13, s23, s13
	s_mul_hi_u32 s24, s23, s5
	s_add_u32 s15, s15, s25
	s_addc_u32 s13, s21, s13
	s_mul_i32 s5, s23, s5
	s_addc_u32 s15, s24, 0
	s_add_u32 s5, s13, s5
	s_addc_u32 s13, 0, s15
	s_mul_i32 s21, s20, s5
	s_add_u32 s15, s5, 1
	v_sub_co_u32 v9, s21, s22, s21
	s_addc_u32 s22, s13, 0
	s_mul_i32 s25, s20, s13
	s_mul_hi_u32 s27, s20, s5
	s_delay_alu instid0(VALU_DEP_1)
	v_sub_co_u32 v10, s26, v9, s20
	s_add_u32 s24, s5, 2
	s_addc_u32 s28, s13, 0
	s_add_i32 s27, s27, s25
	s_cmp_lg_u32 s21, 0
	v_readfirstlane_b32 s21, v10
	s_subb_u32 s23, s23, s27
	s_cmp_lg_u32 s26, 0
	s_subb_u32 s25, s23, 0
	s_delay_alu instid0(VALU_DEP_1) | instskip(SKIP_4) | instid1(SALU_CYCLE_1)
	s_cmp_ge_u32 s21, s20
	s_cselect_b32 s21, -1, 0
	s_cmp_eq_u32 s25, 0
	v_readfirstlane_b32 s25, v9
	s_cselect_b32 s21, s21, -1
	s_cmp_lg_u32 s21, 0
	s_cselect_b32 s15, s24, s15
	s_cselect_b32 s21, s28, s22
	s_cmp_ge_u32 s25, s20
	s_cselect_b32 s22, -1, 0
	s_cmp_eq_u32 s23, 0
	s_cselect_b32 s22, s22, -1
	s_delay_alu instid0(SALU_CYCLE_1) | instskip(SKIP_4) | instid1(SALU_CYCLE_1)
	s_cmp_lg_u32 s22, 0
	s_cselect_b32 s23, s21, s13
	s_cselect_b32 s22, s15, s5
	s_mov_b32 s5, 0
	s_xor_b64 s[22:23], s[22:23], s[0:1]
	s_sub_u32 s0, s22, s0
.LBB70_11:                              ;   in Loop: Header=BB70_9 Depth=1
	s_and_not1_b32 vcc_lo, exec_lo, s5
	s_cbranch_vccnz .LBB70_13
; %bb.12:                               ;   in Loop: Header=BB70_9 Depth=1
	v_readfirstlane_b32 s0, v6
	s_delay_alu instid0(VALU_DEP_1) | instskip(NEXT) | instid1(SALU_CYCLE_1)
	s_mul_i32 s1, s6, s0
	s_mul_hi_u32 s1, s0, s1
	s_delay_alu instid0(SALU_CYCLE_1) | instskip(NEXT) | instid1(SALU_CYCLE_1)
	s_add_i32 s0, s0, s1
	s_mul_hi_u32 s0, s4, s0
	s_delay_alu instid0(SALU_CYCLE_1) | instskip(NEXT) | instid1(SALU_CYCLE_1)
	s_mul_i32 s1, s0, s20
	s_sub_i32 s1, s4, s1
	s_add_i32 s4, s0, 1
	s_sub_i32 s5, s1, s20
	s_cmp_ge_u32 s1, s20
	s_cselect_b32 s0, s4, s0
	s_cselect_b32 s1, s5, s1
	s_add_i32 s4, s0, 1
	s_cmp_ge_u32 s1, s20
	s_cselect_b32 s0, s4, s0
.LBB70_13:                              ;   in Loop: Header=BB70_9 Depth=1
	s_delay_alu instid0(SALU_CYCLE_1)
	s_cmp_lg_u32 s16, s0
	s_cbranch_scc0 .LBB70_17
; %bb.14:                               ;   in Loop: Header=BB70_9 Depth=1
	s_add_i32 s1, s14, s20
	s_mov_b32 s5, s12
	s_lshl_b32 s1, s1, 1
	s_mov_b32 s15, s16
	s_add_i32 s4, s1, s17
	s_mul_hi_u32 s1, s0, s8
	s_lshl_b64 s[4:5], s[4:5], 3
	s_delay_alu instid0(SALU_CYCLE_1) | instskip(SKIP_2) | instid1(SALU_CYCLE_1)
	s_add_u32 s4, s2, s4
	s_addc_u32 s5, s3, s5
	s_add_i32 s1, s1, s0
	s_lshr_b32 s1, s1, s9
	s_delay_alu instid0(SALU_CYCLE_1) | instskip(NEXT) | instid1(SALU_CYCLE_1)
	s_mul_i32 s13, s1, s10
	s_cmp_eq_u32 s13, s0
	s_cselect_b32 s13, -1, 0
	s_cmp_lt_u32 s1, s11
	s_cselect_b32 s1, -1, 0
	s_delay_alu instid0(SALU_CYCLE_1)
	s_or_b32 s1, s1, s13
	s_mov_b32 s13, -1
	s_and_b32 vcc_lo, exec_lo, s1
	s_mov_b32 s1, s14
	s_cbranch_vccnz .LBB70_16
; %bb.15:                               ;   in Loop: Header=BB70_9 Depth=1
	s_add_i32 s1, s14, -1
	s_mov_b32 s13, 0
	s_mov_b32 s15, s0
.LBB70_16:                              ;   in Loop: Header=BB70_9 Depth=1
	v_lshl_add_u32 v9, s14, 8, v0
	s_load_b64 s[4:5], s[4:5], 0x0
	s_delay_alu instid0(VALU_DEP_1) | instskip(NEXT) | instid1(VALU_DEP_1)
	v_ashrrev_i32_e32 v10, 31, v9
	v_lshlrev_b64 v[9:10], 2, v[9:10]
	s_delay_alu instid0(VALU_DEP_1) | instskip(NEXT) | instid1(VALU_DEP_2)
	v_add_co_u32 v9, vcc_lo, s18, v9
	v_add_co_ci_u32_e32 v10, vcc_lo, s19, v10, vcc_lo
	s_waitcnt lgkmcnt(0)
	v_max_f32_e64 v11, s4, s4
	global_load_b32 v10, v[9:10], off
	v_max_f32_e32 v9, v8, v8
	s_delay_alu instid0(VALU_DEP_1) | instskip(NEXT) | instid1(VALU_DEP_1)
	v_max_f32_e32 v9, v9, v11
	v_sub_f32_e32 v12, v8, v9
	s_delay_alu instid0(VALU_DEP_1) | instskip(NEXT) | instid1(VALU_DEP_1)
	v_dual_mul_f32 v14, 0x3fb8aa3b, v12 :: v_dual_sub_f32 v11, s4, v9
	v_rndne_f32_e32 v18, v14
	s_delay_alu instid0(VALU_DEP_2) | instskip(SKIP_2) | instid1(VALU_DEP_4)
	v_mul_f32_e32 v13, 0x3fb8aa3b, v11
	v_fma_f32 v17, 0x3fb8aa3b, v12, -v14
	v_cmp_ngt_f32_e32 vcc_lo, 0xc2ce8ed0, v11
	v_sub_f32_e32 v14, v14, v18
	s_delay_alu instid0(VALU_DEP_4) | instskip(SKIP_2) | instid1(VALU_DEP_3)
	v_fma_f32 v15, 0x3fb8aa3b, v11, -v13
	v_rndne_f32_e32 v16, v13
	v_fmac_f32_e32 v17, 0x32a5705f, v12
	v_fmac_f32_e32 v15, 0x32a5705f, v11
	s_delay_alu instid0(VALU_DEP_2) | instskip(NEXT) | instid1(VALU_DEP_1)
	v_dual_sub_f32 v13, v13, v16 :: v_dual_add_f32 v14, v14, v17
	v_add_f32_e32 v13, v13, v15
	s_delay_alu instid0(VALU_DEP_2) | instskip(SKIP_2) | instid1(VALU_DEP_3)
	v_exp_f32_e32 v14, v14
	v_cvt_i32_f32_e32 v15, v16
	v_cvt_i32_f32_e32 v16, v18
	v_exp_f32_e32 v13, v13
	s_waitcnt_depctr 0xfff
	v_ldexp_f32 v14, v14, v16
	v_ldexp_f32 v13, v13, v15
	s_delay_alu instid0(VALU_DEP_1) | instskip(SKIP_1) | instid1(VALU_DEP_4)
	v_cndmask_b32_e32 v13, 0, v13, vcc_lo
	v_cmp_ngt_f32_e32 vcc_lo, 0xc2ce8ed0, v12
	v_cndmask_b32_e32 v14, 0, v14, vcc_lo
	v_cmp_nlt_f32_e32 vcc_lo, 0x42b17218, v11
	s_delay_alu instid0(VALU_DEP_4) | instskip(SKIP_1) | instid1(VALU_DEP_4)
	v_cndmask_b32_e32 v13, 0x7f800000, v13, vcc_lo
	v_cmp_nlt_f32_e32 vcc_lo, 0x42b17218, v12
	v_cndmask_b32_e32 v14, 0x7f800000, v14, vcc_lo
	v_cmp_le_f32_e32 vcc_lo, 0xc1a00000, v11
	s_delay_alu instid0(VALU_DEP_4) | instskip(SKIP_1) | instid1(VALU_DEP_4)
	v_cndmask_b32_e32 v11, 0, v13, vcc_lo
	v_cmp_le_f32_e32 vcc_lo, 0xc1a00000, v12
	v_cndmask_b32_e32 v12, 0, v14, vcc_lo
	s_waitcnt vmcnt(0)
	s_delay_alu instid0(VALU_DEP_3) | instskip(NEXT) | instid1(VALU_DEP_1)
	v_mul_f32_e32 v10, v10, v11
	v_dual_mul_f32 v11, s5, v11 :: v_dual_fmac_f32 v10, v3, v12
	s_delay_alu instid0(VALU_DEP_1)
	v_fmac_f32_e32 v11, v7, v12
	s_cbranch_execz .LBB70_18
	s_branch .LBB70_19
.LBB70_17:                              ;   in Loop: Header=BB70_9 Depth=1
                                        ; implicit-def: $sgpr13
                                        ; implicit-def: $vgpr10
                                        ; implicit-def: $vgpr9
                                        ; implicit-def: $vgpr11
                                        ; implicit-def: $sgpr1
                                        ; implicit-def: $sgpr15
.LBB70_18:                              ;   in Loop: Header=BB70_9 Depth=1
	v_mov_b32_e32 v11, v7
	s_waitcnt vmcnt(0)
	v_dual_mov_b32 v9, v8 :: v_dual_mov_b32 v10, v3
	s_add_i32 s1, s14, -1
	s_mov_b32 s13, 0
	s_mov_b32 s15, s16
.LBB70_19:                              ;   in Loop: Header=BB70_9 Depth=1
	s_and_not1_b32 vcc_lo, exec_lo, s13
	s_cbranch_vccz .LBB70_23
; %bb.20:                               ;   in Loop: Header=BB70_9 Depth=1
	v_dual_mov_b32 v7, v11 :: v_dual_mov_b32 v8, v9
	s_waitcnt vmcnt(0)
	v_mov_b32_e32 v3, v10
	s_mov_b32 s16, s15
	s_mov_b32 s14, s1
	s_branch .LBB70_9
.LBB70_21:
                                        ; implicit-def: $sgpr16_sgpr17
	s_load_b128 s[8:11], s[0:1], 0x44
	s_branch .LBB70_2
.LBB70_22:
                                        ; implicit-def: $sgpr18_sgpr19
	s_branch .LBB70_5
.LBB70_23:
	v_div_scale_f32 v0, null, v11, v11, v10
	s_waitcnt vmcnt(0)
	s_delay_alu instid0(VALU_DEP_1) | instskip(SKIP_2) | instid1(VALU_DEP_1)
	v_rcp_f32_e32 v3, v0
	s_waitcnt_depctr 0xfff
	v_fma_f32 v4, -v0, v3, 1.0
	v_fmac_f32_e32 v3, v4, v3
	v_div_scale_f32 v4, vcc_lo, v10, v11, v10
	s_delay_alu instid0(VALU_DEP_1) | instskip(NEXT) | instid1(VALU_DEP_1)
	v_mul_f32_e32 v5, v4, v3
	v_fma_f32 v6, -v0, v5, v4
	s_delay_alu instid0(VALU_DEP_1) | instskip(NEXT) | instid1(VALU_DEP_1)
	v_fmac_f32_e32 v5, v6, v3
	v_fma_f32 v0, -v0, v5, v4
	s_delay_alu instid0(VALU_DEP_1) | instskip(NEXT) | instid1(VALU_DEP_1)
	v_div_fmas_f32 v0, v0, v3, v5
	v_div_fixup_f32 v0, v0, v11, v10
	global_store_b32 v[1:2], v0, off
.LBB70_24:
	s_nop 0
	s_sendmsg sendmsg(MSG_DEALLOC_VGPRS)
	s_endpgm
	.section	.rodata,"a",@progbits
	.p2align	6, 0x0
	.amdhsa_kernel _ZL33flash_attn_stream_k_fixup_generalILi128ELi2ELi1EEvPfPK15HIP_vector_typeIfLj2EEiiiiS1_IjLj3EES5_S5_S5_
		.amdhsa_group_segment_fixed_size 0
		.amdhsa_private_segment_fixed_size 0
		.amdhsa_kernarg_size 336
		.amdhsa_user_sgpr_count 13
		.amdhsa_user_sgpr_dispatch_ptr 0
		.amdhsa_user_sgpr_queue_ptr 0
		.amdhsa_user_sgpr_kernarg_segment_ptr 1
		.amdhsa_user_sgpr_dispatch_id 0
		.amdhsa_user_sgpr_private_segment_size 0
		.amdhsa_wavefront_size32 1
		.amdhsa_uses_dynamic_stack 0
		.amdhsa_enable_private_segment 0
		.amdhsa_system_sgpr_workgroup_id_x 1
		.amdhsa_system_sgpr_workgroup_id_y 1
		.amdhsa_system_sgpr_workgroup_id_z 1
		.amdhsa_system_sgpr_workgroup_info 0
		.amdhsa_system_vgpr_workitem_id 0
		.amdhsa_next_free_vgpr 19
		.amdhsa_next_free_sgpr 32
		.amdhsa_reserve_vcc 1
		.amdhsa_float_round_mode_32 0
		.amdhsa_float_round_mode_16_64 0
		.amdhsa_float_denorm_mode_32 3
		.amdhsa_float_denorm_mode_16_64 3
		.amdhsa_dx10_clamp 1
		.amdhsa_ieee_mode 1
		.amdhsa_fp16_overflow 0
		.amdhsa_workgroup_processor_mode 1
		.amdhsa_memory_ordered 1
		.amdhsa_forward_progress 0
		.amdhsa_shared_vgpr_count 0
		.amdhsa_exception_fp_ieee_invalid_op 0
		.amdhsa_exception_fp_denorm_src 0
		.amdhsa_exception_fp_ieee_div_zero 0
		.amdhsa_exception_fp_ieee_overflow 0
		.amdhsa_exception_fp_ieee_underflow 0
		.amdhsa_exception_fp_ieee_inexact 0
		.amdhsa_exception_int_div_zero 0
	.end_amdhsa_kernel
	.section	.text._ZL33flash_attn_stream_k_fixup_generalILi128ELi2ELi1EEvPfPK15HIP_vector_typeIfLj2EEiiiiS1_IjLj3EES5_S5_S5_,"axG",@progbits,_ZL33flash_attn_stream_k_fixup_generalILi128ELi2ELi1EEvPfPK15HIP_vector_typeIfLj2EEiiiiS1_IjLj3EES5_S5_S5_,comdat
.Lfunc_end70:
	.size	_ZL33flash_attn_stream_k_fixup_generalILi128ELi2ELi1EEvPfPK15HIP_vector_typeIfLj2EEiiiiS1_IjLj3EES5_S5_S5_, .Lfunc_end70-_ZL33flash_attn_stream_k_fixup_generalILi128ELi2ELi1EEvPfPK15HIP_vector_typeIfLj2EEiiiiS1_IjLj3EES5_S5_S5_
                                        ; -- End function
	.section	.AMDGPU.csdata,"",@progbits
; Kernel info:
; codeLenInByte = 3220
; NumSgprs: 34
; NumVgprs: 19
; ScratchSize: 0
; MemoryBound: 0
; FloatMode: 240
; IeeeMode: 1
; LDSByteSize: 0 bytes/workgroup (compile time only)
; SGPRBlocks: 4
; VGPRBlocks: 2
; NumSGPRsForWavesPerEU: 34
; NumVGPRsForWavesPerEU: 19
; Occupancy: 16
; WaveLimiterHint : 0
; COMPUTE_PGM_RSRC2:SCRATCH_EN: 0
; COMPUTE_PGM_RSRC2:USER_SGPR: 13
; COMPUTE_PGM_RSRC2:TRAP_HANDLER: 0
; COMPUTE_PGM_RSRC2:TGID_X_EN: 1
; COMPUTE_PGM_RSRC2:TGID_Y_EN: 1
; COMPUTE_PGM_RSRC2:TGID_Z_EN: 1
; COMPUTE_PGM_RSRC2:TIDIG_COMP_CNT: 0
	.section	.text._ZL15flash_attn_tileILi128ELi128ELi8ELi8ELb1EEvPKcS1_S1_S1_S1_PKiPfP15HIP_vector_typeIfLj2EEffffjfiS5_IjLj3EEiiiiiiiiiiiliiliiiiil,"axG",@progbits,_ZL15flash_attn_tileILi128ELi128ELi8ELi8ELb1EEvPKcS1_S1_S1_S1_PKiPfP15HIP_vector_typeIfLj2EEffffjfiS5_IjLj3EEiiiiiiiiiiiliiliiiiil,comdat
	.globl	_ZL15flash_attn_tileILi128ELi128ELi8ELi8ELb1EEvPKcS1_S1_S1_S1_PKiPfP15HIP_vector_typeIfLj2EEffffjfiS5_IjLj3EEiiiiiiiiiiiliiliiiiil ; -- Begin function _ZL15flash_attn_tileILi128ELi128ELi8ELi8ELb1EEvPKcS1_S1_S1_S1_PKiPfP15HIP_vector_typeIfLj2EEffffjfiS5_IjLj3EEiiiiiiiiiiiliiliiiiil
	.p2align	8
	.type	_ZL15flash_attn_tileILi128ELi128ELi8ELi8ELb1EEvPKcS1_S1_S1_S1_PKiPfP15HIP_vector_typeIfLj2EEffffjfiS5_IjLj3EEiiiiiiiiiiiliiliiiiil,@function
_ZL15flash_attn_tileILi128ELi128ELi8ELi8ELb1EEvPKcS1_S1_S1_S1_PKiPfP15HIP_vector_typeIfLj2EEffffjfiS5_IjLj3EEiiiiiiiiiiiliiliiiiil: ; @_ZL15flash_attn_tileILi128ELi128ELi8ELi8ELb1EEvPKcS1_S1_S1_S1_PKiPfP15HIP_vector_typeIfLj2EEffffjfiS5_IjLj3EEiiiiiiiiiiiliiliiiiil
; %bb.0:
	s_clause 0x3
	s_load_b128 s[4:7], s[0:1], 0x5c
	s_load_b64 s[34:35], s[0:1], 0x80
	s_load_b512 s[16:31], s[0:1], 0x0
	s_load_b64 s[38:39], s[0:1], 0xb8
	s_mov_b64 s[36:37], 0
	s_waitcnt lgkmcnt(0)
	s_ashr_i32 s2, s7, 31
	s_delay_alu instid0(SALU_CYCLE_1) | instskip(NEXT) | instid1(SALU_CYCLE_1)
	s_lshr_b32 s2, s2, 29
	s_add_i32 s2, s7, s2
	s_delay_alu instid0(SALU_CYCLE_1) | instskip(NEXT) | instid1(SALU_CYCLE_1)
	s_ashr_i32 s2, s2, 3
	v_cvt_f32_u32_e32 v1, s2
	s_sub_i32 s8, 0, s2
	s_delay_alu instid0(VALU_DEP_1) | instskip(SKIP_2) | instid1(VALU_DEP_1)
	v_rcp_iflag_f32_e32 v1, v1
	s_waitcnt_depctr 0xfff
	v_mul_f32_e32 v1, 0x4f7ffffe, v1
	v_cvt_u32_f32_e32 v1, v1
	s_delay_alu instid0(VALU_DEP_1) | instskip(NEXT) | instid1(VALU_DEP_1)
	v_readfirstlane_b32 s3, v1
	s_mul_i32 s8, s8, s3
	s_delay_alu instid0(SALU_CYCLE_1) | instskip(NEXT) | instid1(SALU_CYCLE_1)
	s_mul_hi_u32 s8, s3, s8
	s_add_i32 s3, s3, s8
	s_delay_alu instid0(SALU_CYCLE_1) | instskip(NEXT) | instid1(SALU_CYCLE_1)
	s_mul_hi_u32 s3, s15, s3
	s_mul_i32 s8, s3, s2
	s_add_i32 s9, s3, 1
	s_sub_i32 s8, s15, s8
	s_delay_alu instid0(SALU_CYCLE_1)
	s_sub_i32 s10, s8, s2
	s_cmp_ge_u32 s8, s2
	s_cselect_b32 s3, s9, s3
	s_cselect_b32 s8, s10, s8
	s_add_i32 s9, s3, 1
	s_cmp_ge_u32 s8, s2
	s_cselect_b32 s12, s9, s3
	s_abs_i32 s3, s35
	s_abs_i32 s11, s7
	v_cvt_f32_u32_e32 v1, s3
	s_sub_i32 s8, 0, s3
	s_lshl_b32 s9, s15, 3
	s_mul_i32 s10, s12, s7
	s_delay_alu instid0(VALU_DEP_1) | instskip(SKIP_2) | instid1(VALU_DEP_1)
	v_rcp_iflag_f32_e32 v1, v1
	s_waitcnt_depctr 0xfff
	v_mul_f32_e32 v1, 0x4f7ffffe, v1
	v_cvt_u32_f32_e32 v1, v1
	s_delay_alu instid0(VALU_DEP_1) | instskip(NEXT) | instid1(VALU_DEP_1)
	v_readfirstlane_b32 s2, v1
	s_mul_i32 s8, s8, s2
	s_delay_alu instid0(SALU_CYCLE_1) | instskip(NEXT) | instid1(SALU_CYCLE_1)
	s_mul_hi_u32 s8, s2, s8
	s_add_i32 s8, s2, s8
	s_sub_i32 s2, s9, s10
	s_mul_hi_u32 s8, s11, s8
	s_xor_b32 s9, s7, s35
	s_mul_i32 s10, s8, s3
	s_ashr_i32 s9, s9, 31
	s_sub_i32 s10, s11, s10
	s_add_i32 s11, s8, 1
	s_sub_i32 s15, s10, s3
	s_cmp_ge_u32 s10, s3
	s_cselect_b32 s8, s11, s8
	s_cselect_b32 s10, s15, s10
	s_add_i32 s11, s8, 1
	s_cmp_ge_u32 s10, s3
	s_cselect_b32 s3, s11, s8
	s_delay_alu instid0(SALU_CYCLE_1) | instskip(NEXT) | instid1(SALU_CYCLE_1)
	s_xor_b32 s3, s3, s9
	s_sub_i32 s33, s3, s9
	s_delay_alu instid0(SALU_CYCLE_1) | instskip(SKIP_2) | instid1(VALU_DEP_1)
	s_abs_i32 s15, s33
	s_cmp_eq_u64 s[22:23], 0
	v_cvt_f32_u32_e32 v1, s15
	v_rcp_iflag_f32_e32 v1, v1
	s_waitcnt_depctr 0xfff
	v_mul_f32_e32 v1, 0x4f7ffffe, v1
	s_delay_alu instid0(VALU_DEP_1) | instskip(NEXT) | instid1(VALU_DEP_1)
	v_cvt_u32_f32_e32 v1, v1
	v_readfirstlane_b32 s35, v1
	s_cbranch_scc1 .LBB71_2
; %bb.1:
	s_abs_i32 s3, s38
	s_abs_i32 s10, s12
	v_cvt_f32_u32_e32 v1, s3
	s_sub_i32 s9, 0, s3
	s_delay_alu instid0(VALU_DEP_1) | instskip(SKIP_2) | instid1(VALU_DEP_1)
	v_rcp_iflag_f32_e32 v1, v1
	s_waitcnt_depctr 0xfff
	v_mul_f32_e32 v1, 0x4f7ffffe, v1
	v_cvt_u32_f32_e32 v1, v1
	s_delay_alu instid0(VALU_DEP_1) | instskip(NEXT) | instid1(VALU_DEP_1)
	v_readfirstlane_b32 s8, v1
	s_mul_i32 s9, s9, s8
	s_delay_alu instid0(SALU_CYCLE_1) | instskip(NEXT) | instid1(SALU_CYCLE_1)
	s_mul_hi_u32 s9, s8, s9
	s_add_i32 s11, s8, s9
	s_load_b64 s[8:9], s[0:1], 0xc8
	s_mul_hi_u32 s11, s10, s11
	s_delay_alu instid0(SALU_CYCLE_1) | instskip(NEXT) | instid1(SALU_CYCLE_1)
	s_mul_i32 s11, s11, s3
	s_sub_i32 s10, s10, s11
	s_ashr_i32 s11, s12, 31
	s_sub_i32 s36, s10, s3
	s_cmp_ge_u32 s10, s3
	s_cselect_b32 s10, s36, s10
	s_delay_alu instid0(SALU_CYCLE_1) | instskip(SKIP_2) | instid1(SALU_CYCLE_1)
	s_sub_i32 s36, s10, s3
	s_cmp_ge_u32 s10, s3
	s_cselect_b32 s3, s36, s10
	s_xor_b32 s3, s3, s11
	s_delay_alu instid0(SALU_CYCLE_1)
	s_sub_i32 s3, s3, s11
	s_waitcnt lgkmcnt(0)
	s_mul_i32 s9, s3, s9
	s_mul_hi_u32 s10, s3, s8
	s_ashr_i32 s11, s3, 31
	s_add_i32 s9, s10, s9
	s_mul_i32 s11, s11, s8
	s_mul_i32 s3, s3, s8
	s_add_i32 s9, s9, s11
	s_add_u32 s36, s22, s3
	s_addc_u32 s37, s23, s9
.LBB71_2:
	v_bfe_u32 v10, v0, 10, 10
	s_load_b128 s[8:11], s[0:1], 0x70
	v_and_b32_e32 v25, 0x3ff, v0
	s_delay_alu instid0(VALU_DEP_2) | instskip(NEXT) | instid1(VALU_DEP_2)
	v_lshl_add_u32 v24, s13, 3, v10
	v_lshlrev_b32_e32 v13, 4, v25
	s_delay_alu instid0(VALU_DEP_2) | instskip(NEXT) | instid1(VALU_DEP_1)
	v_mul_hi_u32 v1, s4, v24
	v_add_nc_u32_e32 v1, v24, v1
	s_waitcnt lgkmcnt(0)
	s_mul_i32 s3, s12, s10
	s_mul_i32 s4, s2, s9
	s_delay_alu instid0(VALU_DEP_1)
	v_lshrrev_b32_e32 v1, s5, v1
	s_ashr_i32 s5, s3, 31
	s_add_u32 s3, s16, s3
	s_addc_u32 s5, s17, s5
	s_ashr_i32 s10, s4, 31
	v_mul_lo_u32 v1, v1, s6
	s_add_u32 s3, s3, s4
	s_addc_u32 s16, s5, s10
	s_ashr_i32 s4, s8, 31
	s_ashr_i32 s5, s9, 31
	v_alignbit_b32 v3, s4, s8, 2
	s_lshr_b32 s4, s4, 2
	s_and_b32 s8, s9, -4
	v_sub_nc_u32_e32 v11, v24, v1
	s_delay_alu instid0(VALU_DEP_1) | instskip(NEXT) | instid1(VALU_DEP_1)
	v_mad_u64_u32 v[1:2], null, v3, v11, 0
	v_mad_u64_u32 v[3:4], null, s4, v11, v[2:3]
	s_mov_b32 s4, s9
	s_delay_alu instid0(SALU_CYCLE_1) | instskip(SKIP_2) | instid1(VALU_DEP_1)
	s_lshr_b64 s[10:11], s[4:5], 2
	s_lshr_b32 s4, s5, 2
	s_lshl_b64 s[10:11], s[10:11], 3
	v_mov_b32_e32 v2, v3
	s_delay_alu instid0(VALU_DEP_1) | instskip(SKIP_2) | instid1(VALU_DEP_2)
	v_lshlrev_b64 v[0:1], 2, v[1:2]
	v_alignbit_b32 v2, s5, s9, 2
	s_and_b32 s9, s5, 0x3fffffff
	v_add_co_u32 v0, vcc_lo, s3, v0
	s_delay_alu instid0(VALU_DEP_3) | instskip(SKIP_1) | instid1(VALU_DEP_2)
	v_add_co_ci_u32_e32 v1, vcc_lo, s16, v1, vcc_lo
	s_lshl_b64 s[16:17], s[8:9], 2
	v_add_co_u32 v0, vcc_lo, v0, v13
	s_delay_alu instid0(VALU_DEP_2) | instskip(SKIP_1) | instid1(VALU_DEP_2)
	v_add_co_ci_u32_e32 v1, vcc_lo, 0, v1, vcc_lo
	s_load_b32 s3, s[0:1], 0x40
	v_add_co_u32 v4, vcc_lo, v0, s8
	s_delay_alu instid0(VALU_DEP_2)
	v_add_co_ci_u32_e32 v5, vcc_lo, s5, v1, vcc_lo
	v_mad_u64_u32 v[14:15], null, v2, 12, v[0:1]
	v_mad_u64_u32 v[22:23], null, v2, 20, v[0:1]
	v_add_co_u32 v8, vcc_lo, v0, s10
	v_add_co_ci_u32_e32 v9, vcc_lo, s11, v1, vcc_lo
	v_add_co_u32 v16, vcc_lo, v0, s16
	v_add_co_ci_u32_e32 v17, vcc_lo, s17, v1, vcc_lo
	v_mad_u64_u32 v[38:39], null, v2, 24, v[0:1]
	v_mad_u64_u32 v[42:43], null, v2, 28, v[0:1]
	s_clause 0x3
	global_load_b128 v[0:3], v[0:1], off
	global_load_b128 v[4:7], v[4:5], off
	global_load_b128 v[18:21], v[8:9], off
	global_load_b128 v[26:29], v[16:17], off
	v_mov_b32_e32 v8, v15
	v_mov_b32_e32 v9, v23
	s_cmp_eq_u64 s[26:27], 0
	v_mov_b32_e32 v12, v39
	v_mov_b32_e32 v15, v43
	s_delay_alu instid0(VALU_DEP_3) | instskip(SKIP_1) | instid1(VALU_DEP_4)
	v_mad_u64_u32 v[16:17], null, s4, 12, v[8:9]
	v_mad_u64_u32 v[30:31], null, s4, 20, v[9:10]
	;; [unrolled: 1-line block ×3, first 2 shown]
	v_lshlrev_b32_e32 v17, 11, v10
	s_delay_alu instid0(VALU_DEP_4)
	v_mad_u64_u32 v[34:35], null, s4, 28, v[15:16]
	v_mov_b32_e32 v15, v16
	v_mov_b32_e32 v23, v30
	;; [unrolled: 1-line block ×3, first 2 shown]
	v_lshl_or_b32 v12, v25, 3, v17
	global_load_b128 v[30:33], v[14:15], off
	v_mov_b32_e32 v43, v34
	s_clause 0x2
	global_load_b128 v[34:37], v[22:23], off
	global_load_b128 v[38:41], v[38:39], off
	;; [unrolled: 1-line block ×3, first 2 shown]
	s_waitcnt vmcnt(7) lgkmcnt(0)
	v_fma_mixlo_f16 v8, v0, s3, 0
	v_fma_mixlo_f16 v9, v2, s3, 0
	s_waitcnt vmcnt(6)
	v_fma_mixlo_f16 v0, v4, s3, 0
	s_waitcnt vmcnt(5)
	v_fma_mixlo_f16 v2, v18, s3, 0
	s_waitcnt vmcnt(4)
	v_fma_mixlo_f16 v14, v26, s3, 0
	v_fma_mixhi_f16 v8, v1, s3, 0
	v_fma_mixlo_f16 v1, v6, s3, 0
	v_fma_mixhi_f16 v9, v3, s3, 0
	;; [unrolled: 2-line block ×4, first 2 shown]
	v_fma_mixhi_f16 v2, v19, s3, 0
	v_fma_mixhi_f16 v3, v21, s3, 0
	;; [unrolled: 1-line block ×4, first 2 shown]
	s_waitcnt vmcnt(3)
	v_fma_mixlo_f16 v4, v30, s3, 0
	v_fma_mixlo_f16 v5, v32, s3, 0
	s_waitcnt vmcnt(2)
	v_fma_mixlo_f16 v6, v34, s3, 0
	v_fma_mixlo_f16 v7, v36, s3, 0
	;; [unrolled: 3-line block ×4, first 2 shown]
	v_fma_mixhi_f16 v5, v33, s3, 0
	v_fma_mixhi_f16 v4, v31, s3, 0
	v_fma_mixhi_f16 v7, v37, s3, 0
	v_fma_mixhi_f16 v6, v35, s3, 0
	v_fma_mixhi_f16 v19, v41, s3, 0
	v_fma_mixhi_f16 v18, v39, s3, 0
	v_fma_mixhi_f16 v21, v45, s3, 0
	v_fma_mixhi_f16 v20, v43, s3, 0
	ds_store_2addr_b64 v12, v[8:9], v[0:1] offset1:32
	ds_store_2addr_b64 v12, v[2:3], v[4:5] offset0:64 offset1:96
	ds_store_2addr_b64 v12, v[14:15], v[6:7] offset0:128 offset1:160
	;; [unrolled: 1-line block ×3, first 2 shown]
	s_waitcnt lgkmcnt(0)
	s_barrier
	buffer_gl0_inv
	s_cbranch_scc1 .LBB71_4
; %bb.3:
	s_load_b32 s3, s[0:1], 0xd0
	s_mov_b32 s5, 0
	s_waitcnt lgkmcnt(0)
	s_mul_i32 s3, s3, s12
	s_delay_alu instid0(SALU_CYCLE_1) | instskip(NEXT) | instid1(SALU_CYCLE_1)
	s_add_i32 s4, s3, s13
	s_lshl_b64 s[4:5], s[4:5], 2
	s_delay_alu instid0(SALU_CYCLE_1)
	s_add_u32 s4, s26, s4
	s_addc_u32 s5, s27, s5
	s_load_b32 s34, s[4:5], 0x0
.LBB71_4:
	v_mbcnt_lo_u32_b32 v19, -1, 0
	s_lshl_b32 s3, s14, 6
	s_waitcnt lgkmcnt(0)
	s_cmp_lt_i32 s3, s34
	s_cbranch_scc1 .LBB71_6
; %bb.5:
	v_mbcnt_lo_u32_b32 v8, -1, 0
	v_mov_b32_e32 v18, 32
	s_mov_b32 s4, 0
	s_mov_b32 s5, 0xfeffffff
	s_delay_alu instid0(VALU_DEP_2)
	v_xor_b32_e32 v70, 16, v8
	v_xor_b32_e32 v68, 8, v8
	;; [unrolled: 1-line block ×5, first 2 shown]
	s_branch .LBB71_7
.LBB71_6:
	s_mov_b32 s4, -1
                                        ; implicit-def: $sgpr5
                                        ; implicit-def: $vgpr8
                                        ; implicit-def: $vgpr18
                                        ; implicit-def: $vgpr70
                                        ; implicit-def: $vgpr68
                                        ; implicit-def: $vgpr67
                                        ; implicit-def: $vgpr66
                                        ; implicit-def: $vgpr65
.LBB71_7:
	s_delay_alu instid0(SALU_CYCLE_1) | instskip(SKIP_2) | instid1(VALU_DEP_3)
	v_cndmask_b32_e64 v0, 0, 1, s4
	v_dual_mov_b32 v7, s5 :: v_dual_lshlrev_b32 v28, 2, v25
	v_dual_mov_b32 v72, s4 :: v_dual_mov_b32 v47, s4
	v_cmp_ne_u32_e32 vcc_lo, 1, v0
	v_dual_mov_b32 v6, s5 :: v_dual_mov_b32 v5, s5
	v_dual_mov_b32 v4, s5 :: v_dual_mov_b32 v3, s5
	;; [unrolled: 1-line block ×14, first 2 shown]
	v_mov_b32_e32 v33, s4
	s_cbranch_vccnz .LBB71_76
; %bb.8:
	s_clause 0x1
	s_load_b128 s[8:11], s[0:1], 0x98
	s_load_b64 s[4:5], s[0:1], 0x8c
	s_sub_i32 s13, 0, s15
	s_abs_i32 s22, s2
	s_mul_i32 s13, s13, s35
	s_ashr_i32 s26, s33, 31
	s_mul_hi_u32 s13, s35, s13
	s_ashr_i32 s27, s39, 1
	s_add_i32 s35, s35, s13
	v_lshrrev_b32_e32 v0, 3, v25
	s_mul_hi_u32 s33, s22, s35
	s_ashr_i32 s35, s12, 31
	v_lshrrev_b32_e32 v3, 4, v25
	s_ashr_i32 s23, s2, 31
	s_load_b64 s[16:17], s[0:1], 0xa8
	s_mul_i32 s38, s33, s15
	v_lshl_add_u32 v1, v10, 2, v0
	v_lshl_add_u32 v6, v10, 1, v3
	v_dual_mov_b32 v33, 0 :: v_dual_and_b32 v12, 28, v28
	s_waitcnt lgkmcnt(0)
	s_mul_i32 s39, s35, s8
	s_ashr_i32 s13, s4, 2
	s_mul_i32 s4, s12, s9
	s_mul_hi_u32 s9, s12, s8
	s_mul_i32 s8, s12, s8
	s_add_i32 s4, s9, s4
	s_ashr_i32 s10, s10, 2
	s_add_i32 s4, s4, s39
	s_add_u32 s9, s18, s8
	s_addc_u32 s4, s19, s4
	s_sub_i32 s19, s22, s38
	s_xor_b32 s18, s23, s26
	s_add_i32 s22, s33, 1
	s_sub_i32 s23, s19, s15
	s_cmp_ge_u32 s19, s15
	v_dual_mov_b32 v18, 32 :: v_dual_and_b32 v15, 60, v28
	s_cselect_b32 s22, s22, s33
	s_cselect_b32 s19, s23, s19
	v_mul_lo_u32 v0, s13, v1
	v_mul_lo_u32 v4, s10, v6
	s_add_i32 s23, s22, 1
	s_cmp_ge_u32 s19, s15
	v_dual_mov_b32 v59, 0xfeffffff :: v_dual_lshlrev_b32 v2, 2, v12
	v_dual_mov_b32 v34, 0 :: v_dual_lshlrev_b32 v7, 2, v15
	s_load_b32 s8, s[0:1], 0x54
	s_cselect_b32 s15, s23, s22
	s_delay_alu instid0(VALU_DEP_2)
	v_mad_u32_u24 v5, 0x90, v1, v2
	s_xor_b32 s15, s15, s18
	v_lshl_add_u32 v2, s13, 5, v0
	s_sub_i32 s18, s15, s18
	v_lshl_or_b32 v7, v6, 8, v7
	v_lshl_add_u32 v6, s10, 4, v4
	s_mul_i32 s5, s18, s5
	s_mul_i32 s17, s12, s17
	s_mul_hi_u32 s19, s12, s16
	s_ashr_i32 s15, s5, 31
	s_add_u32 s9, s9, s5
	v_dual_mov_b32 v35, 0 :: v_dual_add_nc_u32 v20, 0x4000, v5
	v_ashrrev_i32_e32 v1, 31, v0
	v_dual_mov_b32 v36, 0 :: v_dual_add_nc_u32 v21, 0x5200, v5
	v_ashrrev_i32_e32 v3, 31, v2
	v_mad_u64_u32 v[8:9], null, v11, s27, v[25:26]
	v_lshl_add_u32 v23, v10, 10, 0x6400
	v_dual_mov_b32 v37, 0 :: v_dual_add_nc_u32 v26, 0x4000, v7
	v_ashrrev_i32_e32 v5, 31, v4
	v_dual_mov_b32 v38, 0 :: v_dual_add_nc_u32 v27, 0x5000, v7
	v_ashrrev_i32_e32 v7, 31, v6
	s_mul_i32 s35, s35, s16
	s_addc_u32 s15, s4, s15
	s_add_i32 s4, s19, s17
	s_mul_i32 s5, s12, s16
	s_add_i32 s4, s4, s35
	s_mul_i32 s18, s18, s11
	s_add_u32 s5, s20, s5
	s_addc_u32 s4, s21, s4
	s_ashr_i32 s16, s18, 31
	v_lshlrev_b64 v[9:10], 2, v[0:1]
	v_dual_mov_b32 v39, 0 :: v_dual_lshlrev_b32 v30, 2, v12
	v_lshlrev_b64 v[11:12], 2, v[2:3]
	v_dual_mov_b32 v40, 0 :: v_dual_add_nc_u32 v31, v23, v13
	v_lshlrev_b64 v[13:14], 2, v[4:5]
	v_dual_mov_b32 v41, 0 :: v_dual_lshlrev_b32 v32, 2, v15
	v_lshlrev_b64 v[15:16], 2, v[6:7]
	s_add_u32 s11, s5, s18
	v_mul_u32_u24_e32 v22, 0x90, v25
	v_lshl_or_b32 v29, v25, 3, 0x4000
	v_dual_mov_b32 v42, 0 :: v_dual_mov_b32 v43, 0
	v_dual_mov_b32 v44, 0 :: v_dual_mov_b32 v45, 0
	;; [unrolled: 1-line block ×10, first 2 shown]
	v_mov_b32_e32 v6, 0
	v_mov_b32_e32 v50, 0
	s_addc_u32 s16, s4, s16
	s_add_u32 s4, s0, 0xd0
	s_addc_u32 s5, s1, 0
	s_mov_b32 s17, 0xbbbac73d
.LBB71_9:                               ; =>This Inner Loop Header: Depth=1
	s_mul_hi_i32 s19, s3, s13
	s_mul_i32 s18, s3, s13
	v_dual_mov_b32 v65, 0 :: v_dual_mov_b32 v78, 0
	s_lshl_b64 s[18:19], s[18:19], 2
	v_mov_b32_e32 v76, 0
	s_add_u32 s18, s9, s18
	s_addc_u32 s19, s15, s19
	v_add_co_u32 v0, vcc_lo, s18, v9
	v_add_co_ci_u32_e32 v1, vcc_lo, s19, v10, vcc_lo
	v_add_co_u32 v2, vcc_lo, s18, v11
	v_add_co_ci_u32_e32 v3, vcc_lo, s19, v12, vcc_lo
	s_delay_alu instid0(VALU_DEP_4) | instskip(NEXT) | instid1(VALU_DEP_4)
	v_add_co_u32 v0, vcc_lo, v0, v30
	v_add_co_ci_u32_e32 v1, vcc_lo, 0, v1, vcc_lo
	s_delay_alu instid0(VALU_DEP_4) | instskip(NEXT) | instid1(VALU_DEP_4)
	v_add_co_u32 v2, vcc_lo, v2, v30
	v_add_co_ci_u32_e32 v3, vcc_lo, 0, v3, vcc_lo
	s_clause 0x1
	global_load_b128 v[61:64], v[0:1], off
	global_load_b128 v[66:69], v[2:3], off
	v_mov_b32_e32 v74, 0
	v_dual_mov_b32 v72, 0 :: v_dual_mov_b32 v77, 0
	v_mov_b32_e32 v75, 0
	v_mov_b32_e32 v73, 0
	;; [unrolled: 1-line block ×3, first 2 shown]
	s_waitcnt vmcnt(1)
	ds_store_b128 v20, v[61:64]
	s_waitcnt vmcnt(0)
	ds_store_b128 v21, v[66:69]
	v_mov_b32_e32 v62, 0
	s_waitcnt lgkmcnt(0)
	s_barrier
	buffer_gl0_inv
	ds_load_b128 v[80:83], v22 offset:16384
	ds_load_b128 v[84:87], v17
	ds_load_b128 v[88:91], v17 offset:256
	ds_load_b128 v[92:95], v17 offset:512
	;; [unrolled: 1-line block ×8, first 2 shown]
	v_mov_b32_e32 v69, 0
	v_mov_b32_e32 v63, 0
	v_dual_mov_b32 v61, 0 :: v_dual_mov_b32 v66, 0
	v_mov_b32_e32 v79, 0
	s_waitcnt lgkmcnt(8)
	;;#ASMSTART
	v_dot2_f32_f16 v65, v80, v84, v65
	;;#ASMEND
	;;#ASMSTART
	v_dot2_f32_f16 v65, v81, v85, v65
	;;#ASMEND
	;;#ASMSTART
	v_dot2_f32_f16 v65, v82, v86, v65
	;;#ASMEND
	;;#ASMSTART
	v_dot2_f32_f16 v65, v83, v87, v65
	;;#ASMEND
	s_waitcnt lgkmcnt(7)
	;;#ASMSTART
	v_dot2_f32_f16 v78, v80, v88, v78
	;;#ASMEND
	;;#ASMSTART
	v_dot2_f32_f16 v78, v81, v89, v78
	;;#ASMEND
	;;#ASMSTART
	v_dot2_f32_f16 v78, v82, v90, v78
	;;#ASMEND
	;;#ASMSTART
	v_dot2_f32_f16 v78, v83, v91, v78
	;;#ASMEND
	;; [unrolled: 13-line block ×8, first 2 shown]
	;;#ASMSTART
	v_dot2_f32_f16 v66, v100, v84, v66
	;;#ASMEND
	;;#ASMSTART
	v_dot2_f32_f16 v66, v101, v85, v66
	;;#ASMEND
	;;#ASMSTART
	v_dot2_f32_f16 v66, v102, v86, v66
	;;#ASMEND
	;;#ASMSTART
	v_dot2_f32_f16 v66, v103, v87, v66
	;;#ASMEND
	;;#ASMSTART
	v_dot2_f32_f16 v79, v100, v88, v79
	;;#ASMEND
	;;#ASMSTART
	v_dot2_f32_f16 v79, v101, v89, v79
	;;#ASMEND
	;;#ASMSTART
	v_dot2_f32_f16 v79, v102, v90, v79
	;;#ASMEND
	v_mov_b32_e32 v64, 0
	;;#ASMSTART
	v_dot2_f32_f16 v79, v103, v91, v79
	;;#ASMEND
	;;#ASMSTART
	v_dot2_f32_f16 v77, v100, v92, v77
	;;#ASMEND
	;; [unrolled: 3-line block ×25, first 2 shown]
	ds_load_b128 v[80:83], v22 offset:16400
	ds_load_b128 v[84:87], v17 offset:16
	;; [unrolled: 1-line block ×10, first 2 shown]
	s_waitcnt lgkmcnt(8)
	;;#ASMSTART
	v_dot2_f32_f16 v65, v80, v84, v65
	;;#ASMEND
	;;#ASMSTART
	v_dot2_f32_f16 v65, v81, v85, v65
	;;#ASMEND
	;;#ASMSTART
	v_dot2_f32_f16 v65, v82, v86, v65
	;;#ASMEND
	;;#ASMSTART
	v_dot2_f32_f16 v65, v83, v87, v65
	;;#ASMEND
	s_waitcnt lgkmcnt(7)
	;;#ASMSTART
	v_dot2_f32_f16 v78, v80, v88, v78
	;;#ASMEND
	;;#ASMSTART
	v_dot2_f32_f16 v78, v81, v89, v78
	;;#ASMEND
	;;#ASMSTART
	v_dot2_f32_f16 v78, v82, v90, v78
	;;#ASMEND
	;;#ASMSTART
	v_dot2_f32_f16 v78, v83, v91, v78
	;;#ASMEND
	;; [unrolled: 13-line block ×8, first 2 shown]
	;;#ASMSTART
	v_dot2_f32_f16 v66, v100, v84, v66
	;;#ASMEND
	;;#ASMSTART
	v_dot2_f32_f16 v66, v101, v85, v66
	;;#ASMEND
	;; [unrolled: 3-line block ×32, first 2 shown]
	ds_load_b128 v[80:83], v22 offset:16416
	ds_load_b128 v[84:87], v17 offset:32
	;; [unrolled: 1-line block ×10, first 2 shown]
	s_waitcnt lgkmcnt(8)
	;;#ASMSTART
	v_dot2_f32_f16 v65, v80, v84, v65
	;;#ASMEND
	;;#ASMSTART
	v_dot2_f32_f16 v65, v81, v85, v65
	;;#ASMEND
	;;#ASMSTART
	v_dot2_f32_f16 v65, v82, v86, v65
	;;#ASMEND
	;;#ASMSTART
	v_dot2_f32_f16 v65, v83, v87, v65
	;;#ASMEND
	s_waitcnt lgkmcnt(7)
	;;#ASMSTART
	v_dot2_f32_f16 v78, v80, v88, v78
	;;#ASMEND
	;;#ASMSTART
	v_dot2_f32_f16 v78, v81, v89, v78
	;;#ASMEND
	;;#ASMSTART
	v_dot2_f32_f16 v78, v82, v90, v78
	;;#ASMEND
	;;#ASMSTART
	v_dot2_f32_f16 v78, v83, v91, v78
	;;#ASMEND
	;; [unrolled: 13-line block ×8, first 2 shown]
	;;#ASMSTART
	v_dot2_f32_f16 v66, v100, v84, v66
	;;#ASMEND
	;;#ASMSTART
	v_dot2_f32_f16 v66, v101, v85, v66
	;;#ASMEND
	;; [unrolled: 3-line block ×32, first 2 shown]
	ds_load_b128 v[80:83], v22 offset:16432
	ds_load_b128 v[84:87], v17 offset:48
	;; [unrolled: 1-line block ×10, first 2 shown]
	s_waitcnt lgkmcnt(8)
	;;#ASMSTART
	v_dot2_f32_f16 v65, v80, v84, v65
	;;#ASMEND
	;;#ASMSTART
	v_dot2_f32_f16 v65, v81, v85, v65
	;;#ASMEND
	;;#ASMSTART
	v_dot2_f32_f16 v65, v82, v86, v65
	;;#ASMEND
	;;#ASMSTART
	v_dot2_f32_f16 v65, v83, v87, v65
	;;#ASMEND
	s_waitcnt lgkmcnt(7)
	;;#ASMSTART
	v_dot2_f32_f16 v78, v80, v88, v78
	;;#ASMEND
	;;#ASMSTART
	v_dot2_f32_f16 v78, v81, v89, v78
	;;#ASMEND
	;;#ASMSTART
	v_dot2_f32_f16 v78, v82, v90, v78
	;;#ASMEND
	;;#ASMSTART
	v_dot2_f32_f16 v78, v83, v91, v78
	;;#ASMEND
	;; [unrolled: 13-line block ×8, first 2 shown]
	;;#ASMSTART
	v_dot2_f32_f16 v66, v100, v84, v66
	;;#ASMEND
	;;#ASMSTART
	v_dot2_f32_f16 v66, v101, v85, v66
	;;#ASMEND
	;; [unrolled: 3-line block ×32, first 2 shown]
	ds_load_b128 v[80:83], v22 offset:16448
	ds_load_b128 v[84:87], v17 offset:64
	;; [unrolled: 1-line block ×10, first 2 shown]
	s_waitcnt lgkmcnt(8)
	;;#ASMSTART
	v_dot2_f32_f16 v65, v80, v84, v65
	;;#ASMEND
	;;#ASMSTART
	v_dot2_f32_f16 v65, v81, v85, v65
	;;#ASMEND
	;;#ASMSTART
	v_dot2_f32_f16 v65, v82, v86, v65
	;;#ASMEND
	;;#ASMSTART
	v_dot2_f32_f16 v65, v83, v87, v65
	;;#ASMEND
	s_waitcnt lgkmcnt(7)
	;;#ASMSTART
	v_dot2_f32_f16 v78, v80, v88, v78
	;;#ASMEND
	;;#ASMSTART
	v_dot2_f32_f16 v78, v81, v89, v78
	;;#ASMEND
	;;#ASMSTART
	v_dot2_f32_f16 v78, v82, v90, v78
	;;#ASMEND
	;;#ASMSTART
	v_dot2_f32_f16 v78, v83, v91, v78
	;;#ASMEND
	;; [unrolled: 13-line block ×8, first 2 shown]
	;;#ASMSTART
	v_dot2_f32_f16 v66, v100, v84, v66
	;;#ASMEND
	;;#ASMSTART
	v_dot2_f32_f16 v66, v101, v85, v66
	;;#ASMEND
	;; [unrolled: 3-line block ×32, first 2 shown]
	ds_load_b128 v[80:83], v22 offset:16464
	ds_load_b128 v[84:87], v17 offset:80
	;; [unrolled: 1-line block ×10, first 2 shown]
	s_waitcnt lgkmcnt(8)
	;;#ASMSTART
	v_dot2_f32_f16 v65, v80, v84, v65
	;;#ASMEND
	;;#ASMSTART
	v_dot2_f32_f16 v65, v81, v85, v65
	;;#ASMEND
	;;#ASMSTART
	v_dot2_f32_f16 v65, v82, v86, v65
	;;#ASMEND
	;;#ASMSTART
	v_dot2_f32_f16 v65, v83, v87, v65
	;;#ASMEND
	s_waitcnt lgkmcnt(7)
	;;#ASMSTART
	v_dot2_f32_f16 v78, v80, v88, v78
	;;#ASMEND
	;;#ASMSTART
	v_dot2_f32_f16 v78, v81, v89, v78
	;;#ASMEND
	;;#ASMSTART
	v_dot2_f32_f16 v78, v82, v90, v78
	;;#ASMEND
	;;#ASMSTART
	v_dot2_f32_f16 v78, v83, v91, v78
	;;#ASMEND
	;; [unrolled: 13-line block ×8, first 2 shown]
	;;#ASMSTART
	v_dot2_f32_f16 v66, v100, v84, v66
	;;#ASMEND
	;;#ASMSTART
	v_dot2_f32_f16 v66, v101, v85, v66
	;;#ASMEND
	;; [unrolled: 3-line block ×32, first 2 shown]
	ds_load_b128 v[80:83], v22 offset:16480
	ds_load_b128 v[84:87], v17 offset:96
	;; [unrolled: 1-line block ×10, first 2 shown]
	s_waitcnt lgkmcnt(8)
	;;#ASMSTART
	v_dot2_f32_f16 v65, v80, v84, v65
	;;#ASMEND
	;;#ASMSTART
	v_dot2_f32_f16 v65, v81, v85, v65
	;;#ASMEND
	;;#ASMSTART
	v_dot2_f32_f16 v65, v82, v86, v65
	;;#ASMEND
	;;#ASMSTART
	v_dot2_f32_f16 v65, v83, v87, v65
	;;#ASMEND
	s_waitcnt lgkmcnt(7)
	;;#ASMSTART
	v_dot2_f32_f16 v78, v80, v88, v78
	;;#ASMEND
	;;#ASMSTART
	v_dot2_f32_f16 v78, v81, v89, v78
	;;#ASMEND
	;;#ASMSTART
	v_dot2_f32_f16 v78, v82, v90, v78
	;;#ASMEND
	;;#ASMSTART
	v_dot2_f32_f16 v78, v83, v91, v78
	;;#ASMEND
	;; [unrolled: 13-line block ×8, first 2 shown]
	;;#ASMSTART
	v_dot2_f32_f16 v66, v100, v84, v66
	;;#ASMEND
	;;#ASMSTART
	v_dot2_f32_f16 v66, v101, v85, v66
	;;#ASMEND
	;; [unrolled: 3-line block ×32, first 2 shown]
	ds_load_b128 v[80:83], v22 offset:16496
	ds_load_b128 v[84:87], v17 offset:112
	ds_load_b128 v[88:91], v17 offset:368
	ds_load_b128 v[92:95], v17 offset:624
	ds_load_b128 v[96:99], v17 offset:880
	ds_load_b128 v[100:103], v22 offset:21104
	ds_load_b128 v[104:107], v17 offset:1136
	ds_load_b128 v[108:111], v17 offset:1392
	ds_load_b128 v[112:115], v17 offset:1648
	ds_load_b128 v[116:119], v17 offset:1904
	s_waitcnt lgkmcnt(8)
	;;#ASMSTART
	v_dot2_f32_f16 v65, v80, v84, v65
	;;#ASMEND
	;;#ASMSTART
	v_dot2_f32_f16 v65, v81, v85, v65
	;;#ASMEND
	;;#ASMSTART
	v_dot2_f32_f16 v65, v82, v86, v65
	;;#ASMEND
	;;#ASMSTART
	v_dot2_f32_f16 v65, v83, v87, v65
	;;#ASMEND
	s_waitcnt lgkmcnt(7)
	;;#ASMSTART
	v_dot2_f32_f16 v78, v80, v88, v78
	;;#ASMEND
	;;#ASMSTART
	v_dot2_f32_f16 v78, v81, v89, v78
	;;#ASMEND
	;;#ASMSTART
	v_dot2_f32_f16 v78, v82, v90, v78
	;;#ASMEND
	;;#ASMSTART
	v_dot2_f32_f16 v78, v83, v91, v78
	;;#ASMEND
	;; [unrolled: 13-line block ×8, first 2 shown]
	;;#ASMSTART
	v_dot2_f32_f16 v66, v100, v84, v66
	;;#ASMEND
	;;#ASMSTART
	v_dot2_f32_f16 v66, v101, v85, v66
	;;#ASMEND
	;;#ASMSTART
	v_dot2_f32_f16 v66, v102, v86, v66
	;;#ASMEND
	;;#ASMSTART
	v_dot2_f32_f16 v66, v103, v87, v66
	;;#ASMEND
	;;#ASMSTART
	v_dot2_f32_f16 v79, v100, v88, v79
	;;#ASMEND
	;;#ASMSTART
	v_dot2_f32_f16 v79, v101, v89, v79
	;;#ASMEND
	;;#ASMSTART
	v_dot2_f32_f16 v79, v102, v90, v79
	;;#ASMEND
	;;#ASMSTART
	v_dot2_f32_f16 v79, v103, v91, v79
	;;#ASMEND
	;;#ASMSTART
	v_dot2_f32_f16 v77, v100, v92, v77
	;;#ASMEND
	;;#ASMSTART
	v_dot2_f32_f16 v77, v101, v93, v77
	;;#ASMEND
	;;#ASMSTART
	v_dot2_f32_f16 v77, v102, v94, v77
	;;#ASMEND
	;;#ASMSTART
	v_dot2_f32_f16 v77, v103, v95, v77
	;;#ASMEND
	;;#ASMSTART
	v_dot2_f32_f16 v75, v100, v96, v75
	;;#ASMEND
	;;#ASMSTART
	v_dot2_f32_f16 v75, v101, v97, v75
	;;#ASMEND
	;;#ASMSTART
	v_dot2_f32_f16 v75, v102, v98, v75
	;;#ASMEND
	;;#ASMSTART
	v_dot2_f32_f16 v75, v103, v99, v75
	;;#ASMEND
	;;#ASMSTART
	v_dot2_f32_f16 v73, v100, v104, v73
	;;#ASMEND
	;;#ASMSTART
	v_dot2_f32_f16 v73, v101, v105, v73
	;;#ASMEND
	;;#ASMSTART
	v_dot2_f32_f16 v73, v102, v106, v73
	;;#ASMEND
	;;#ASMSTART
	v_dot2_f32_f16 v73, v103, v107, v73
	;;#ASMEND
	;;#ASMSTART
	v_dot2_f32_f16 v71, v100, v108, v71
	;;#ASMEND
	;;#ASMSTART
	v_dot2_f32_f16 v71, v101, v109, v71
	;;#ASMEND
	;;#ASMSTART
	v_dot2_f32_f16 v71, v102, v110, v71
	;;#ASMEND
	;;#ASMSTART
	v_dot2_f32_f16 v71, v103, v111, v71
	;;#ASMEND
	;;#ASMSTART
	v_dot2_f32_f16 v64, v100, v112, v64
	;;#ASMEND
	;;#ASMSTART
	v_dot2_f32_f16 v64, v101, v113, v64
	;;#ASMEND
	;;#ASMSTART
	v_dot2_f32_f16 v64, v102, v114, v64
	;;#ASMEND
	;;#ASMSTART
	v_dot2_f32_f16 v64, v103, v115, v64
	;;#ASMEND
	;;#ASMSTART
	v_dot2_f32_f16 v62, v100, v116, v62
	;;#ASMEND
	;;#ASMSTART
	v_dot2_f32_f16 v62, v101, v117, v62
	;;#ASMEND
	;;#ASMSTART
	v_dot2_f32_f16 v62, v102, v118, v62
	;;#ASMEND
	;;#ASMSTART
	v_dot2_f32_f16 v62, v103, v119, v62
	;;#ASMEND
	s_barrier
	buffer_gl0_inv
	s_clause 0x1
	global_load_b128 v[80:83], v[0:1], off offset:128
	global_load_b128 v[0:3], v[2:3], off offset:128
	s_waitcnt vmcnt(1)
	ds_store_b128 v20, v[80:83]
	s_waitcnt vmcnt(0)
	ds_store_b128 v21, v[0:3]
	s_waitcnt lgkmcnt(0)
	s_barrier
	buffer_gl0_inv
	ds_load_b128 v[0:3], v22 offset:16384
	ds_load_b128 v[80:83], v17 offset:128
	;; [unrolled: 1-line block ×10, first 2 shown]
	s_waitcnt lgkmcnt(8)
	;;#ASMSTART
	v_dot2_f32_f16 v65, v0, v80, v65
	;;#ASMEND
	;;#ASMSTART
	v_dot2_f32_f16 v65, v1, v81, v65
	;;#ASMEND
	;;#ASMSTART
	v_dot2_f32_f16 v65, v2, v82, v65
	;;#ASMEND
	;;#ASMSTART
	v_dot2_f32_f16 v65, v3, v83, v65
	;;#ASMEND
	s_waitcnt lgkmcnt(7)
	;;#ASMSTART
	v_dot2_f32_f16 v78, v0, v84, v78
	;;#ASMEND
	;;#ASMSTART
	v_dot2_f32_f16 v78, v1, v85, v78
	;;#ASMEND
	;;#ASMSTART
	v_dot2_f32_f16 v78, v2, v86, v78
	;;#ASMEND
	;;#ASMSTART
	v_dot2_f32_f16 v78, v3, v87, v78
	;;#ASMEND
	;; [unrolled: 13-line block ×8, first 2 shown]
	;;#ASMSTART
	v_dot2_f32_f16 v66, v96, v80, v66
	;;#ASMEND
	;;#ASMSTART
	v_dot2_f32_f16 v66, v97, v81, v66
	;;#ASMEND
	;;#ASMSTART
	v_dot2_f32_f16 v66, v98, v82, v66
	;;#ASMEND
	;;#ASMSTART
	v_dot2_f32_f16 v66, v99, v83, v66
	;;#ASMEND
	;;#ASMSTART
	v_dot2_f32_f16 v79, v96, v84, v79
	;;#ASMEND
	;;#ASMSTART
	v_dot2_f32_f16 v79, v97, v85, v79
	;;#ASMEND
	;;#ASMSTART
	v_dot2_f32_f16 v79, v98, v86, v79
	;;#ASMEND
	;;#ASMSTART
	v_dot2_f32_f16 v79, v99, v87, v79
	;;#ASMEND
	;;#ASMSTART
	v_dot2_f32_f16 v77, v96, v88, v77
	;;#ASMEND
	;;#ASMSTART
	v_dot2_f32_f16 v77, v97, v89, v77
	;;#ASMEND
	;;#ASMSTART
	v_dot2_f32_f16 v77, v98, v90, v77
	;;#ASMEND
	;;#ASMSTART
	v_dot2_f32_f16 v77, v99, v91, v77
	;;#ASMEND
	;;#ASMSTART
	v_dot2_f32_f16 v75, v96, v92, v75
	;;#ASMEND
	;;#ASMSTART
	v_dot2_f32_f16 v75, v97, v93, v75
	;;#ASMEND
	;;#ASMSTART
	v_dot2_f32_f16 v75, v98, v94, v75
	;;#ASMEND
	;;#ASMSTART
	v_dot2_f32_f16 v75, v99, v95, v75
	;;#ASMEND
	;;#ASMSTART
	v_dot2_f32_f16 v73, v96, v100, v73
	;;#ASMEND
	;;#ASMSTART
	v_dot2_f32_f16 v73, v97, v101, v73
	;;#ASMEND
	;;#ASMSTART
	v_dot2_f32_f16 v73, v98, v102, v73
	;;#ASMEND
	;;#ASMSTART
	v_dot2_f32_f16 v73, v99, v103, v73
	;;#ASMEND
	;;#ASMSTART
	v_dot2_f32_f16 v71, v96, v104, v71
	;;#ASMEND
	;;#ASMSTART
	v_dot2_f32_f16 v71, v97, v105, v71
	;;#ASMEND
	;;#ASMSTART
	v_dot2_f32_f16 v71, v98, v106, v71
	;;#ASMEND
	;;#ASMSTART
	v_dot2_f32_f16 v71, v99, v107, v71
	;;#ASMEND
	;;#ASMSTART
	v_dot2_f32_f16 v64, v96, v108, v64
	;;#ASMEND
	;;#ASMSTART
	v_dot2_f32_f16 v64, v97, v109, v64
	;;#ASMEND
	;;#ASMSTART
	v_dot2_f32_f16 v64, v98, v110, v64
	;;#ASMEND
	;;#ASMSTART
	v_dot2_f32_f16 v64, v99, v111, v64
	;;#ASMEND
	;;#ASMSTART
	v_dot2_f32_f16 v62, v96, v112, v62
	;;#ASMEND
	;;#ASMSTART
	v_dot2_f32_f16 v62, v97, v113, v62
	;;#ASMEND
	;;#ASMSTART
	v_dot2_f32_f16 v62, v98, v114, v62
	;;#ASMEND
	;;#ASMSTART
	v_dot2_f32_f16 v62, v99, v115, v62
	;;#ASMEND
	ds_load_b128 v[0:3], v22 offset:16400
	ds_load_b128 v[80:83], v17 offset:144
	;; [unrolled: 1-line block ×10, first 2 shown]
	s_waitcnt lgkmcnt(8)
	;;#ASMSTART
	v_dot2_f32_f16 v65, v0, v80, v65
	;;#ASMEND
	;;#ASMSTART
	v_dot2_f32_f16 v65, v1, v81, v65
	;;#ASMEND
	;;#ASMSTART
	v_dot2_f32_f16 v65, v2, v82, v65
	;;#ASMEND
	;;#ASMSTART
	v_dot2_f32_f16 v65, v3, v83, v65
	;;#ASMEND
	s_waitcnt lgkmcnt(7)
	;;#ASMSTART
	v_dot2_f32_f16 v78, v0, v84, v78
	;;#ASMEND
	;;#ASMSTART
	v_dot2_f32_f16 v78, v1, v85, v78
	;;#ASMEND
	;;#ASMSTART
	v_dot2_f32_f16 v78, v2, v86, v78
	;;#ASMEND
	;;#ASMSTART
	v_dot2_f32_f16 v78, v3, v87, v78
	;;#ASMEND
	;; [unrolled: 13-line block ×8, first 2 shown]
	;;#ASMSTART
	v_dot2_f32_f16 v66, v96, v80, v66
	;;#ASMEND
	;;#ASMSTART
	v_dot2_f32_f16 v66, v97, v81, v66
	;;#ASMEND
	;; [unrolled: 3-line block ×32, first 2 shown]
	ds_load_b128 v[0:3], v22 offset:16416
	ds_load_b128 v[80:83], v17 offset:160
	;; [unrolled: 1-line block ×10, first 2 shown]
	s_waitcnt lgkmcnt(8)
	;;#ASMSTART
	v_dot2_f32_f16 v65, v0, v80, v65
	;;#ASMEND
	;;#ASMSTART
	v_dot2_f32_f16 v65, v1, v81, v65
	;;#ASMEND
	;;#ASMSTART
	v_dot2_f32_f16 v65, v2, v82, v65
	;;#ASMEND
	;;#ASMSTART
	v_dot2_f32_f16 v65, v3, v83, v65
	;;#ASMEND
	s_waitcnt lgkmcnt(7)
	;;#ASMSTART
	v_dot2_f32_f16 v78, v0, v84, v78
	;;#ASMEND
	;;#ASMSTART
	v_dot2_f32_f16 v78, v1, v85, v78
	;;#ASMEND
	;;#ASMSTART
	v_dot2_f32_f16 v78, v2, v86, v78
	;;#ASMEND
	;;#ASMSTART
	v_dot2_f32_f16 v78, v3, v87, v78
	;;#ASMEND
	s_waitcnt lgkmcnt(6)
	;;#ASMSTART
	v_dot2_f32_f16 v76, v0, v88, v76
	;;#ASMEND
	;;#ASMSTART
	v_dot2_f32_f16 v76, v1, v89, v76
	;;#ASMEND
	;;#ASMSTART
	v_dot2_f32_f16 v76, v2, v90, v76
	;;#ASMEND
	;;#ASMSTART
	v_dot2_f32_f16 v76, v3, v91, v76
	;;#ASMEND
	s_waitcnt lgkmcnt(5)
	;;#ASMSTART
	v_dot2_f32_f16 v74, v0, v92, v74
	;;#ASMEND
	;;#ASMSTART
	v_dot2_f32_f16 v74, v1, v93, v74
	;;#ASMEND
	;;#ASMSTART
	v_dot2_f32_f16 v74, v2, v94, v74
	;;#ASMEND
	;;#ASMSTART
	v_dot2_f32_f16 v74, v3, v95, v74
	;;#ASMEND
	s_waitcnt lgkmcnt(3)
	;;#ASMSTART
	v_dot2_f32_f16 v72, v0, v100, v72
	;;#ASMEND
	;;#ASMSTART
	v_dot2_f32_f16 v72, v1, v101, v72
	;;#ASMEND
	;;#ASMSTART
	v_dot2_f32_f16 v72, v2, v102, v72
	;;#ASMEND
	;;#ASMSTART
	v_dot2_f32_f16 v72, v3, v103, v72
	;;#ASMEND
	s_waitcnt lgkmcnt(2)
	;;#ASMSTART
	v_dot2_f32_f16 v69, v0, v104, v69
	;;#ASMEND
	;;#ASMSTART
	v_dot2_f32_f16 v69, v1, v105, v69
	;;#ASMEND
	;;#ASMSTART
	v_dot2_f32_f16 v69, v2, v106, v69
	;;#ASMEND
	;;#ASMSTART
	v_dot2_f32_f16 v69, v3, v107, v69
	;;#ASMEND
	s_waitcnt lgkmcnt(1)
	;;#ASMSTART
	v_dot2_f32_f16 v63, v0, v108, v63
	;;#ASMEND
	;;#ASMSTART
	v_dot2_f32_f16 v63, v1, v109, v63
	;;#ASMEND
	;;#ASMSTART
	v_dot2_f32_f16 v63, v2, v110, v63
	;;#ASMEND
	;;#ASMSTART
	v_dot2_f32_f16 v63, v3, v111, v63
	;;#ASMEND
	s_waitcnt lgkmcnt(0)
	;;#ASMSTART
	v_dot2_f32_f16 v61, v0, v112, v61
	;;#ASMEND
	;;#ASMSTART
	v_dot2_f32_f16 v61, v1, v113, v61
	;;#ASMEND
	;;#ASMSTART
	v_dot2_f32_f16 v61, v2, v114, v61
	;;#ASMEND
	;;#ASMSTART
	v_dot2_f32_f16 v61, v3, v115, v61
	;;#ASMEND
	;;#ASMSTART
	v_dot2_f32_f16 v66, v96, v80, v66
	;;#ASMEND
	;;#ASMSTART
	v_dot2_f32_f16 v66, v97, v81, v66
	;;#ASMEND
	;; [unrolled: 3-line block ×32, first 2 shown]
	ds_load_b128 v[0:3], v22 offset:16432
	ds_load_b128 v[80:83], v17 offset:176
	;; [unrolled: 1-line block ×10, first 2 shown]
	s_waitcnt lgkmcnt(8)
	;;#ASMSTART
	v_dot2_f32_f16 v65, v0, v80, v65
	;;#ASMEND
	;;#ASMSTART
	v_dot2_f32_f16 v65, v1, v81, v65
	;;#ASMEND
	;;#ASMSTART
	v_dot2_f32_f16 v65, v2, v82, v65
	;;#ASMEND
	;;#ASMSTART
	v_dot2_f32_f16 v65, v3, v83, v65
	;;#ASMEND
	s_waitcnt lgkmcnt(7)
	;;#ASMSTART
	v_dot2_f32_f16 v78, v0, v84, v78
	;;#ASMEND
	;;#ASMSTART
	v_dot2_f32_f16 v78, v1, v85, v78
	;;#ASMEND
	;;#ASMSTART
	v_dot2_f32_f16 v78, v2, v86, v78
	;;#ASMEND
	;;#ASMSTART
	v_dot2_f32_f16 v78, v3, v87, v78
	;;#ASMEND
	;; [unrolled: 13-line block ×8, first 2 shown]
	;;#ASMSTART
	v_dot2_f32_f16 v66, v96, v80, v66
	;;#ASMEND
	;;#ASMSTART
	v_dot2_f32_f16 v66, v97, v81, v66
	;;#ASMEND
	;; [unrolled: 3-line block ×32, first 2 shown]
	ds_load_b128 v[0:3], v22 offset:16448
	ds_load_b128 v[80:83], v17 offset:192
	;; [unrolled: 1-line block ×10, first 2 shown]
	s_waitcnt lgkmcnt(8)
	;;#ASMSTART
	v_dot2_f32_f16 v65, v0, v80, v65
	;;#ASMEND
	;;#ASMSTART
	v_dot2_f32_f16 v65, v1, v81, v65
	;;#ASMEND
	;;#ASMSTART
	v_dot2_f32_f16 v65, v2, v82, v65
	;;#ASMEND
	;;#ASMSTART
	v_dot2_f32_f16 v65, v3, v83, v65
	;;#ASMEND
	s_waitcnt lgkmcnt(7)
	;;#ASMSTART
	v_dot2_f32_f16 v78, v0, v84, v78
	;;#ASMEND
	;;#ASMSTART
	v_dot2_f32_f16 v78, v1, v85, v78
	;;#ASMEND
	;;#ASMSTART
	v_dot2_f32_f16 v78, v2, v86, v78
	;;#ASMEND
	;;#ASMSTART
	v_dot2_f32_f16 v78, v3, v87, v78
	;;#ASMEND
	s_waitcnt lgkmcnt(6)
	;;#ASMSTART
	v_dot2_f32_f16 v76, v0, v88, v76
	;;#ASMEND
	;;#ASMSTART
	v_dot2_f32_f16 v76, v1, v89, v76
	;;#ASMEND
	;;#ASMSTART
	v_dot2_f32_f16 v76, v2, v90, v76
	;;#ASMEND
	;;#ASMSTART
	v_dot2_f32_f16 v76, v3, v91, v76
	;;#ASMEND
	s_waitcnt lgkmcnt(5)
	;;#ASMSTART
	v_dot2_f32_f16 v74, v0, v92, v74
	;;#ASMEND
	;;#ASMSTART
	v_dot2_f32_f16 v74, v1, v93, v74
	;;#ASMEND
	;;#ASMSTART
	v_dot2_f32_f16 v74, v2, v94, v74
	;;#ASMEND
	;;#ASMSTART
	v_dot2_f32_f16 v74, v3, v95, v74
	;;#ASMEND
	s_waitcnt lgkmcnt(3)
	;;#ASMSTART
	v_dot2_f32_f16 v72, v0, v100, v72
	;;#ASMEND
	;;#ASMSTART
	v_dot2_f32_f16 v72, v1, v101, v72
	;;#ASMEND
	;;#ASMSTART
	v_dot2_f32_f16 v72, v2, v102, v72
	;;#ASMEND
	;;#ASMSTART
	v_dot2_f32_f16 v72, v3, v103, v72
	;;#ASMEND
	s_waitcnt lgkmcnt(2)
	;;#ASMSTART
	v_dot2_f32_f16 v69, v0, v104, v69
	;;#ASMEND
	;;#ASMSTART
	v_dot2_f32_f16 v69, v1, v105, v69
	;;#ASMEND
	;;#ASMSTART
	v_dot2_f32_f16 v69, v2, v106, v69
	;;#ASMEND
	;;#ASMSTART
	v_dot2_f32_f16 v69, v3, v107, v69
	;;#ASMEND
	s_waitcnt lgkmcnt(1)
	;;#ASMSTART
	v_dot2_f32_f16 v63, v0, v108, v63
	;;#ASMEND
	;;#ASMSTART
	v_dot2_f32_f16 v63, v1, v109, v63
	;;#ASMEND
	;;#ASMSTART
	v_dot2_f32_f16 v63, v2, v110, v63
	;;#ASMEND
	;;#ASMSTART
	v_dot2_f32_f16 v63, v3, v111, v63
	;;#ASMEND
	s_waitcnt lgkmcnt(0)
	;;#ASMSTART
	v_dot2_f32_f16 v61, v0, v112, v61
	;;#ASMEND
	;;#ASMSTART
	v_dot2_f32_f16 v61, v1, v113, v61
	;;#ASMEND
	;;#ASMSTART
	v_dot2_f32_f16 v61, v2, v114, v61
	;;#ASMEND
	;;#ASMSTART
	v_dot2_f32_f16 v61, v3, v115, v61
	;;#ASMEND
	;;#ASMSTART
	v_dot2_f32_f16 v66, v96, v80, v66
	;;#ASMEND
	;;#ASMSTART
	v_dot2_f32_f16 v66, v97, v81, v66
	;;#ASMEND
	;; [unrolled: 3-line block ×32, first 2 shown]
	ds_load_b128 v[0:3], v22 offset:16464
	ds_load_b128 v[80:83], v17 offset:208
	;; [unrolled: 1-line block ×10, first 2 shown]
	s_waitcnt lgkmcnt(8)
	;;#ASMSTART
	v_dot2_f32_f16 v65, v0, v80, v65
	;;#ASMEND
	;;#ASMSTART
	v_dot2_f32_f16 v65, v1, v81, v65
	;;#ASMEND
	;;#ASMSTART
	v_dot2_f32_f16 v65, v2, v82, v65
	;;#ASMEND
	;;#ASMSTART
	v_dot2_f32_f16 v65, v3, v83, v65
	;;#ASMEND
	s_waitcnt lgkmcnt(7)
	;;#ASMSTART
	v_dot2_f32_f16 v78, v0, v84, v78
	;;#ASMEND
	;;#ASMSTART
	v_dot2_f32_f16 v78, v1, v85, v78
	;;#ASMEND
	;;#ASMSTART
	v_dot2_f32_f16 v78, v2, v86, v78
	;;#ASMEND
	;;#ASMSTART
	v_dot2_f32_f16 v78, v3, v87, v78
	;;#ASMEND
	;; [unrolled: 13-line block ×8, first 2 shown]
	;;#ASMSTART
	v_dot2_f32_f16 v66, v96, v80, v66
	;;#ASMEND
	;;#ASMSTART
	v_dot2_f32_f16 v66, v97, v81, v66
	;;#ASMEND
	;; [unrolled: 3-line block ×32, first 2 shown]
	ds_load_b128 v[0:3], v22 offset:16480
	ds_load_b128 v[80:83], v17 offset:224
	;; [unrolled: 1-line block ×10, first 2 shown]
	s_waitcnt lgkmcnt(8)
	;;#ASMSTART
	v_dot2_f32_f16 v65, v0, v80, v65
	;;#ASMEND
	;;#ASMSTART
	v_dot2_f32_f16 v65, v1, v81, v65
	;;#ASMEND
	;;#ASMSTART
	v_dot2_f32_f16 v65, v2, v82, v65
	;;#ASMEND
	;;#ASMSTART
	v_dot2_f32_f16 v65, v3, v83, v65
	;;#ASMEND
	s_waitcnt lgkmcnt(7)
	;;#ASMSTART
	v_dot2_f32_f16 v78, v0, v84, v78
	;;#ASMEND
	;;#ASMSTART
	v_dot2_f32_f16 v78, v1, v85, v78
	;;#ASMEND
	;;#ASMSTART
	v_dot2_f32_f16 v78, v2, v86, v78
	;;#ASMEND
	;;#ASMSTART
	v_dot2_f32_f16 v78, v3, v87, v78
	;;#ASMEND
	s_waitcnt lgkmcnt(6)
	;;#ASMSTART
	v_dot2_f32_f16 v76, v0, v88, v76
	;;#ASMEND
	;;#ASMSTART
	v_dot2_f32_f16 v76, v1, v89, v76
	;;#ASMEND
	;;#ASMSTART
	v_dot2_f32_f16 v76, v2, v90, v76
	;;#ASMEND
	;;#ASMSTART
	v_dot2_f32_f16 v76, v3, v91, v76
	;;#ASMEND
	s_waitcnt lgkmcnt(5)
	;;#ASMSTART
	v_dot2_f32_f16 v74, v0, v92, v74
	;;#ASMEND
	;;#ASMSTART
	v_dot2_f32_f16 v74, v1, v93, v74
	;;#ASMEND
	;;#ASMSTART
	v_dot2_f32_f16 v74, v2, v94, v74
	;;#ASMEND
	;;#ASMSTART
	v_dot2_f32_f16 v74, v3, v95, v74
	;;#ASMEND
	s_waitcnt lgkmcnt(3)
	;;#ASMSTART
	v_dot2_f32_f16 v72, v0, v100, v72
	;;#ASMEND
	;;#ASMSTART
	v_dot2_f32_f16 v72, v1, v101, v72
	;;#ASMEND
	;;#ASMSTART
	v_dot2_f32_f16 v72, v2, v102, v72
	;;#ASMEND
	;;#ASMSTART
	v_dot2_f32_f16 v72, v3, v103, v72
	;;#ASMEND
	s_waitcnt lgkmcnt(2)
	;;#ASMSTART
	v_dot2_f32_f16 v69, v0, v104, v69
	;;#ASMEND
	;;#ASMSTART
	v_dot2_f32_f16 v69, v1, v105, v69
	;;#ASMEND
	;;#ASMSTART
	v_dot2_f32_f16 v69, v2, v106, v69
	;;#ASMEND
	;;#ASMSTART
	v_dot2_f32_f16 v69, v3, v107, v69
	;;#ASMEND
	s_waitcnt lgkmcnt(1)
	;;#ASMSTART
	v_dot2_f32_f16 v63, v0, v108, v63
	;;#ASMEND
	;;#ASMSTART
	v_dot2_f32_f16 v63, v1, v109, v63
	;;#ASMEND
	;;#ASMSTART
	v_dot2_f32_f16 v63, v2, v110, v63
	;;#ASMEND
	;;#ASMSTART
	v_dot2_f32_f16 v63, v3, v111, v63
	;;#ASMEND
	s_waitcnt lgkmcnt(0)
	;;#ASMSTART
	v_dot2_f32_f16 v61, v0, v112, v61
	;;#ASMEND
	;;#ASMSTART
	v_dot2_f32_f16 v61, v1, v113, v61
	;;#ASMEND
	;;#ASMSTART
	v_dot2_f32_f16 v61, v2, v114, v61
	;;#ASMEND
	;;#ASMSTART
	v_dot2_f32_f16 v61, v3, v115, v61
	;;#ASMEND
	;;#ASMSTART
	v_dot2_f32_f16 v66, v96, v80, v66
	;;#ASMEND
	;;#ASMSTART
	v_dot2_f32_f16 v66, v97, v81, v66
	;;#ASMEND
	;; [unrolled: 3-line block ×32, first 2 shown]
	ds_load_b128 v[0:3], v22 offset:16496
	ds_load_b128 v[80:83], v17 offset:240
	;; [unrolled: 1-line block ×10, first 2 shown]
	s_waitcnt lgkmcnt(8)
	;;#ASMSTART
	v_dot2_f32_f16 v65, v0, v80, v65
	;;#ASMEND
	;;#ASMSTART
	v_dot2_f32_f16 v65, v1, v81, v65
	;;#ASMEND
	;;#ASMSTART
	v_dot2_f32_f16 v65, v2, v82, v65
	;;#ASMEND
	;;#ASMSTART
	v_dot2_f32_f16 v65, v3, v83, v65
	;;#ASMEND
	s_waitcnt lgkmcnt(7)
	;;#ASMSTART
	v_dot2_f32_f16 v78, v0, v84, v78
	;;#ASMEND
	;;#ASMSTART
	v_dot2_f32_f16 v78, v1, v85, v78
	;;#ASMEND
	;;#ASMSTART
	v_dot2_f32_f16 v78, v2, v86, v78
	;;#ASMEND
	;;#ASMSTART
	v_dot2_f32_f16 v78, v3, v87, v78
	;;#ASMEND
	;; [unrolled: 13-line block ×8, first 2 shown]
	;;#ASMSTART
	v_dot2_f32_f16 v66, v96, v80, v66
	;;#ASMEND
	;;#ASMSTART
	v_dot2_f32_f16 v66, v97, v81, v66
	;;#ASMEND
	;; [unrolled: 3-line block ×25, first 2 shown]
	v_cmp_ngt_f32_e64 s18, 0x3f200000, |v65|
	;;#ASMSTART
	v_dot2_f32_f16 v64, v97, v109, v64
	;;#ASMEND
	;;#ASMSTART
	v_dot2_f32_f16 v64, v98, v110, v64
	;;#ASMEND
	;; [unrolled: 3-line block ×7, first 2 shown]
                                        ; implicit-def: $vgpr2
	s_and_saveexec_b32 s19, s18
	s_delay_alu instid0(SALU_CYCLE_1)
	s_xor_b32 s18, exec_lo, s19
	s_cbranch_execz .LBB71_11
; %bb.10:                               ;   in Loop: Header=BB71_9 Depth=1
	v_add_f32_e64 v0, |v65|, |v65|
	s_delay_alu instid0(VALU_DEP_1) | instskip(SKIP_1) | instid1(VALU_DEP_2)
	v_mul_f32_e32 v1, 0x3fb8aa3b, v0
	v_cmp_ngt_f32_e32 vcc_lo, 0xc2ce8ed0, v0
	v_rndne_f32_e32 v2, v1
	v_fma_f32 v3, 0x3fb8aa3b, v0, -v1
	s_delay_alu instid0(VALU_DEP_2) | instskip(NEXT) | instid1(VALU_DEP_2)
	v_sub_f32_e32 v1, v1, v2
	v_fmac_f32_e32 v3, 0x32a5705f, v0
	v_cvt_i32_f32_e32 v2, v2
	s_delay_alu instid0(VALU_DEP_2) | instskip(NEXT) | instid1(VALU_DEP_1)
	v_add_f32_e32 v1, v1, v3
	v_exp_f32_e32 v1, v1
	s_waitcnt_depctr 0xfff
	v_ldexp_f32 v1, v1, v2
	s_delay_alu instid0(VALU_DEP_1) | instskip(SKIP_1) | instid1(VALU_DEP_2)
	v_cndmask_b32_e32 v1, 0, v1, vcc_lo
	v_cmp_nlt_f32_e32 vcc_lo, 0x42b17218, v0
	v_cndmask_b32_e32 v0, 0x7f800000, v1, vcc_lo
	s_delay_alu instid0(VALU_DEP_1) | instskip(NEXT) | instid1(VALU_DEP_1)
	v_add_f32_e32 v0, 1.0, v0
	v_rcp_f32_e32 v0, v0
	s_waitcnt_depctr 0xfff
	v_fma_f32 v2, v0, -2.0, 1.0
.LBB71_11:                              ;   in Loop: Header=BB71_9 Depth=1
	s_and_not1_saveexec_b32 s18, s18
; %bb.12:                               ;   in Loop: Header=BB71_9 Depth=1
	v_mul_f32_e32 v0, v65, v65
	s_delay_alu instid0(VALU_DEP_1) | instskip(NEXT) | instid1(VALU_DEP_1)
	v_fmaak_f32 v1, s17, v0, 0x3ca908c9
	v_fmaak_f32 v1, v0, v1, 0xbd5c1c4e
	s_delay_alu instid0(VALU_DEP_1) | instskip(NEXT) | instid1(VALU_DEP_1)
	v_fmaak_f32 v1, v0, v1, 0x3e088382
	v_fmaak_f32 v1, v0, v1, 0xbeaaaa99
	s_delay_alu instid0(VALU_DEP_1) | instskip(NEXT) | instid1(VALU_DEP_1)
	v_mul_f32_e64 v1, |v65|, v1
	v_fma_f32 v2, v0, v1, |v65|
; %bb.13:                               ;   in Loop: Header=BB71_9 Depth=1
	s_or_b32 exec_lo, exec_lo, s18
	v_add_nc_u32_e32 v0, s3, v8
	v_cmp_ngt_f32_e64 s18, 0x3f200000, |v66|
                                        ; implicit-def: $vgpr3
	s_delay_alu instid0(VALU_DEP_2) | instskip(NEXT) | instid1(VALU_DEP_1)
	v_ashrrev_i32_e32 v1, 31, v0
	v_lshlrev_b64 v[0:1], 1, v[0:1]
	s_delay_alu instid0(VALU_DEP_1) | instskip(NEXT) | instid1(VALU_DEP_2)
	v_add_co_u32 v0, vcc_lo, s36, v0
	v_add_co_ci_u32_e32 v1, vcc_lo, s37, v1, vcc_lo
	flat_load_u16 v80, v[0:1]
	s_and_saveexec_b32 s19, s18
	s_delay_alu instid0(SALU_CYCLE_1)
	s_xor_b32 s18, exec_lo, s19
	s_cbranch_execz .LBB71_15
; %bb.14:                               ;   in Loop: Header=BB71_9 Depth=1
	v_add_f32_e64 v3, |v66|, |v66|
	s_delay_alu instid0(VALU_DEP_1) | instskip(SKIP_1) | instid1(VALU_DEP_2)
	v_mul_f32_e32 v67, 0x3fb8aa3b, v3
	v_cmp_ngt_f32_e32 vcc_lo, 0xc2ce8ed0, v3
	v_rndne_f32_e32 v68, v67
	v_fma_f32 v70, 0x3fb8aa3b, v3, -v67
	s_delay_alu instid0(VALU_DEP_1) | instskip(SKIP_1) | instid1(VALU_DEP_2)
	v_dual_sub_f32 v67, v67, v68 :: v_dual_fmac_f32 v70, 0x32a5705f, v3
	v_cvt_i32_f32_e32 v68, v68
	v_add_f32_e32 v67, v67, v70
	s_delay_alu instid0(VALU_DEP_1) | instskip(SKIP_2) | instid1(VALU_DEP_1)
	v_exp_f32_e32 v67, v67
	s_waitcnt_depctr 0xfff
	v_ldexp_f32 v67, v67, v68
	v_cndmask_b32_e32 v67, 0, v67, vcc_lo
	v_cmp_nlt_f32_e32 vcc_lo, 0x42b17218, v3
	s_delay_alu instid0(VALU_DEP_2) | instskip(NEXT) | instid1(VALU_DEP_1)
	v_cndmask_b32_e32 v3, 0x7f800000, v67, vcc_lo
	v_add_f32_e32 v3, 1.0, v3
	s_delay_alu instid0(VALU_DEP_1)
	v_rcp_f32_e32 v3, v3
	s_waitcnt_depctr 0xfff
	v_fma_f32 v3, v3, -2.0, 1.0
.LBB71_15:                              ;   in Loop: Header=BB71_9 Depth=1
	s_and_not1_saveexec_b32 s18, s18
; %bb.16:                               ;   in Loop: Header=BB71_9 Depth=1
	v_mul_f32_e32 v3, v66, v66
	s_delay_alu instid0(VALU_DEP_1) | instskip(NEXT) | instid1(VALU_DEP_1)
	v_fmaak_f32 v67, s17, v3, 0x3ca908c9
	v_fmaak_f32 v67, v3, v67, 0xbd5c1c4e
	s_delay_alu instid0(VALU_DEP_1) | instskip(NEXT) | instid1(VALU_DEP_1)
	v_fmaak_f32 v67, v3, v67, 0x3e088382
	v_fmaak_f32 v67, v3, v67, 0xbeaaaa99
	s_delay_alu instid0(VALU_DEP_1) | instskip(NEXT) | instid1(VALU_DEP_1)
	v_mul_f32_e64 v67, |v66|, v67
	v_fma_f32 v3, v3, v67, |v66|
; %bb.17:                               ;   in Loop: Header=BB71_9 Depth=1
	s_or_b32 exec_lo, exec_lo, s18
	flat_load_u16 v1, v[0:1] offset:64
	v_bfi_b32 v0, 0x7fffffff, v2, v65
	v_bfi_b32 v2, 0x7fffffff, v3, v66
	v_xor_b32_e32 v70, 16, v19
	v_xor_b32_e32 v68, 8, v19
	;; [unrolled: 1-line block ×3, first 2 shown]
	s_waitcnt vmcnt(1) lgkmcnt(1)
	v_fma_mix_f32 v84, v0, s8, v80 op_sel_hi:[0,0,1]
	v_xor_b32_e32 v66, 2, v19
	v_cmp_gt_i32_e32 vcc_lo, 32, v70
	v_cmp_ngt_f32_e64 s18, 0x3f200000, |v78|
	v_cndmask_b32_e32 v0, v19, v70, vcc_lo
	v_cmp_gt_i32_e32 vcc_lo, 32, v68
	s_waitcnt vmcnt(0) lgkmcnt(0)
	v_fma_mix_f32 v85, v2, s8, v1 op_sel_hi:[0,0,1]
	s_delay_alu instid0(VALU_DEP_1) | instskip(NEXT) | instid1(VALU_DEP_1)
	v_dual_add_f32 v2, 0x40051340, v84 :: v_dual_add_f32 v3, 0x40051340, v85
	v_max3_f32 v2, v59, v2, v3
	v_cndmask_b32_e32 v65, v19, v68, vcc_lo
	v_cmp_gt_i32_e32 vcc_lo, 32, v67
	s_delay_alu instid0(VALU_DEP_2) | instskip(SKIP_1) | instid1(VALU_DEP_2)
	v_dual_cndmask_b32 v65, v19, v67 :: v_dual_lshlrev_b32 v86, 2, v65
	v_cmp_gt_i32_e32 vcc_lo, 32, v66
	v_lshlrev_b32_e32 v83, 2, v65
	v_dual_cndmask_b32 v65, v19, v66 :: v_dual_lshlrev_b32 v0, 2, v0
	ds_bpermute_b32 v3, v0, v2
	v_lshlrev_b32_e32 v82, 2, v65
	v_xor_b32_e32 v65, 1, v19
	s_delay_alu instid0(VALU_DEP_1) | instskip(SKIP_3) | instid1(VALU_DEP_1)
	v_cmp_gt_i32_e32 vcc_lo, 32, v65
	v_cndmask_b32_e32 v81, v19, v65, vcc_lo
	s_waitcnt lgkmcnt(0)
	v_max_f32_e32 v3, v3, v3
	v_max_f32_e32 v2, v2, v3
	ds_bpermute_b32 v3, v86, v2
	s_waitcnt lgkmcnt(0)
	v_max_f32_e32 v3, v3, v3
	s_delay_alu instid0(VALU_DEP_1) | instskip(SKIP_3) | instid1(VALU_DEP_1)
	v_max_f32_e32 v2, v2, v3
	ds_bpermute_b32 v3, v83, v2
	s_waitcnt lgkmcnt(0)
	v_max_f32_e32 v3, v3, v3
	v_max_f32_e32 v2, v2, v3
	ds_bpermute_b32 v3, v82, v2
	s_waitcnt lgkmcnt(0)
	v_max_f32_e32 v87, v3, v3
	s_delay_alu instid0(VALU_DEP_1) | instskip(SKIP_2) | instid1(SALU_CYCLE_1)
	v_dual_max_f32 v2, v2, v87 :: v_dual_lshlrev_b32 v3, 2, v81
                                        ; implicit-def: $vgpr87
	ds_bpermute_b32 v97, v3, v2
	s_and_saveexec_b32 s19, s18
	s_xor_b32 s18, exec_lo, s19
	s_cbranch_execz .LBB71_19
; %bb.18:                               ;   in Loop: Header=BB71_9 Depth=1
	v_add_f32_e64 v81, |v78|, |v78|
	s_delay_alu instid0(VALU_DEP_1) | instskip(SKIP_1) | instid1(VALU_DEP_2)
	v_mul_f32_e32 v87, 0x3fb8aa3b, v81
	v_cmp_ngt_f32_e32 vcc_lo, 0xc2ce8ed0, v81
	v_rndne_f32_e32 v88, v87
	v_fma_f32 v89, 0x3fb8aa3b, v81, -v87
	s_delay_alu instid0(VALU_DEP_2) | instskip(NEXT) | instid1(VALU_DEP_2)
	v_sub_f32_e32 v87, v87, v88
	v_fmac_f32_e32 v89, 0x32a5705f, v81
	v_cvt_i32_f32_e32 v88, v88
	s_delay_alu instid0(VALU_DEP_2) | instskip(NEXT) | instid1(VALU_DEP_1)
	v_add_f32_e32 v87, v87, v89
	v_exp_f32_e32 v87, v87
	s_waitcnt_depctr 0xfff
	v_ldexp_f32 v87, v87, v88
	s_delay_alu instid0(VALU_DEP_1) | instskip(SKIP_1) | instid1(VALU_DEP_2)
	v_cndmask_b32_e32 v87, 0, v87, vcc_lo
	v_cmp_nlt_f32_e32 vcc_lo, 0x42b17218, v81
	v_cndmask_b32_e32 v81, 0x7f800000, v87, vcc_lo
	s_delay_alu instid0(VALU_DEP_1) | instskip(NEXT) | instid1(VALU_DEP_1)
	v_add_f32_e32 v81, 1.0, v81
	v_rcp_f32_e32 v81, v81
	s_waitcnt_depctr 0xfff
	v_fma_f32 v87, v81, -2.0, 1.0
.LBB71_19:                              ;   in Loop: Header=BB71_9 Depth=1
	s_and_not1_saveexec_b32 s18, s18
; %bb.20:                               ;   in Loop: Header=BB71_9 Depth=1
	v_mul_f32_e32 v81, v78, v78
	s_delay_alu instid0(VALU_DEP_1) | instskip(NEXT) | instid1(VALU_DEP_1)
	v_fmaak_f32 v87, s17, v81, 0x3ca908c9
	v_fmaak_f32 v87, v81, v87, 0xbd5c1c4e
	s_delay_alu instid0(VALU_DEP_1) | instskip(NEXT) | instid1(VALU_DEP_1)
	v_fmaak_f32 v87, v81, v87, 0x3e088382
	v_fmaak_f32 v87, v81, v87, 0xbeaaaa99
	s_delay_alu instid0(VALU_DEP_1) | instskip(NEXT) | instid1(VALU_DEP_1)
	v_mul_f32_e64 v87, |v78|, v87
	v_fma_f32 v87, v81, v87, |v78|
; %bb.21:                               ;   in Loop: Header=BB71_9 Depth=1
	s_or_b32 exec_lo, exec_lo, s18
	v_cmp_ngt_f32_e64 s18, 0x3f200000, |v79|
                                        ; implicit-def: $vgpr88
	s_delay_alu instid0(VALU_DEP_1) | instskip(NEXT) | instid1(SALU_CYCLE_1)
	s_and_saveexec_b32 s19, s18
	s_xor_b32 s18, exec_lo, s19
	s_cbranch_execz .LBB71_23
; %bb.22:                               ;   in Loop: Header=BB71_9 Depth=1
	v_add_f32_e64 v81, |v79|, |v79|
	s_delay_alu instid0(VALU_DEP_1) | instskip(SKIP_1) | instid1(VALU_DEP_2)
	v_mul_f32_e32 v88, 0x3fb8aa3b, v81
	v_cmp_ngt_f32_e32 vcc_lo, 0xc2ce8ed0, v81
	v_rndne_f32_e32 v89, v88
	v_fma_f32 v90, 0x3fb8aa3b, v81, -v88
	s_delay_alu instid0(VALU_DEP_2) | instskip(NEXT) | instid1(VALU_DEP_2)
	v_sub_f32_e32 v88, v88, v89
	v_fmac_f32_e32 v90, 0x32a5705f, v81
	v_cvt_i32_f32_e32 v89, v89
	s_delay_alu instid0(VALU_DEP_2) | instskip(NEXT) | instid1(VALU_DEP_1)
	v_add_f32_e32 v88, v88, v90
	v_exp_f32_e32 v88, v88
	s_waitcnt_depctr 0xfff
	v_ldexp_f32 v88, v88, v89
	s_delay_alu instid0(VALU_DEP_1) | instskip(SKIP_1) | instid1(VALU_DEP_2)
	v_cndmask_b32_e32 v88, 0, v88, vcc_lo
	v_cmp_nlt_f32_e32 vcc_lo, 0x42b17218, v81
	v_cndmask_b32_e32 v81, 0x7f800000, v88, vcc_lo
	s_delay_alu instid0(VALU_DEP_1) | instskip(NEXT) | instid1(VALU_DEP_1)
	v_add_f32_e32 v81, 1.0, v81
	v_rcp_f32_e32 v81, v81
	s_waitcnt_depctr 0xfff
	v_fma_f32 v88, v81, -2.0, 1.0
.LBB71_23:                              ;   in Loop: Header=BB71_9 Depth=1
	s_and_not1_saveexec_b32 s18, s18
; %bb.24:                               ;   in Loop: Header=BB71_9 Depth=1
	v_mul_f32_e32 v81, v79, v79
	s_delay_alu instid0(VALU_DEP_1) | instskip(NEXT) | instid1(VALU_DEP_1)
	v_fmaak_f32 v88, s17, v81, 0x3ca908c9
	v_fmaak_f32 v88, v81, v88, 0xbd5c1c4e
	s_delay_alu instid0(VALU_DEP_1) | instskip(NEXT) | instid1(VALU_DEP_1)
	v_fmaak_f32 v88, v81, v88, 0x3e088382
	v_fmaak_f32 v88, v81, v88, 0xbeaaaa99
	s_delay_alu instid0(VALU_DEP_1) | instskip(NEXT) | instid1(VALU_DEP_1)
	v_mul_f32_e64 v88, |v79|, v88
	v_fma_f32 v88, v81, v88, |v79|
; %bb.25:                               ;   in Loop: Header=BB71_9 Depth=1
	s_or_b32 exec_lo, exec_lo, s18
	v_cvt_f32_f16_e32 v81, v80
	v_cvt_f32_f16_e32 v80, v1
	v_bfi_b32 v1, 0x7fffffff, v87, v78
	v_bfi_b32 v78, 0x7fffffff, v88, v79
	v_cmp_ngt_f32_e64 s18, 0x3f200000, |v76|
	s_delay_alu instid0(VALU_DEP_3) | instskip(NEXT) | instid1(VALU_DEP_3)
	v_fma_f32 v79, s8, v1, v81
	v_fma_f32 v78, s8, v78, v80
	s_delay_alu instid0(VALU_DEP_2) | instskip(NEXT) | instid1(VALU_DEP_2)
	v_add_f32_e32 v1, 0x40051340, v79
	v_add_f32_e32 v87, 0x40051340, v78
	s_delay_alu instid0(VALU_DEP_1) | instskip(SKIP_3) | instid1(VALU_DEP_1)
	v_max3_f32 v1, v60, v1, v87
	ds_bpermute_b32 v87, v0, v1
	s_waitcnt lgkmcnt(0)
	v_max_f32_e32 v87, v87, v87
	v_max_f32_e32 v1, v1, v87
	ds_bpermute_b32 v87, v86, v1
	s_waitcnt lgkmcnt(0)
	v_max_f32_e32 v87, v87, v87
	s_delay_alu instid0(VALU_DEP_1) | instskip(SKIP_3) | instid1(VALU_DEP_1)
	v_max_f32_e32 v1, v1, v87
	ds_bpermute_b32 v87, v83, v1
	s_waitcnt lgkmcnt(0)
	v_max_f32_e32 v87, v87, v87
	v_max_f32_e32 v1, v1, v87
	ds_bpermute_b32 v87, v82, v1
	s_waitcnt lgkmcnt(0)
	v_max_f32_e32 v87, v87, v87
	s_delay_alu instid0(VALU_DEP_1) | instskip(SKIP_2) | instid1(SALU_CYCLE_1)
	v_max_f32_e32 v98, v1, v87
                                        ; implicit-def: $vgpr1
	ds_bpermute_b32 v99, v3, v98
	s_and_saveexec_b32 s19, s18
	s_xor_b32 s18, exec_lo, s19
	s_cbranch_execz .LBB71_27
; %bb.26:                               ;   in Loop: Header=BB71_9 Depth=1
	v_add_f32_e64 v1, |v76|, |v76|
	s_delay_alu instid0(VALU_DEP_1) | instskip(SKIP_1) | instid1(VALU_DEP_2)
	v_mul_f32_e32 v87, 0x3fb8aa3b, v1
	v_cmp_ngt_f32_e32 vcc_lo, 0xc2ce8ed0, v1
	v_rndne_f32_e32 v88, v87
	v_fma_f32 v89, 0x3fb8aa3b, v1, -v87
	s_delay_alu instid0(VALU_DEP_2) | instskip(NEXT) | instid1(VALU_DEP_2)
	v_sub_f32_e32 v87, v87, v88
	v_fmac_f32_e32 v89, 0x32a5705f, v1
	v_cvt_i32_f32_e32 v88, v88
	s_delay_alu instid0(VALU_DEP_2) | instskip(NEXT) | instid1(VALU_DEP_1)
	v_add_f32_e32 v87, v87, v89
	v_exp_f32_e32 v87, v87
	s_waitcnt_depctr 0xfff
	v_ldexp_f32 v87, v87, v88
	s_delay_alu instid0(VALU_DEP_1) | instskip(SKIP_1) | instid1(VALU_DEP_2)
	v_cndmask_b32_e32 v87, 0, v87, vcc_lo
	v_cmp_nlt_f32_e32 vcc_lo, 0x42b17218, v1
	v_cndmask_b32_e32 v1, 0x7f800000, v87, vcc_lo
	s_delay_alu instid0(VALU_DEP_1) | instskip(NEXT) | instid1(VALU_DEP_1)
	v_add_f32_e32 v1, 1.0, v1
	v_rcp_f32_e32 v1, v1
	s_waitcnt_depctr 0xfff
	v_fma_f32 v1, v1, -2.0, 1.0
.LBB71_27:                              ;   in Loop: Header=BB71_9 Depth=1
	s_and_not1_saveexec_b32 s18, s18
; %bb.28:                               ;   in Loop: Header=BB71_9 Depth=1
	v_mul_f32_e32 v1, v76, v76
	s_delay_alu instid0(VALU_DEP_1) | instskip(NEXT) | instid1(VALU_DEP_1)
	v_fmaak_f32 v87, s17, v1, 0x3ca908c9
	v_fmaak_f32 v87, v1, v87, 0xbd5c1c4e
	s_delay_alu instid0(VALU_DEP_1) | instskip(NEXT) | instid1(VALU_DEP_1)
	v_fmaak_f32 v87, v1, v87, 0x3e088382
	v_fmaak_f32 v87, v1, v87, 0xbeaaaa99
	s_delay_alu instid0(VALU_DEP_1) | instskip(NEXT) | instid1(VALU_DEP_1)
	v_mul_f32_e64 v87, |v76|, v87
	v_fma_f32 v1, v1, v87, |v76|
; %bb.29:                               ;   in Loop: Header=BB71_9 Depth=1
	s_or_b32 exec_lo, exec_lo, s18
	v_cmp_ngt_f32_e64 s18, 0x3f200000, |v77|
                                        ; implicit-def: $vgpr87
	s_delay_alu instid0(VALU_DEP_1) | instskip(NEXT) | instid1(SALU_CYCLE_1)
	s_and_saveexec_b32 s19, s18
	s_xor_b32 s18, exec_lo, s19
	s_cbranch_execz .LBB71_31
; %bb.30:                               ;   in Loop: Header=BB71_9 Depth=1
	v_add_f32_e64 v87, |v77|, |v77|
	s_delay_alu instid0(VALU_DEP_1) | instskip(SKIP_1) | instid1(VALU_DEP_2)
	v_mul_f32_e32 v88, 0x3fb8aa3b, v87
	v_cmp_ngt_f32_e32 vcc_lo, 0xc2ce8ed0, v87
	v_rndne_f32_e32 v89, v88
	v_fma_f32 v90, 0x3fb8aa3b, v87, -v88
	s_delay_alu instid0(VALU_DEP_2) | instskip(NEXT) | instid1(VALU_DEP_2)
	v_sub_f32_e32 v88, v88, v89
	v_fmac_f32_e32 v90, 0x32a5705f, v87
	v_cvt_i32_f32_e32 v89, v89
	s_delay_alu instid0(VALU_DEP_2) | instskip(NEXT) | instid1(VALU_DEP_1)
	v_add_f32_e32 v88, v88, v90
	v_exp_f32_e32 v88, v88
	s_waitcnt_depctr 0xfff
	v_ldexp_f32 v88, v88, v89
	s_delay_alu instid0(VALU_DEP_1) | instskip(SKIP_1) | instid1(VALU_DEP_2)
	v_cndmask_b32_e32 v88, 0, v88, vcc_lo
	v_cmp_nlt_f32_e32 vcc_lo, 0x42b17218, v87
	v_cndmask_b32_e32 v87, 0x7f800000, v88, vcc_lo
	s_delay_alu instid0(VALU_DEP_1) | instskip(NEXT) | instid1(VALU_DEP_1)
	v_add_f32_e32 v87, 1.0, v87
	v_rcp_f32_e32 v87, v87
	s_waitcnt_depctr 0xfff
	v_fma_f32 v87, v87, -2.0, 1.0
.LBB71_31:                              ;   in Loop: Header=BB71_9 Depth=1
	s_and_not1_saveexec_b32 s18, s18
; %bb.32:                               ;   in Loop: Header=BB71_9 Depth=1
	v_mul_f32_e32 v87, v77, v77
	s_delay_alu instid0(VALU_DEP_1) | instskip(NEXT) | instid1(VALU_DEP_1)
	v_fmaak_f32 v88, s17, v87, 0x3ca908c9
	v_fmaak_f32 v88, v87, v88, 0xbd5c1c4e
	s_delay_alu instid0(VALU_DEP_1) | instskip(NEXT) | instid1(VALU_DEP_1)
	v_fmaak_f32 v88, v87, v88, 0x3e088382
	v_fmaak_f32 v88, v87, v88, 0xbeaaaa99
	s_delay_alu instid0(VALU_DEP_1) | instskip(NEXT) | instid1(VALU_DEP_1)
	v_mul_f32_e64 v88, |v77|, v88
	v_fma_f32 v87, v87, v88, |v77|
; %bb.33:                               ;   in Loop: Header=BB71_9 Depth=1
	s_or_b32 exec_lo, exec_lo, s18
	v_bfi_b32 v1, 0x7fffffff, v1, v76
	s_delay_alu instid0(VALU_DEP_2) | instskip(SKIP_1) | instid1(VALU_DEP_3)
	v_bfi_b32 v77, 0x7fffffff, v87, v77
	v_cmp_ngt_f32_e64 s18, 0x3f200000, |v74|
	v_fma_f32 v76, s8, v1, v81
	s_delay_alu instid0(VALU_DEP_3) | instskip(NEXT) | instid1(VALU_DEP_2)
	v_fma_f32 v77, s8, v77, v80
	v_add_f32_e32 v1, 0x40051340, v76
	s_delay_alu instid0(VALU_DEP_2) | instskip(NEXT) | instid1(VALU_DEP_1)
	v_add_f32_e32 v87, 0x40051340, v77
	v_max3_f32 v1, v57, v1, v87
	ds_bpermute_b32 v87, v0, v1
	s_waitcnt lgkmcnt(0)
	v_max_f32_e32 v87, v87, v87
	s_delay_alu instid0(VALU_DEP_1) | instskip(SKIP_3) | instid1(VALU_DEP_1)
	v_max_f32_e32 v1, v1, v87
	ds_bpermute_b32 v87, v86, v1
	s_waitcnt lgkmcnt(0)
	v_max_f32_e32 v87, v87, v87
	v_max_f32_e32 v1, v1, v87
	ds_bpermute_b32 v87, v83, v1
	s_waitcnt lgkmcnt(0)
	v_max_f32_e32 v87, v87, v87
	s_delay_alu instid0(VALU_DEP_1) | instskip(SKIP_3) | instid1(VALU_DEP_1)
	v_max_f32_e32 v1, v1, v87
	ds_bpermute_b32 v87, v82, v1
	s_waitcnt lgkmcnt(0)
	v_max_f32_e32 v87, v87, v87
	v_max_f32_e32 v1, v1, v87
                                        ; implicit-def: $vgpr87
	ds_bpermute_b32 v100, v3, v1
	s_and_saveexec_b32 s19, s18
	s_delay_alu instid0(SALU_CYCLE_1)
	s_xor_b32 s18, exec_lo, s19
	s_cbranch_execz .LBB71_35
; %bb.34:                               ;   in Loop: Header=BB71_9 Depth=1
	v_add_f32_e64 v87, |v74|, |v74|
	s_delay_alu instid0(VALU_DEP_1) | instskip(SKIP_1) | instid1(VALU_DEP_2)
	v_mul_f32_e32 v88, 0x3fb8aa3b, v87
	v_cmp_ngt_f32_e32 vcc_lo, 0xc2ce8ed0, v87
	v_rndne_f32_e32 v89, v88
	v_fma_f32 v90, 0x3fb8aa3b, v87, -v88
	s_delay_alu instid0(VALU_DEP_2) | instskip(NEXT) | instid1(VALU_DEP_2)
	v_sub_f32_e32 v88, v88, v89
	v_fmac_f32_e32 v90, 0x32a5705f, v87
	v_cvt_i32_f32_e32 v89, v89
	s_delay_alu instid0(VALU_DEP_2) | instskip(NEXT) | instid1(VALU_DEP_1)
	v_add_f32_e32 v88, v88, v90
	v_exp_f32_e32 v88, v88
	s_waitcnt_depctr 0xfff
	v_ldexp_f32 v88, v88, v89
	s_delay_alu instid0(VALU_DEP_1) | instskip(SKIP_1) | instid1(VALU_DEP_2)
	v_cndmask_b32_e32 v88, 0, v88, vcc_lo
	v_cmp_nlt_f32_e32 vcc_lo, 0x42b17218, v87
	v_cndmask_b32_e32 v87, 0x7f800000, v88, vcc_lo
	s_delay_alu instid0(VALU_DEP_1) | instskip(NEXT) | instid1(VALU_DEP_1)
	v_add_f32_e32 v87, 1.0, v87
	v_rcp_f32_e32 v87, v87
	s_waitcnt_depctr 0xfff
	v_fma_f32 v87, v87, -2.0, 1.0
.LBB71_35:                              ;   in Loop: Header=BB71_9 Depth=1
	s_and_not1_saveexec_b32 s18, s18
; %bb.36:                               ;   in Loop: Header=BB71_9 Depth=1
	v_mul_f32_e32 v87, v74, v74
	s_delay_alu instid0(VALU_DEP_1) | instskip(NEXT) | instid1(VALU_DEP_1)
	v_fmaak_f32 v88, s17, v87, 0x3ca908c9
	v_fmaak_f32 v88, v87, v88, 0xbd5c1c4e
	s_delay_alu instid0(VALU_DEP_1) | instskip(NEXT) | instid1(VALU_DEP_1)
	v_fmaak_f32 v88, v87, v88, 0x3e088382
	v_fmaak_f32 v88, v87, v88, 0xbeaaaa99
	s_delay_alu instid0(VALU_DEP_1) | instskip(NEXT) | instid1(VALU_DEP_1)
	v_mul_f32_e64 v88, |v74|, v88
	v_fma_f32 v87, v87, v88, |v74|
; %bb.37:                               ;   in Loop: Header=BB71_9 Depth=1
	s_or_b32 exec_lo, exec_lo, s18
	v_cmp_ngt_f32_e64 s18, 0x3f200000, |v75|
                                        ; implicit-def: $vgpr88
	s_delay_alu instid0(VALU_DEP_1) | instskip(NEXT) | instid1(SALU_CYCLE_1)
	s_and_saveexec_b32 s19, s18
	s_xor_b32 s18, exec_lo, s19
	s_cbranch_execz .LBB71_39
; %bb.38:                               ;   in Loop: Header=BB71_9 Depth=1
	v_add_f32_e64 v88, |v75|, |v75|
	s_delay_alu instid0(VALU_DEP_1) | instskip(SKIP_1) | instid1(VALU_DEP_2)
	v_mul_f32_e32 v89, 0x3fb8aa3b, v88
	v_cmp_ngt_f32_e32 vcc_lo, 0xc2ce8ed0, v88
	v_rndne_f32_e32 v90, v89
	v_fma_f32 v91, 0x3fb8aa3b, v88, -v89
	s_delay_alu instid0(VALU_DEP_2) | instskip(NEXT) | instid1(VALU_DEP_2)
	v_sub_f32_e32 v89, v89, v90
	v_fmac_f32_e32 v91, 0x32a5705f, v88
	v_cvt_i32_f32_e32 v90, v90
	s_delay_alu instid0(VALU_DEP_2) | instskip(NEXT) | instid1(VALU_DEP_1)
	v_add_f32_e32 v89, v89, v91
	v_exp_f32_e32 v89, v89
	s_waitcnt_depctr 0xfff
	v_ldexp_f32 v89, v89, v90
	s_delay_alu instid0(VALU_DEP_1) | instskip(SKIP_1) | instid1(VALU_DEP_2)
	v_cndmask_b32_e32 v89, 0, v89, vcc_lo
	v_cmp_nlt_f32_e32 vcc_lo, 0x42b17218, v88
	v_cndmask_b32_e32 v88, 0x7f800000, v89, vcc_lo
	s_delay_alu instid0(VALU_DEP_1) | instskip(NEXT) | instid1(VALU_DEP_1)
	v_add_f32_e32 v88, 1.0, v88
	v_rcp_f32_e32 v88, v88
	s_waitcnt_depctr 0xfff
	v_fma_f32 v88, v88, -2.0, 1.0
.LBB71_39:                              ;   in Loop: Header=BB71_9 Depth=1
	s_and_not1_saveexec_b32 s18, s18
; %bb.40:                               ;   in Loop: Header=BB71_9 Depth=1
	v_mul_f32_e32 v88, v75, v75
	s_delay_alu instid0(VALU_DEP_1) | instskip(NEXT) | instid1(VALU_DEP_1)
	v_fmaak_f32 v89, s17, v88, 0x3ca908c9
	v_fmaak_f32 v89, v88, v89, 0xbd5c1c4e
	s_delay_alu instid0(VALU_DEP_1) | instskip(NEXT) | instid1(VALU_DEP_1)
	v_fmaak_f32 v89, v88, v89, 0x3e088382
	v_fmaak_f32 v89, v88, v89, 0xbeaaaa99
	s_delay_alu instid0(VALU_DEP_1) | instskip(NEXT) | instid1(VALU_DEP_1)
	v_mul_f32_e64 v89, |v75|, v89
	v_fma_f32 v88, v88, v89, |v75|
; %bb.41:                               ;   in Loop: Header=BB71_9 Depth=1
	s_or_b32 exec_lo, exec_lo, s18
	v_bfi_b32 v74, 0x7fffffff, v87, v74
	s_delay_alu instid0(VALU_DEP_2) | instskip(SKIP_1) | instid1(VALU_DEP_3)
	v_bfi_b32 v87, 0x7fffffff, v88, v75
	v_cmp_ngt_f32_e64 s18, 0x3f200000, |v72|
                                        ; implicit-def: $vgpr89
	v_fma_f32 v75, s8, v74, v81
	s_delay_alu instid0(VALU_DEP_3) | instskip(NEXT) | instid1(VALU_DEP_1)
	v_fma_f32 v74, s8, v87, v80
	v_dual_add_f32 v87, 0x40051340, v75 :: v_dual_add_f32 v88, 0x40051340, v74
	s_delay_alu instid0(VALU_DEP_1) | instskip(SKIP_3) | instid1(VALU_DEP_1)
	v_max3_f32 v87, v56, v87, v88
	ds_bpermute_b32 v88, v0, v87
	s_waitcnt lgkmcnt(0)
	v_max_f32_e32 v88, v88, v88
	v_max_f32_e32 v87, v87, v88
	ds_bpermute_b32 v88, v86, v87
	s_waitcnt lgkmcnt(0)
	v_max_f32_e32 v88, v88, v88
	s_delay_alu instid0(VALU_DEP_1) | instskip(SKIP_3) | instid1(VALU_DEP_1)
	v_max_f32_e32 v87, v87, v88
	ds_bpermute_b32 v88, v83, v87
	s_waitcnt lgkmcnt(0)
	v_max_f32_e32 v88, v88, v88
	v_max_f32_e32 v87, v87, v88
	ds_bpermute_b32 v88, v82, v87
	s_waitcnt lgkmcnt(0)
	v_max_f32_e32 v88, v88, v88
	s_delay_alu instid0(VALU_DEP_1) | instskip(SKIP_2) | instid1(SALU_CYCLE_1)
	v_max_f32_e32 v87, v87, v88
	ds_bpermute_b32 v88, v3, v87
	s_and_saveexec_b32 s19, s18
	s_xor_b32 s18, exec_lo, s19
	s_cbranch_execz .LBB71_43
; %bb.42:                               ;   in Loop: Header=BB71_9 Depth=1
	v_add_f32_e64 v89, |v72|, |v72|
	s_delay_alu instid0(VALU_DEP_1) | instskip(SKIP_1) | instid1(VALU_DEP_2)
	v_mul_f32_e32 v90, 0x3fb8aa3b, v89
	v_cmp_ngt_f32_e32 vcc_lo, 0xc2ce8ed0, v89
	v_rndne_f32_e32 v91, v90
	v_fma_f32 v92, 0x3fb8aa3b, v89, -v90
	s_delay_alu instid0(VALU_DEP_2) | instskip(NEXT) | instid1(VALU_DEP_2)
	v_sub_f32_e32 v90, v90, v91
	v_fmac_f32_e32 v92, 0x32a5705f, v89
	v_cvt_i32_f32_e32 v91, v91
	s_delay_alu instid0(VALU_DEP_2) | instskip(NEXT) | instid1(VALU_DEP_1)
	v_add_f32_e32 v90, v90, v92
	v_exp_f32_e32 v90, v90
	s_waitcnt_depctr 0xfff
	v_ldexp_f32 v90, v90, v91
	s_delay_alu instid0(VALU_DEP_1) | instskip(SKIP_1) | instid1(VALU_DEP_2)
	v_cndmask_b32_e32 v90, 0, v90, vcc_lo
	v_cmp_nlt_f32_e32 vcc_lo, 0x42b17218, v89
	v_cndmask_b32_e32 v89, 0x7f800000, v90, vcc_lo
	s_delay_alu instid0(VALU_DEP_1) | instskip(NEXT) | instid1(VALU_DEP_1)
	v_add_f32_e32 v89, 1.0, v89
	v_rcp_f32_e32 v89, v89
	s_waitcnt_depctr 0xfff
	v_fma_f32 v89, v89, -2.0, 1.0
.LBB71_43:                              ;   in Loop: Header=BB71_9 Depth=1
	s_and_not1_saveexec_b32 s18, s18
; %bb.44:                               ;   in Loop: Header=BB71_9 Depth=1
	v_mul_f32_e32 v89, v72, v72
	s_delay_alu instid0(VALU_DEP_1) | instskip(NEXT) | instid1(VALU_DEP_1)
	v_fmaak_f32 v90, s17, v89, 0x3ca908c9
	v_fmaak_f32 v90, v89, v90, 0xbd5c1c4e
	s_delay_alu instid0(VALU_DEP_1) | instskip(NEXT) | instid1(VALU_DEP_1)
	v_fmaak_f32 v90, v89, v90, 0x3e088382
	v_fmaak_f32 v90, v89, v90, 0xbeaaaa99
	s_delay_alu instid0(VALU_DEP_1) | instskip(NEXT) | instid1(VALU_DEP_1)
	v_mul_f32_e64 v90, |v72|, v90
	v_fma_f32 v89, v89, v90, |v72|
; %bb.45:                               ;   in Loop: Header=BB71_9 Depth=1
	s_or_b32 exec_lo, exec_lo, s18
	v_cmp_ngt_f32_e64 s18, 0x3f200000, |v73|
                                        ; implicit-def: $vgpr90
	s_delay_alu instid0(VALU_DEP_1) | instskip(NEXT) | instid1(SALU_CYCLE_1)
	s_and_saveexec_b32 s19, s18
	s_xor_b32 s18, exec_lo, s19
	s_cbranch_execz .LBB71_47
; %bb.46:                               ;   in Loop: Header=BB71_9 Depth=1
	v_add_f32_e64 v90, |v73|, |v73|
	s_delay_alu instid0(VALU_DEP_1) | instskip(SKIP_1) | instid1(VALU_DEP_2)
	v_mul_f32_e32 v91, 0x3fb8aa3b, v90
	v_cmp_ngt_f32_e32 vcc_lo, 0xc2ce8ed0, v90
	v_rndne_f32_e32 v92, v91
	v_fma_f32 v93, 0x3fb8aa3b, v90, -v91
	s_delay_alu instid0(VALU_DEP_2) | instskip(NEXT) | instid1(VALU_DEP_2)
	v_sub_f32_e32 v91, v91, v92
	v_fmac_f32_e32 v93, 0x32a5705f, v90
	v_cvt_i32_f32_e32 v92, v92
	s_delay_alu instid0(VALU_DEP_2) | instskip(NEXT) | instid1(VALU_DEP_1)
	v_add_f32_e32 v91, v91, v93
	v_exp_f32_e32 v91, v91
	s_waitcnt_depctr 0xfff
	v_ldexp_f32 v91, v91, v92
	s_delay_alu instid0(VALU_DEP_1) | instskip(SKIP_1) | instid1(VALU_DEP_2)
	v_cndmask_b32_e32 v91, 0, v91, vcc_lo
	v_cmp_nlt_f32_e32 vcc_lo, 0x42b17218, v90
	v_cndmask_b32_e32 v90, 0x7f800000, v91, vcc_lo
	s_delay_alu instid0(VALU_DEP_1) | instskip(NEXT) | instid1(VALU_DEP_1)
	v_add_f32_e32 v90, 1.0, v90
	v_rcp_f32_e32 v90, v90
	s_waitcnt_depctr 0xfff
	v_fma_f32 v90, v90, -2.0, 1.0
.LBB71_47:                              ;   in Loop: Header=BB71_9 Depth=1
	s_and_not1_saveexec_b32 s18, s18
; %bb.48:                               ;   in Loop: Header=BB71_9 Depth=1
	v_mul_f32_e32 v90, v73, v73
	s_delay_alu instid0(VALU_DEP_1) | instskip(NEXT) | instid1(VALU_DEP_1)
	v_fmaak_f32 v91, s17, v90, 0x3ca908c9
	v_fmaak_f32 v91, v90, v91, 0xbd5c1c4e
	s_delay_alu instid0(VALU_DEP_1) | instskip(NEXT) | instid1(VALU_DEP_1)
	v_fmaak_f32 v91, v90, v91, 0x3e088382
	v_fmaak_f32 v91, v90, v91, 0xbeaaaa99
	s_delay_alu instid0(VALU_DEP_1) | instskip(NEXT) | instid1(VALU_DEP_1)
	v_mul_f32_e64 v91, |v73|, v91
	v_fma_f32 v90, v90, v91, |v73|
; %bb.49:                               ;   in Loop: Header=BB71_9 Depth=1
	s_or_b32 exec_lo, exec_lo, s18
	v_bfi_b32 v72, 0x7fffffff, v89, v72
	s_delay_alu instid0(VALU_DEP_2) | instskip(SKIP_1) | instid1(VALU_DEP_3)
	v_bfi_b32 v73, 0x7fffffff, v90, v73
	v_cmp_ngt_f32_e64 s18, 0x3f200000, |v69|
                                        ; implicit-def: $vgpr91
	v_fma_f32 v72, s8, v72, v81
	s_delay_alu instid0(VALU_DEP_3) | instskip(NEXT) | instid1(VALU_DEP_1)
	v_fma_f32 v73, s8, v73, v80
	v_dual_add_f32 v89, 0x40051340, v72 :: v_dual_add_f32 v90, 0x40051340, v73
	s_delay_alu instid0(VALU_DEP_1) | instskip(SKIP_3) | instid1(VALU_DEP_1)
	v_max3_f32 v89, v55, v89, v90
	ds_bpermute_b32 v90, v0, v89
	s_waitcnt lgkmcnt(0)
	v_max_f32_e32 v90, v90, v90
	v_max_f32_e32 v89, v89, v90
	ds_bpermute_b32 v90, v86, v89
	s_waitcnt lgkmcnt(0)
	v_max_f32_e32 v90, v90, v90
	s_delay_alu instid0(VALU_DEP_1) | instskip(SKIP_3) | instid1(VALU_DEP_1)
	v_max_f32_e32 v89, v89, v90
	ds_bpermute_b32 v90, v83, v89
	s_waitcnt lgkmcnt(0)
	v_max_f32_e32 v90, v90, v90
	v_max_f32_e32 v89, v89, v90
	ds_bpermute_b32 v90, v82, v89
	s_waitcnt lgkmcnt(0)
	v_max_f32_e32 v90, v90, v90
	s_delay_alu instid0(VALU_DEP_1) | instskip(SKIP_2) | instid1(SALU_CYCLE_1)
	v_max_f32_e32 v89, v89, v90
	ds_bpermute_b32 v90, v3, v89
	s_and_saveexec_b32 s19, s18
	s_xor_b32 s18, exec_lo, s19
	s_cbranch_execz .LBB71_51
; %bb.50:                               ;   in Loop: Header=BB71_9 Depth=1
	v_add_f32_e64 v91, |v69|, |v69|
	s_delay_alu instid0(VALU_DEP_1) | instskip(SKIP_1) | instid1(VALU_DEP_2)
	v_mul_f32_e32 v92, 0x3fb8aa3b, v91
	v_cmp_ngt_f32_e32 vcc_lo, 0xc2ce8ed0, v91
	v_rndne_f32_e32 v93, v92
	v_fma_f32 v94, 0x3fb8aa3b, v91, -v92
	s_delay_alu instid0(VALU_DEP_2) | instskip(NEXT) | instid1(VALU_DEP_2)
	v_sub_f32_e32 v92, v92, v93
	v_fmac_f32_e32 v94, 0x32a5705f, v91
	v_cvt_i32_f32_e32 v93, v93
	s_delay_alu instid0(VALU_DEP_2) | instskip(NEXT) | instid1(VALU_DEP_1)
	v_add_f32_e32 v92, v92, v94
	v_exp_f32_e32 v92, v92
	s_waitcnt_depctr 0xfff
	v_ldexp_f32 v92, v92, v93
	s_delay_alu instid0(VALU_DEP_1) | instskip(SKIP_1) | instid1(VALU_DEP_2)
	v_cndmask_b32_e32 v92, 0, v92, vcc_lo
	v_cmp_nlt_f32_e32 vcc_lo, 0x42b17218, v91
	v_cndmask_b32_e32 v91, 0x7f800000, v92, vcc_lo
	s_delay_alu instid0(VALU_DEP_1) | instskip(NEXT) | instid1(VALU_DEP_1)
	v_add_f32_e32 v91, 1.0, v91
	v_rcp_f32_e32 v91, v91
	s_waitcnt_depctr 0xfff
	v_fma_f32 v91, v91, -2.0, 1.0
.LBB71_51:                              ;   in Loop: Header=BB71_9 Depth=1
	s_and_not1_saveexec_b32 s18, s18
; %bb.52:                               ;   in Loop: Header=BB71_9 Depth=1
	v_mul_f32_e32 v91, v69, v69
	s_delay_alu instid0(VALU_DEP_1) | instskip(NEXT) | instid1(VALU_DEP_1)
	v_fmaak_f32 v92, s17, v91, 0x3ca908c9
	v_fmaak_f32 v92, v91, v92, 0xbd5c1c4e
	s_delay_alu instid0(VALU_DEP_1) | instskip(NEXT) | instid1(VALU_DEP_1)
	v_fmaak_f32 v92, v91, v92, 0x3e088382
	v_fmaak_f32 v92, v91, v92, 0xbeaaaa99
	s_delay_alu instid0(VALU_DEP_1) | instskip(NEXT) | instid1(VALU_DEP_1)
	v_mul_f32_e64 v92, |v69|, v92
	v_fma_f32 v91, v91, v92, |v69|
; %bb.53:                               ;   in Loop: Header=BB71_9 Depth=1
	s_or_b32 exec_lo, exec_lo, s18
	v_cmp_ngt_f32_e64 s18, 0x3f200000, |v71|
                                        ; implicit-def: $vgpr92
	s_delay_alu instid0(VALU_DEP_1) | instskip(NEXT) | instid1(SALU_CYCLE_1)
	s_and_saveexec_b32 s19, s18
	s_xor_b32 s18, exec_lo, s19
	s_cbranch_execz .LBB71_55
; %bb.54:                               ;   in Loop: Header=BB71_9 Depth=1
	v_add_f32_e64 v92, |v71|, |v71|
	s_delay_alu instid0(VALU_DEP_1) | instskip(SKIP_1) | instid1(VALU_DEP_2)
	v_mul_f32_e32 v93, 0x3fb8aa3b, v92
	v_cmp_ngt_f32_e32 vcc_lo, 0xc2ce8ed0, v92
	v_rndne_f32_e32 v94, v93
	v_fma_f32 v95, 0x3fb8aa3b, v92, -v93
	s_delay_alu instid0(VALU_DEP_2) | instskip(NEXT) | instid1(VALU_DEP_2)
	v_sub_f32_e32 v93, v93, v94
	v_fmac_f32_e32 v95, 0x32a5705f, v92
	v_cvt_i32_f32_e32 v94, v94
	s_delay_alu instid0(VALU_DEP_2) | instskip(NEXT) | instid1(VALU_DEP_1)
	v_add_f32_e32 v93, v93, v95
	v_exp_f32_e32 v93, v93
	s_waitcnt_depctr 0xfff
	v_ldexp_f32 v93, v93, v94
	s_delay_alu instid0(VALU_DEP_1) | instskip(SKIP_1) | instid1(VALU_DEP_2)
	v_cndmask_b32_e32 v93, 0, v93, vcc_lo
	v_cmp_nlt_f32_e32 vcc_lo, 0x42b17218, v92
	v_cndmask_b32_e32 v92, 0x7f800000, v93, vcc_lo
	s_delay_alu instid0(VALU_DEP_1) | instskip(NEXT) | instid1(VALU_DEP_1)
	v_add_f32_e32 v92, 1.0, v92
	v_rcp_f32_e32 v92, v92
	s_waitcnt_depctr 0xfff
	v_fma_f32 v92, v92, -2.0, 1.0
.LBB71_55:                              ;   in Loop: Header=BB71_9 Depth=1
	s_and_not1_saveexec_b32 s18, s18
; %bb.56:                               ;   in Loop: Header=BB71_9 Depth=1
	v_mul_f32_e32 v92, v71, v71
	s_delay_alu instid0(VALU_DEP_1) | instskip(NEXT) | instid1(VALU_DEP_1)
	v_fmaak_f32 v93, s17, v92, 0x3ca908c9
	v_fmaak_f32 v93, v92, v93, 0xbd5c1c4e
	s_delay_alu instid0(VALU_DEP_1) | instskip(NEXT) | instid1(VALU_DEP_1)
	v_fmaak_f32 v93, v92, v93, 0x3e088382
	v_fmaak_f32 v93, v92, v93, 0xbeaaaa99
	s_delay_alu instid0(VALU_DEP_1) | instskip(NEXT) | instid1(VALU_DEP_1)
	v_mul_f32_e64 v93, |v71|, v93
	v_fma_f32 v92, v92, v93, |v71|
; %bb.57:                               ;   in Loop: Header=BB71_9 Depth=1
	s_or_b32 exec_lo, exec_lo, s18
	v_bfi_b32 v69, 0x7fffffff, v91, v69
	s_delay_alu instid0(VALU_DEP_2) | instskip(SKIP_1) | instid1(VALU_DEP_3)
	v_bfi_b32 v91, 0x7fffffff, v92, v71
	v_cmp_ngt_f32_e64 s18, 0x3f200000, |v63|
	v_fma_f32 v71, s8, v69, v81
	s_delay_alu instid0(VALU_DEP_3) | instskip(NEXT) | instid1(VALU_DEP_1)
	v_fma_f32 v69, s8, v91, v80
	v_dual_add_f32 v91, 0x40051340, v71 :: v_dual_add_f32 v92, 0x40051340, v69
	s_delay_alu instid0(VALU_DEP_1) | instskip(SKIP_3) | instid1(VALU_DEP_1)
	v_max3_f32 v91, v54, v91, v92
	ds_bpermute_b32 v92, v0, v91
	s_waitcnt lgkmcnt(0)
	v_max_f32_e32 v92, v92, v92
	v_max_f32_e32 v91, v91, v92
	ds_bpermute_b32 v92, v86, v91
	s_waitcnt lgkmcnt(0)
	v_max_f32_e32 v92, v92, v92
	s_delay_alu instid0(VALU_DEP_1) | instskip(SKIP_3) | instid1(VALU_DEP_1)
	v_max_f32_e32 v91, v91, v92
	ds_bpermute_b32 v92, v83, v91
	s_waitcnt lgkmcnt(0)
	v_max_f32_e32 v92, v92, v92
	v_max_f32_e32 v91, v91, v92
	ds_bpermute_b32 v92, v82, v91
	s_waitcnt lgkmcnt(0)
	v_max_f32_e32 v92, v92, v92
	s_delay_alu instid0(VALU_DEP_1) | instskip(SKIP_2) | instid1(SALU_CYCLE_1)
	v_max_f32_e32 v92, v91, v92
                                        ; implicit-def: $vgpr91
	ds_bpermute_b32 v93, v3, v92
	s_and_saveexec_b32 s19, s18
	s_xor_b32 s18, exec_lo, s19
	s_cbranch_execz .LBB71_59
; %bb.58:                               ;   in Loop: Header=BB71_9 Depth=1
	v_add_f32_e64 v91, |v63|, |v63|
	s_delay_alu instid0(VALU_DEP_1) | instskip(SKIP_1) | instid1(VALU_DEP_2)
	v_mul_f32_e32 v94, 0x3fb8aa3b, v91
	v_cmp_ngt_f32_e32 vcc_lo, 0xc2ce8ed0, v91
	v_rndne_f32_e32 v95, v94
	v_fma_f32 v96, 0x3fb8aa3b, v91, -v94
	s_delay_alu instid0(VALU_DEP_2) | instskip(NEXT) | instid1(VALU_DEP_2)
	v_sub_f32_e32 v94, v94, v95
	v_fmac_f32_e32 v96, 0x32a5705f, v91
	v_cvt_i32_f32_e32 v95, v95
	s_delay_alu instid0(VALU_DEP_2) | instskip(NEXT) | instid1(VALU_DEP_1)
	v_add_f32_e32 v94, v94, v96
	v_exp_f32_e32 v94, v94
	s_waitcnt_depctr 0xfff
	v_ldexp_f32 v94, v94, v95
	s_delay_alu instid0(VALU_DEP_1) | instskip(SKIP_1) | instid1(VALU_DEP_2)
	v_cndmask_b32_e32 v94, 0, v94, vcc_lo
	v_cmp_nlt_f32_e32 vcc_lo, 0x42b17218, v91
	v_cndmask_b32_e32 v91, 0x7f800000, v94, vcc_lo
	s_delay_alu instid0(VALU_DEP_1) | instskip(NEXT) | instid1(VALU_DEP_1)
	v_add_f32_e32 v91, 1.0, v91
	v_rcp_f32_e32 v91, v91
	s_waitcnt_depctr 0xfff
	v_fma_f32 v91, v91, -2.0, 1.0
.LBB71_59:                              ;   in Loop: Header=BB71_9 Depth=1
	s_and_not1_saveexec_b32 s18, s18
; %bb.60:                               ;   in Loop: Header=BB71_9 Depth=1
	v_mul_f32_e32 v91, v63, v63
	s_delay_alu instid0(VALU_DEP_1) | instskip(NEXT) | instid1(VALU_DEP_1)
	v_fmaak_f32 v94, s17, v91, 0x3ca908c9
	v_fmaak_f32 v94, v91, v94, 0xbd5c1c4e
	s_delay_alu instid0(VALU_DEP_1) | instskip(NEXT) | instid1(VALU_DEP_1)
	v_fmaak_f32 v94, v91, v94, 0x3e088382
	v_fmaak_f32 v94, v91, v94, 0xbeaaaa99
	s_delay_alu instid0(VALU_DEP_1) | instskip(NEXT) | instid1(VALU_DEP_1)
	v_mul_f32_e64 v94, |v63|, v94
	v_fma_f32 v91, v91, v94, |v63|
; %bb.61:                               ;   in Loop: Header=BB71_9 Depth=1
	s_or_b32 exec_lo, exec_lo, s18
	v_cmp_ngt_f32_e64 s18, 0x3f200000, |v64|
                                        ; implicit-def: $vgpr94
	s_delay_alu instid0(VALU_DEP_1) | instskip(NEXT) | instid1(SALU_CYCLE_1)
	s_and_saveexec_b32 s19, s18
	s_xor_b32 s18, exec_lo, s19
	s_cbranch_execz .LBB71_63
; %bb.62:                               ;   in Loop: Header=BB71_9 Depth=1
	v_add_f32_e64 v94, |v64|, |v64|
	s_delay_alu instid0(VALU_DEP_1) | instskip(SKIP_1) | instid1(VALU_DEP_2)
	v_mul_f32_e32 v95, 0x3fb8aa3b, v94
	v_cmp_ngt_f32_e32 vcc_lo, 0xc2ce8ed0, v94
	v_rndne_f32_e32 v96, v95
	v_fma_f32 v101, 0x3fb8aa3b, v94, -v95
	s_delay_alu instid0(VALU_DEP_2) | instskip(NEXT) | instid1(VALU_DEP_2)
	v_sub_f32_e32 v95, v95, v96
	v_fmac_f32_e32 v101, 0x32a5705f, v94
	v_cvt_i32_f32_e32 v96, v96
	s_delay_alu instid0(VALU_DEP_2) | instskip(NEXT) | instid1(VALU_DEP_1)
	v_add_f32_e32 v95, v95, v101
	v_exp_f32_e32 v95, v95
	s_waitcnt_depctr 0xfff
	v_ldexp_f32 v95, v95, v96
	s_delay_alu instid0(VALU_DEP_1) | instskip(SKIP_1) | instid1(VALU_DEP_2)
	v_cndmask_b32_e32 v95, 0, v95, vcc_lo
	v_cmp_nlt_f32_e32 vcc_lo, 0x42b17218, v94
	v_cndmask_b32_e32 v94, 0x7f800000, v95, vcc_lo
	s_delay_alu instid0(VALU_DEP_1) | instskip(NEXT) | instid1(VALU_DEP_1)
	v_add_f32_e32 v94, 1.0, v94
	v_rcp_f32_e32 v94, v94
	s_waitcnt_depctr 0xfff
	v_fma_f32 v94, v94, -2.0, 1.0
.LBB71_63:                              ;   in Loop: Header=BB71_9 Depth=1
	s_and_not1_saveexec_b32 s18, s18
; %bb.64:                               ;   in Loop: Header=BB71_9 Depth=1
	v_mul_f32_e32 v94, v64, v64
	s_delay_alu instid0(VALU_DEP_1) | instskip(NEXT) | instid1(VALU_DEP_1)
	v_fmaak_f32 v95, s17, v94, 0x3ca908c9
	v_fmaak_f32 v95, v94, v95, 0xbd5c1c4e
	s_delay_alu instid0(VALU_DEP_1) | instskip(NEXT) | instid1(VALU_DEP_1)
	v_fmaak_f32 v95, v94, v95, 0x3e088382
	v_fmaak_f32 v95, v94, v95, 0xbeaaaa99
	s_delay_alu instid0(VALU_DEP_1) | instskip(NEXT) | instid1(VALU_DEP_1)
	v_mul_f32_e64 v95, |v64|, v95
	v_fma_f32 v94, v94, v95, |v64|
; %bb.65:                               ;   in Loop: Header=BB71_9 Depth=1
	s_or_b32 exec_lo, exec_lo, s18
	v_bfi_b32 v63, 0x7fffffff, v91, v63
	s_delay_alu instid0(VALU_DEP_2) | instskip(SKIP_1) | instid1(VALU_DEP_3)
	v_bfi_b32 v64, 0x7fffffff, v94, v64
	v_cmp_ngt_f32_e64 s18, 0x3f200000, |v61|
	v_fma_f32 v91, s8, v63, v81
	s_delay_alu instid0(VALU_DEP_3) | instskip(NEXT) | instid1(VALU_DEP_1)
	v_fma_f32 v94, s8, v64, v80
	v_dual_add_f32 v63, 0x40051340, v91 :: v_dual_add_f32 v64, 0x40051340, v94
	s_delay_alu instid0(VALU_DEP_1) | instskip(SKIP_3) | instid1(VALU_DEP_1)
	v_max3_f32 v63, v52, v63, v64
	ds_bpermute_b32 v64, v0, v63
	s_waitcnt lgkmcnt(0)
	v_max_f32_e32 v64, v64, v64
	v_max_f32_e32 v63, v63, v64
	ds_bpermute_b32 v64, v86, v63
	s_waitcnt lgkmcnt(0)
	v_max_f32_e32 v64, v64, v64
	s_delay_alu instid0(VALU_DEP_1) | instskip(SKIP_3) | instid1(VALU_DEP_1)
	v_max_f32_e32 v63, v63, v64
	ds_bpermute_b32 v64, v83, v63
	s_waitcnt lgkmcnt(0)
	v_max_f32_e32 v64, v64, v64
	v_max_f32_e32 v63, v63, v64
	ds_bpermute_b32 v64, v82, v63
	s_waitcnt lgkmcnt(0)
	v_max_f32_e32 v64, v64, v64
	s_delay_alu instid0(VALU_DEP_1) | instskip(SKIP_2) | instid1(SALU_CYCLE_1)
	v_max_f32_e32 v95, v63, v64
                                        ; implicit-def: $vgpr63
	ds_bpermute_b32 v96, v3, v95
	s_and_saveexec_b32 s19, s18
	s_xor_b32 s18, exec_lo, s19
	s_cbranch_execz .LBB71_67
; %bb.66:                               ;   in Loop: Header=BB71_9 Depth=1
	v_add_f32_e64 v63, |v61|, |v61|
	s_delay_alu instid0(VALU_DEP_1) | instskip(SKIP_1) | instid1(VALU_DEP_2)
	v_mul_f32_e32 v64, 0x3fb8aa3b, v63
	v_cmp_ngt_f32_e32 vcc_lo, 0xc2ce8ed0, v63
	v_rndne_f32_e32 v101, v64
	v_fma_f32 v102, 0x3fb8aa3b, v63, -v64
	s_delay_alu instid0(VALU_DEP_2) | instskip(NEXT) | instid1(VALU_DEP_2)
	v_sub_f32_e32 v64, v64, v101
	v_fmac_f32_e32 v102, 0x32a5705f, v63
	v_cvt_i32_f32_e32 v101, v101
	s_delay_alu instid0(VALU_DEP_2) | instskip(NEXT) | instid1(VALU_DEP_1)
	v_add_f32_e32 v64, v64, v102
	v_exp_f32_e32 v64, v64
	s_waitcnt_depctr 0xfff
	v_ldexp_f32 v64, v64, v101
	s_delay_alu instid0(VALU_DEP_1) | instskip(SKIP_1) | instid1(VALU_DEP_2)
	v_cndmask_b32_e32 v64, 0, v64, vcc_lo
	v_cmp_nlt_f32_e32 vcc_lo, 0x42b17218, v63
	v_cndmask_b32_e32 v63, 0x7f800000, v64, vcc_lo
	s_delay_alu instid0(VALU_DEP_1) | instskip(NEXT) | instid1(VALU_DEP_1)
	v_add_f32_e32 v63, 1.0, v63
	v_rcp_f32_e32 v63, v63
	s_waitcnt_depctr 0xfff
	v_fma_f32 v63, v63, -2.0, 1.0
.LBB71_67:                              ;   in Loop: Header=BB71_9 Depth=1
	s_and_not1_saveexec_b32 s18, s18
; %bb.68:                               ;   in Loop: Header=BB71_9 Depth=1
	v_mul_f32_e32 v63, v61, v61
	s_delay_alu instid0(VALU_DEP_1) | instskip(NEXT) | instid1(VALU_DEP_1)
	v_fmaak_f32 v64, s17, v63, 0x3ca908c9
	v_fmaak_f32 v64, v63, v64, 0xbd5c1c4e
	s_delay_alu instid0(VALU_DEP_1) | instskip(NEXT) | instid1(VALU_DEP_1)
	v_fmaak_f32 v64, v63, v64, 0x3e088382
	v_fmaak_f32 v64, v63, v64, 0xbeaaaa99
	s_delay_alu instid0(VALU_DEP_1) | instskip(NEXT) | instid1(VALU_DEP_1)
	v_mul_f32_e64 v64, |v61|, v64
	v_fma_f32 v63, v63, v64, |v61|
; %bb.69:                               ;   in Loop: Header=BB71_9 Depth=1
	s_or_b32 exec_lo, exec_lo, s18
	v_cmp_ngt_f32_e64 s18, 0x3f200000, |v62|
                                        ; implicit-def: $vgpr64
	s_delay_alu instid0(VALU_DEP_1) | instskip(NEXT) | instid1(SALU_CYCLE_1)
	s_and_saveexec_b32 s19, s18
	s_xor_b32 s18, exec_lo, s19
	s_cbranch_execz .LBB71_71
; %bb.70:                               ;   in Loop: Header=BB71_9 Depth=1
	v_add_f32_e64 v64, |v62|, |v62|
	s_delay_alu instid0(VALU_DEP_1) | instskip(SKIP_1) | instid1(VALU_DEP_2)
	v_mul_f32_e32 v101, 0x3fb8aa3b, v64
	v_cmp_ngt_f32_e32 vcc_lo, 0xc2ce8ed0, v64
	v_rndne_f32_e32 v102, v101
	v_fma_f32 v103, 0x3fb8aa3b, v64, -v101
	s_delay_alu instid0(VALU_DEP_2) | instskip(NEXT) | instid1(VALU_DEP_2)
	v_sub_f32_e32 v101, v101, v102
	v_fmac_f32_e32 v103, 0x32a5705f, v64
	v_cvt_i32_f32_e32 v102, v102
	s_delay_alu instid0(VALU_DEP_2) | instskip(NEXT) | instid1(VALU_DEP_1)
	v_add_f32_e32 v101, v101, v103
	v_exp_f32_e32 v101, v101
	s_waitcnt_depctr 0xfff
	v_ldexp_f32 v101, v101, v102
	s_delay_alu instid0(VALU_DEP_1) | instskip(SKIP_1) | instid1(VALU_DEP_2)
	v_cndmask_b32_e32 v101, 0, v101, vcc_lo
	v_cmp_nlt_f32_e32 vcc_lo, 0x42b17218, v64
	v_cndmask_b32_e32 v64, 0x7f800000, v101, vcc_lo
	s_delay_alu instid0(VALU_DEP_1) | instskip(NEXT) | instid1(VALU_DEP_1)
	v_add_f32_e32 v64, 1.0, v64
	v_rcp_f32_e32 v64, v64
	s_waitcnt_depctr 0xfff
	v_fma_f32 v64, v64, -2.0, 1.0
.LBB71_71:                              ;   in Loop: Header=BB71_9 Depth=1
	s_and_not1_saveexec_b32 s18, s18
; %bb.72:                               ;   in Loop: Header=BB71_9 Depth=1
	v_mul_f32_e32 v64, v62, v62
	s_delay_alu instid0(VALU_DEP_1) | instskip(NEXT) | instid1(VALU_DEP_1)
	v_fmaak_f32 v101, s17, v64, 0x3ca908c9
	v_fmaak_f32 v101, v64, v101, 0xbd5c1c4e
	s_delay_alu instid0(VALU_DEP_1) | instskip(NEXT) | instid1(VALU_DEP_1)
	v_fmaak_f32 v101, v64, v101, 0x3e088382
	v_fmaak_f32 v101, v64, v101, 0xbeaaaa99
	s_delay_alu instid0(VALU_DEP_1) | instskip(NEXT) | instid1(VALU_DEP_1)
	v_mul_f32_e64 v101, |v62|, v101
	v_fma_f32 v64, v64, v101, |v62|
; %bb.73:                               ;   in Loop: Header=BB71_9 Depth=1
	s_or_b32 exec_lo, exec_lo, s18
	v_bfi_b32 v61, 0x7fffffff, v63, v61
	s_delay_alu instid0(VALU_DEP_2) | instskip(SKIP_2) | instid1(VALU_DEP_2)
	v_bfi_b32 v62, 0x7fffffff, v64, v62
	v_dual_max_f32 v97, v97, v97 :: v_dual_max_f32 v2, v2, v2
	s_mul_hi_i32 s19, s3, s10
	v_dual_fmac_f32 v81, s8, v61 :: v_dual_fmac_f32 v80, s8, v62
	v_max_f32_e32 v61, v99, v99
	s_mul_i32 s18, s3, s10
	s_waitcnt lgkmcnt(0)
	s_delay_alu instid0(VALU_DEP_2)
	v_dual_add_f32 v62, 0x40051340, v81 :: v_dual_add_f32 v63, 0x40051340, v80
	v_max_f32_e32 v64, v98, v98
	v_max_f32_e32 v98, v100, v100
	s_lshl_b64 s[18:19], s[18:19], 2
	s_barrier
	v_max3_f32 v62, v51, v62, v63
	v_max_f32_e32 v63, v1, v1
	v_max_f32_e32 v1, v64, v61
	s_add_u32 s18, s11, s18
	s_addc_u32 s19, s16, s19
	ds_bpermute_b32 v99, v0, v62
	v_max_f32_e32 v0, v2, v97
	v_max_f32_e32 v2, v63, v98
	v_sub_f32_e32 v79, v79, v1
	v_add_co_u32 v61, vcc_lo, s18, v13
	v_add_co_ci_u32_e32 v63, vcc_lo, s19, v14, vcc_lo
	v_add_co_u32 v64, vcc_lo, s18, v15
	s_delay_alu instid0(VALU_DEP_4)
	v_dual_sub_f32 v106, v60, v1 :: v_dual_mul_f32 v107, 0x3fb8aa3b, v79
	v_sub_f32_e32 v105, v59, v0
	v_add_co_ci_u32_e32 v97, vcc_lo, s19, v16, vcc_lo
	v_add_co_u32 v59, vcc_lo, v61, v32
	v_add_co_ci_u32_e32 v60, vcc_lo, 0, v63, vcc_lo
	s_waitcnt lgkmcnt(0)
	v_dual_mul_f32 v109, 0x3fb8aa3b, v105 :: v_dual_max_f32 v98, v99, v99
	v_sub_f32_e32 v84, v84, v0
	v_add_co_u32 v61, vcc_lo, v64, v32
	v_dual_sub_f32 v85, v85, v0 :: v_dual_sub_f32 v78, v78, v1
	s_delay_alu instid0(VALU_DEP_4)
	v_max_f32_e32 v63, v62, v98
	v_add_co_ci_u32_e32 v62, vcc_lo, 0, v97, vcc_lo
	buffer_gl0_inv
	v_mul_f32_e32 v111, 0x3fb8aa3b, v106
	ds_bpermute_b32 v64, v86, v63
	v_mul_f32_e32 v86, 0x3fb8aa3b, v85
	s_clause 0x1
	global_load_b128 v[97:100], v[59:60], off
	global_load_b128 v[101:104], v[61:62], off
	v_mul_f32_e32 v108, 0x3fb8aa3b, v84
	v_fma_f32 v61, 0x3fb8aa3b, v79, -v107
	v_rndne_f32_e32 v62, v107
	v_fma_f32 v59, 0x3fb8aa3b, v85, -v86
	v_rndne_f32_e32 v60, v86
	v_fma_f32 v112, 0x3fb8aa3b, v84, -v108
	v_fmac_f32_e32 v61, 0x32a5705f, v79
	v_rndne_f32_e32 v113, v108
	v_fma_f32 v118, 0x3fb8aa3b, v106, -v111
	v_sub_f32_e32 v86, v86, v60
	v_fma_f32 v114, 0x3fb8aa3b, v105, -v109
	v_rndne_f32_e32 v115, v109
	v_cvt_i32_f32_e32 v60, v60
	v_fmac_f32_e32 v112, 0x32a5705f, v84
	v_rndne_f32_e32 v119, v111
	v_fmac_f32_e32 v59, 0x32a5705f, v85
	s_waitcnt lgkmcnt(0)
	v_dual_sub_f32 v109, v109, v115 :: v_dual_max_f32 v64, v64, v64
	v_mul_f32_e32 v110, 0x3fb8aa3b, v78
	v_dual_fmac_f32 v114, 0x32a5705f, v105 :: v_dual_sub_f32 v111, v111, v119
	v_cmp_ngt_f32_e32 vcc_lo, 0xc2ce8ed0, v85
	s_delay_alu instid0(VALU_DEP_4) | instskip(NEXT) | instid1(VALU_DEP_4)
	v_max_f32_e32 v63, v63, v64
	v_fma_f32 v116, 0x3fb8aa3b, v78, -v110
	v_dual_sub_f32 v64, v107, v62 :: v_dual_sub_f32 v107, v108, v113
	v_add_f32_e32 v59, v86, v59
	ds_bpermute_b32 v83, v83, v63
	v_fmac_f32_e32 v116, 0x32a5705f, v78
	v_dual_fmac_f32 v118, 0x32a5705f, v106 :: v_dual_add_f32 v61, v64, v61
	v_exp_f32_e32 v59, v59
	v_rndne_f32_e32 v117, v110
	v_cvt_i32_f32_e32 v62, v62
	v_cvt_i32_f32_e32 v108, v113
	v_exp_f32_e32 v61, v61
	v_cvt_i32_f32_e32 v113, v115
	v_sub_f32_e32 v110, v110, v117
	v_add_f32_e32 v86, v109, v114
	v_add_f32_e32 v109, v111, v118
	v_cvt_i32_f32_e32 v111, v119
	v_ldexp_f32 v59, v59, v60
	v_add_f32_e32 v64, v107, v112
	v_add_f32_e32 v107, v110, v116
	v_exp_f32_e32 v86, v86
	v_ldexp_f32 v60, v61, v62
	v_cndmask_b32_e32 v59, 0, v59, vcc_lo
	v_exp_f32_e32 v64, v64
	v_cmp_ngt_f32_e32 vcc_lo, 0xc2ce8ed0, v79
	s_waitcnt lgkmcnt(0)
	v_max_f32_e32 v83, v83, v83
	v_exp_f32_e32 v107, v107
	v_cvt_i32_f32_e32 v110, v117
	v_exp_f32_e32 v109, v109
	v_cndmask_b32_e32 v60, 0, v60, vcc_lo
	v_cmp_ngt_f32_e32 vcc_lo, 0xc2ce8ed0, v84
	v_ldexp_f32 v62, v86, v113
	v_sub_f32_e32 v57, v57, v2
	v_ldexp_f32 v61, v64, v108
	s_or_b32 s18, s3, 32
	s_delay_alu instid0(SALU_CYCLE_1) | instskip(SKIP_1) | instid1(VALU_DEP_1)
	s_mul_hi_i32 s19, s18, s10
	s_mul_i32 s18, s18, s10
	v_cndmask_b32_e32 v61, 0, v61, vcc_lo
	v_cmp_ngt_f32_e32 vcc_lo, 0xc2ce8ed0, v105
	v_max_f32_e32 v63, v63, v83
	s_lshl_b64 s[18:19], s[18:19], 2
	s_delay_alu instid0(SALU_CYCLE_1)
	s_add_u32 s18, s11, s18
	v_cndmask_b32_e32 v62, 0, v62, vcc_lo
	ds_bpermute_b32 v64, v82, v63
	v_ldexp_f32 v82, v107, v110
	v_cmp_ngt_f32_e32 vcc_lo, 0xc2ce8ed0, v78
	s_addc_u32 s19, s16, s19
	s_delay_alu instid0(VALU_DEP_2)
	v_cndmask_b32_e32 v82, 0, v82, vcc_lo
	v_cmp_nlt_f32_e32 vcc_lo, 0x42b17218, v85
	v_cndmask_b32_e32 v59, 0x7f800000, v59, vcc_lo
	v_cmp_nlt_f32_e32 vcc_lo, 0x42b17218, v84
	;; [unrolled: 2-line block ×3, first 2 shown]
	s_waitcnt lgkmcnt(0)
	v_max_f32_e32 v64, v64, v64
	s_delay_alu instid0(VALU_DEP_1) | instskip(SKIP_4) | instid1(VALU_DEP_4)
	v_dual_max_f32 v85, v63, v64 :: v_dual_sub_f32 v64, v77, v2
	v_dual_cndmask_b32 v62, 0x7f800000, v62 :: v_dual_add_f32 v61, v83, v59
	v_cmp_nlt_f32_e32 vcc_lo, 0x42b17218, v79
	v_cvt_f16_f32_e32 v59, v59
	v_cvt_f16_f32_e32 v83, v83
	;; [unrolled: 1-line block ×3, first 2 shown]
	v_dual_fmac_f32 v61, v58, v62 :: v_dual_cndmask_b32 v60, 0x7f800000, v60
	v_cmp_nlt_f32_e32 vcc_lo, 0x42b17218, v78
	s_delay_alu instid0(VALU_DEP_3) | instskip(SKIP_1) | instid1(VALU_DEP_4)
	v_pk_mul_f16 v58, v79, v47 op_sel_hi:[0,1]
	v_pk_mul_f16 v79, v79, v48 op_sel_hi:[0,1]
	v_cvt_f16_f32_e32 v84, v60
	v_cndmask_b32_e32 v48, 0x7f800000, v82, vcc_lo
	ds_bpermute_b32 v47, v3, v85
	v_ldexp_f32 v3, v109, v111
	v_max_f32_e32 v77, v87, v87
	v_cmp_ngt_f32_e32 vcc_lo, 0xc2ce8ed0, v106
	v_add_f32_e32 v62, v60, v48
	v_max_f32_e32 v63, v88, v88
	v_mul_f32_e32 v60, 0x3fb8aa3b, v64
	v_mul_f32_e32 v88, 0x3fb8aa3b, v57
	v_cndmask_b32_e32 v78, 0, v3, vcc_lo
	v_cmp_nlt_f32_e32 vcc_lo, 0x42b17218, v106
	v_max_f32_e32 v3, v77, v63
	v_fma_f32 v77, 0x3fb8aa3b, v64, -v60
	v_rndne_f32_e32 v105, v88
	v_cvt_f16_f32_e32 v48, v48
	v_cndmask_b32_e32 v63, 0x7f800000, v78, vcc_lo
	v_rndne_f32_e32 v78, v60
	v_sub_f32_e32 v75, v75, v3
	v_fmac_f32_e32 v77, 0x32a5705f, v64
	v_cmp_ngt_f32_e32 vcc_lo, 0xc2ce8ed0, v64
	v_cvt_f16_f32_e32 v82, v63
	v_dual_fmac_f32 v62, v7, v63 :: v_dual_sub_f32 v7, v60, v78
	v_mul_f32_e32 v60, 0x3fb8aa3b, v75
	v_cvt_i32_f32_e32 v78, v78
	s_delay_alu instid0(VALU_DEP_4)
	v_pk_mul_f16 v86, v82, v45 op_sel_hi:[0,1]
	v_sub_f32_e32 v45, v76, v2
	v_pk_mul_f16 v76, v82, v46 op_sel_hi:[0,1]
	v_fma_f32 v46, 0x3fb8aa3b, v75, -v60
	v_rndne_f32_e32 v63, v60
	v_dual_add_f32 v7, v7, v77 :: v_dual_sub_f32 v56, v56, v3
	v_sub_f32_e32 v74, v74, v3
	s_delay_alu instid0(VALU_DEP_4) | instskip(NEXT) | instid1(VALU_DEP_4)
	v_fmac_f32_e32 v46, 0x32a5705f, v75
	v_dual_sub_f32 v60, v60, v63 :: v_dual_mul_f32 v77, 0x3fb8aa3b, v45
	s_delay_alu instid0(VALU_DEP_4) | instskip(SKIP_2) | instid1(VALU_DEP_2)
	v_exp_f32_e32 v7, v7
	v_cvt_i32_f32_e32 v63, v63
	s_waitcnt lgkmcnt(0)
	v_dual_max_f32 v47, v47, v47 :: v_dual_add_f32 v46, v60, v46
	v_fma_f32 v82, 0x3fb8aa3b, v45, -v77
	v_rndne_f32_e32 v87, v77
	s_delay_alu instid0(VALU_DEP_3) | instskip(NEXT) | instid1(VALU_DEP_2)
	v_exp_f32_e32 v46, v46
	v_fmac_f32_e32 v82, 0x32a5705f, v45
	s_delay_alu instid0(VALU_DEP_2) | instskip(SKIP_3) | instid1(VALU_DEP_3)
	v_sub_f32_e32 v60, v77, v87
	v_fma_f32 v77, 0x3fb8aa3b, v57, -v88
	v_ldexp_f32 v7, v7, v78
	v_sub_f32_e32 v78, v88, v105
	v_dual_add_f32 v60, v60, v82 :: v_dual_fmac_f32 v77, 0x32a5705f, v57
	s_delay_alu instid0(VALU_DEP_3) | instskip(SKIP_1) | instid1(TRANS32_DEP_1)
	v_cndmask_b32_e32 v7, 0, v7, vcc_lo
	v_cmp_nlt_f32_e32 vcc_lo, 0x42b17218, v64
	v_ldexp_f32 v46, v46, v63
	s_delay_alu instid0(VALU_DEP_4)
	v_exp_f32_e32 v60, v60
	v_cvt_i32_f32_e32 v63, v87
	v_mul_f32_e32 v87, 0x3fb8aa3b, v56
	v_cndmask_b32_e32 v7, 0x7f800000, v7, vcc_lo
	v_cmp_ngt_f32_e32 vcc_lo, 0xc2ce8ed0, v75
	v_add_f32_e32 v77, v78, v77
	s_delay_alu instid0(VALU_DEP_4) | instskip(SKIP_1) | instid1(VALU_DEP_3)
	v_rndne_f32_e32 v88, v87
	v_cndmask_b32_e32 v46, 0, v46, vcc_lo
	v_exp_f32_e32 v64, v77
	s_delay_alu instid0(TRANS32_DEP_2) | instskip(SKIP_2) | instid1(VALU_DEP_3)
	v_ldexp_f32 v60, v60, v63
	v_cvt_i32_f32_e32 v63, v105
	v_cmp_ngt_f32_e32 vcc_lo, 0xc2ce8ed0, v45
	v_dual_mul_f32 v77, 0x3fb8aa3b, v74 :: v_dual_cndmask_b32 v60, 0, v60
	s_delay_alu instid0(VALU_DEP_1) | instskip(SKIP_4) | instid1(VALU_DEP_3)
	v_fma_f32 v78, 0x3fb8aa3b, v74, -v77
	s_waitcnt_depctr 0xfff
	v_ldexp_f32 v63, v64, v63
	v_cmp_ngt_f32_e32 vcc_lo, 0xc2ce8ed0, v57
	v_rndne_f32_e32 v82, v77
	v_dual_fmac_f32 v78, 0x32a5705f, v74 :: v_dual_cndmask_b32 v63, 0, v63
	v_cmp_nlt_f32_e32 vcc_lo, 0x42b17218, v45
	s_delay_alu instid0(VALU_DEP_3) | instskip(SKIP_1) | instid1(VALU_DEP_2)
	v_dual_sub_f32 v64, v77, v82 :: v_dual_cndmask_b32 v45, 0x7f800000, v60
	v_fma_f32 v77, 0x3fb8aa3b, v56, -v87
	v_add_f32_e32 v64, v64, v78
	v_cmp_nlt_f32_e32 vcc_lo, 0x42b17218, v57
	v_sub_f32_e32 v78, v87, v88
	s_delay_alu instid0(VALU_DEP_4) | instskip(NEXT) | instid1(VALU_DEP_4)
	v_fmac_f32_e32 v77, 0x32a5705f, v56
	v_exp_f32_e32 v64, v64
	v_cndmask_b32_e32 v57, 0x7f800000, v63, vcc_lo
	v_cmp_nlt_f32_e32 vcc_lo, 0x42b17218, v75
	s_delay_alu instid0(VALU_DEP_3) | instskip(SKIP_2) | instid1(VALU_DEP_3)
	v_dual_add_f32 v63, v45, v7 :: v_dual_add_f32 v60, v78, v77
	v_cvt_i32_f32_e32 v77, v82
	v_cvt_f16_f32_e32 v78, v7
	v_dual_cndmask_b32 v46, 0x7f800000, v46 :: v_dual_fmac_f32 v63, v4, v57
	s_delay_alu instid0(VALU_DEP_4) | instskip(SKIP_1) | instid1(TRANS32_DEP_2)
	v_exp_f32_e32 v60, v60
	v_cvt_i32_f32_e32 v4, v88
	v_ldexp_f32 v7, v64, v77
	v_cmp_ngt_f32_e32 vcc_lo, 0xc2ce8ed0, v74
	v_cvt_f16_f32_e32 v75, v57
	s_delay_alu instid0(VALU_DEP_3) | instskip(SKIP_1) | instid1(TRANS32_DEP_1)
	v_cndmask_b32_e32 v7, 0, v7, vcc_lo
	v_cmp_ngt_f32_e32 vcc_lo, 0xc2ce8ed0, v56
	v_ldexp_f32 v4, v60, v4
	s_delay_alu instid0(VALU_DEP_4)
	v_pk_mul_f16 v57, v75, v43 op_sel_hi:[0,1]
	v_pk_mul_f16 v75, v75, v44 op_sel_hi:[0,1]
	v_max_f32_e32 v44, v90, v90
	v_cvt_f16_f32_e32 v43, v46
	v_cndmask_b32_e32 v64, 0, v4, vcc_lo
	v_cmp_nlt_f32_e32 vcc_lo, 0x42b17218, v74
	v_dual_max_f32 v60, v89, v89 :: v_dual_cndmask_b32 v7, 0x7f800000, v7
	v_cmp_nlt_f32_e32 vcc_lo, 0x42b17218, v56
	s_delay_alu instid0(VALU_DEP_2)
	v_max_f32_e32 v4, v60, v44
	v_cvt_f16_f32_e32 v44, v45
	v_max_f32_e32 v56, v93, v93
	v_max_f32_e32 v60, v92, v92
	v_dual_cndmask_b32 v45, 0x7f800000, v64 :: v_dual_add_f32 v64, v46, v7
	v_cvt_f16_f32_e32 v74, v7
	s_delay_alu instid0(VALU_DEP_2) | instskip(NEXT) | instid1(VALU_DEP_1)
	v_dual_fmac_f32 v64, v5, v45 :: v_dual_max_f32 v5, v60, v56
	v_dual_sub_f32 v71, v71, v5 :: v_dual_sub_f32 v46, v73, v4
	v_cvt_f16_f32_e32 v73, v45
	v_dual_sub_f32 v55, v55, v4 :: v_dual_sub_f32 v54, v54, v5
	s_delay_alu instid0(VALU_DEP_3) | instskip(NEXT) | instid1(VALU_DEP_3)
	v_mul_f32_e32 v7, 0x3fb8aa3b, v46
	v_pk_mul_f16 v56, v73, v41 op_sel_hi:[0,1]
	v_sub_f32_e32 v41, v72, v4
	v_pk_mul_f16 v77, v73, v42 op_sel_hi:[0,1]
	v_mul_f32_e32 v72, 0x3fb8aa3b, v71
	v_fma_f32 v45, 0x3fb8aa3b, v46, -v7
	v_rndne_f32_e32 v60, v7
	v_mul_f32_e32 v42, 0x3fb8aa3b, v41
	s_delay_alu instid0(VALU_DEP_4) | instskip(NEXT) | instid1(VALU_DEP_4)
	v_rndne_f32_e32 v87, v72
	v_fmac_f32_e32 v45, 0x32a5705f, v46
	s_delay_alu instid0(VALU_DEP_4) | instskip(NEXT) | instid1(VALU_DEP_4)
	v_sub_f32_e32 v7, v7, v60
	v_fma_f32 v73, 0x3fb8aa3b, v41, -v42
	v_rndne_f32_e32 v82, v42
	v_cvt_i32_f32_e32 v60, v60
	s_delay_alu instid0(VALU_DEP_4) | instskip(SKIP_1) | instid1(VALU_DEP_4)
	v_add_f32_e32 v7, v7, v45
	v_fma_f32 v45, 0x3fb8aa3b, v71, -v72
	v_dual_fmac_f32 v73, 0x32a5705f, v41 :: v_dual_sub_f32 v42, v42, v82
	v_sub_f32_e32 v72, v72, v87
	s_delay_alu instid0(VALU_DEP_4) | instskip(NEXT) | instid1(VALU_DEP_3)
	v_exp_f32_e32 v7, v7
	v_fmac_f32_e32 v45, 0x32a5705f, v71
	v_cmp_ngt_f32_e32 vcc_lo, 0xc2ce8ed0, v46
	v_add_f32_e32 v42, v42, v73
	s_delay_alu instid0(VALU_DEP_3) | instskip(SKIP_1) | instid1(VALU_DEP_3)
	v_dual_mul_f32 v88, 0x3fb8aa3b, v55 :: v_dual_add_f32 v45, v72, v45
	v_cvt_i32_f32_e32 v72, v82
	v_exp_f32_e32 v42, v42
	s_delay_alu instid0(VALU_DEP_2) | instskip(SKIP_1) | instid1(TRANS32_DEP_2)
	v_fma_f32 v73, 0x3fb8aa3b, v55, -v88
	v_rndne_f32_e32 v89, v88
	v_ldexp_f32 v7, v7, v60
	v_exp_f32_e32 v45, v45
	v_max_f32_e32 v82, v95, v95
	s_delay_alu instid0(VALU_DEP_3) | instskip(NEXT) | instid1(VALU_DEP_3)
	v_dual_fmac_f32 v73, 0x32a5705f, v55 :: v_dual_sub_f32 v60, v88, v89
	v_cndmask_b32_e32 v7, 0, v7, vcc_lo
	v_cmp_nlt_f32_e32 vcc_lo, 0x42b17218, v46
	s_delay_alu instid0(TRANS32_DEP_2)
	v_ldexp_f32 v42, v42, v72
	v_sub_f32_e32 v72, v69, v5
	v_add_f32_e32 v60, v60, v73
	v_cvt_i32_f32_e32 v73, v87
	v_cndmask_b32_e32 v7, 0x7f800000, v7, vcc_lo
	v_cmp_ngt_f32_e32 vcc_lo, 0xc2ce8ed0, v41
	s_delay_alu instid0(VALU_DEP_4) | instskip(NEXT) | instid1(VALU_DEP_3)
	v_exp_f32_e32 v46, v60
	v_ldexp_f32 v45, v45, v73
	v_cvt_i32_f32_e32 v60, v89
	v_cndmask_b32_e32 v42, 0, v42, vcc_lo
	v_cmp_ngt_f32_e32 vcc_lo, 0xc2ce8ed0, v71
	v_cvt_f16_f32_e32 v73, v7
	v_cndmask_b32_e32 v45, 0, v45, vcc_lo
	v_cmp_nlt_f32_e32 vcc_lo, 0x42b17218, v41
	v_cndmask_b32_e32 v41, 0x7f800000, v42, vcc_lo
	v_cmp_nlt_f32_e32 vcc_lo, 0x42b17218, v71
	v_ldexp_f32 v42, v46, v60
	s_delay_alu instid0(VALU_DEP_3)
	v_dual_mul_f32 v46, 0x3fb8aa3b, v72 :: v_dual_add_f32 v69, v41, v7
	v_cndmask_b32_e32 v45, 0x7f800000, v45, vcc_lo
	v_cmp_ngt_f32_e32 vcc_lo, 0xc2ce8ed0, v55
	v_cvt_f16_f32_e32 v41, v41
	v_cndmask_b32_e32 v42, 0, v42, vcc_lo
	v_cmp_nlt_f32_e32 vcc_lo, 0x42b17218, v55
	v_mul_f32_e32 v55, 0x3fb8aa3b, v54
	v_fma_f32 v60, 0x3fb8aa3b, v72, -v46
	v_rndne_f32_e32 v71, v46
	v_cndmask_b32_e32 v42, 0x7f800000, v42, vcc_lo
	v_cmp_ngt_f32_e32 vcc_lo, 0xc2ce8ed0, v72
	s_delay_alu instid0(VALU_DEP_4) | instskip(NEXT) | instid1(VALU_DEP_4)
	v_fmac_f32_e32 v60, 0x32a5705f, v72
	v_sub_f32_e32 v46, v46, v71
	s_delay_alu instid0(VALU_DEP_4) | instskip(SKIP_2) | instid1(VALU_DEP_4)
	v_fmac_f32_e32 v69, v6, v42
	v_cvt_f16_f32_e32 v7, v42
	v_fma_f32 v42, 0x3fb8aa3b, v54, -v55
	v_add_f32_e32 v6, v46, v60
	v_rndne_f32_e32 v46, v55
	v_max_f32_e32 v60, v96, v96
	v_pk_mul_f16 v87, v7, v39 op_sel_hi:[0,1]
	s_delay_alu instid0(VALU_DEP_3) | instskip(SKIP_1) | instid1(VALU_DEP_3)
	v_sub_f32_e32 v55, v55, v46
	v_exp_f32_e32 v39, v6
	v_max_f32_e32 v6, v82, v60
	v_pk_mul_f16 v60, v7, v40 op_sel_hi:[0,1]
	v_cvt_i32_f32_e32 v7, v71
	v_cvt_i32_f32_e32 v46, v46
	v_cvt_f16_f32_e32 v40, v45
	s_waitcnt_depctr 0xfff
	v_ldexp_f32 v39, v39, v7
	v_dual_fmac_f32 v42, 0x32a5705f, v54 :: v_dual_max_f32 v7, v85, v47
	v_pack_b32_f16 v41, v41, v40
	v_pack_b32_f16 v40, v44, v43
	s_delay_alu instid0(VALU_DEP_3) | instskip(NEXT) | instid1(VALU_DEP_4)
	v_dual_cndmask_b32 v39, 0, v39 :: v_dual_add_f32 v42, v55, v42
	v_sub_f32_e32 v81, v81, v7
	v_sub_f32_e32 v55, v94, v6
	v_cmp_nlt_f32_e32 vcc_lo, 0x42b17218, v72
	v_pack_b32_f16 v43, v59, v48
	v_exp_f32_e32 v42, v42
	v_pack_b32_f16 v44, v78, v74
	v_mul_f32_e32 v71, 0x3fb8aa3b, v55
	v_sub_f32_e32 v51, v51, v7
	s_delay_alu instid0(VALU_DEP_2) | instskip(SKIP_2) | instid1(TRANS32_DEP_1)
	v_fma_f32 v47, 0x3fb8aa3b, v55, -v71
	v_rndne_f32_e32 v82, v71
	v_cndmask_b32_e32 v39, 0x7f800000, v39, vcc_lo
	v_ldexp_f32 v42, v42, v46
	v_cmp_ngt_f32_e32 vcc_lo, 0xc2ce8ed0, v54
	s_delay_alu instid0(VALU_DEP_4) | instskip(NEXT) | instid1(VALU_DEP_4)
	v_dual_fmac_f32 v47, 0x32a5705f, v55 :: v_dual_sub_f32 v46, v71, v82
	v_dual_mul_f32 v72, 0x3fb8aa3b, v81 :: v_dual_add_f32 v71, v45, v39
	s_delay_alu instid0(VALU_DEP_4) | instskip(SKIP_1) | instid1(VALU_DEP_4)
	v_cndmask_b32_e32 v42, 0, v42, vcc_lo
	v_cmp_nlt_f32_e32 vcc_lo, 0x42b17218, v54
	v_add_f32_e32 v45, v46, v47
	v_cvt_f16_f32_e32 v85, v39
	v_cvt_i32_f32_e32 v39, v82
	v_fma_f32 v46, 0x3fb8aa3b, v81, -v72
	v_cndmask_b32_e32 v42, 0x7f800000, v42, vcc_lo
	v_exp_f32_e32 v45, v45
	v_rndne_f32_e32 v47, v72
	v_cmp_ngt_f32_e32 vcc_lo, 0xc2ce8ed0, v55
	s_delay_alu instid0(VALU_DEP_2) | instskip(SKIP_3) | instid1(VALU_DEP_1)
	v_dual_fmac_f32 v71, v53, v42 :: v_dual_sub_f32 v54, v72, v47
	v_cvt_i32_f32_e32 v47, v47
	s_waitcnt_depctr 0xfff
	v_ldexp_f32 v39, v45, v39
	v_dual_fmac_f32 v46, 0x32a5705f, v81 :: v_dual_cndmask_b32 v39, 0, v39
	v_cmp_nlt_f32_e32 vcc_lo, 0x42b17218, v55
	s_delay_alu instid0(VALU_DEP_2) | instskip(NEXT) | instid1(VALU_DEP_1)
	v_dual_sub_f32 v72, v91, v6 :: v_dual_cndmask_b32 v55, 0x7f800000, v39
	v_mul_f32_e32 v53, 0x3fb8aa3b, v72
	v_cmp_ngt_f32_e32 vcc_lo, 0xc2ce8ed0, v81
	s_delay_alu instid0(VALU_DEP_2) | instskip(SKIP_2) | instid1(VALU_DEP_3)
	v_fma_f32 v45, 0x3fb8aa3b, v72, -v53
	v_add_f32_e32 v46, v54, v46
	v_cvt_f16_f32_e32 v54, v42
	v_fmac_f32_e32 v45, 0x32a5705f, v72
	s_delay_alu instid0(VALU_DEP_3) | instskip(SKIP_4) | instid1(VALU_DEP_3)
	v_exp_f32_e32 v42, v46
	v_rndne_f32_e32 v46, v53
	v_sub_f32_e32 v80, v80, v7
	v_pk_mul_f16 v37, v54, v37 op_sel_hi:[0,1]
	v_pk_mul_f16 v38, v54, v38 op_sel_hi:[0,1]
	v_dual_sub_f32 v53, v53, v46 :: v_dual_mul_f32 v82, 0x3fb8aa3b, v80
	v_cvt_i32_f32_e32 v46, v46
	s_delay_alu instid0(TRANS32_DEP_1) | instskip(NEXT) | instid1(VALU_DEP_3)
	v_ldexp_f32 v39, v42, v47
	v_add_f32_e32 v42, v53, v45
	s_delay_alu instid0(VALU_DEP_4)
	v_fma_f32 v45, 0x3fb8aa3b, v80, -v82
	v_sub_f32_e32 v52, v52, v6
	v_rndne_f32_e32 v47, v82
	v_cndmask_b32_e32 v39, 0, v39, vcc_lo
	v_cmp_nlt_f32_e32 vcc_lo, 0x42b17218, v81
	v_fmac_f32_e32 v45, 0x32a5705f, v80
	v_exp_f32_e32 v42, v42
	v_dual_sub_f32 v53, v82, v47 :: v_dual_mul_f32 v82, 0x3fb8aa3b, v52
	v_cndmask_b32_e32 v81, 0x7f800000, v39, vcc_lo
	v_cmp_ngt_f32_e32 vcc_lo, 0xc2ce8ed0, v72
	v_cvt_i32_f32_e32 v47, v47
	s_waitcnt_depctr 0xfff
	v_ldexp_f32 v42, v42, v46
	v_fma_f32 v46, 0x3fb8aa3b, v52, -v82
	v_add_f32_e32 v39, v53, v45
	v_mul_f32_e32 v45, 0x3fb8aa3b, v51
	v_rndne_f32_e32 v53, v82
	v_cndmask_b32_e32 v42, 0, v42, vcc_lo
	v_fmac_f32_e32 v46, 0x32a5705f, v52
	v_exp_f32_e32 v39, v39
	v_fma_f32 v88, 0x3fb8aa3b, v51, -v45
	v_rndne_f32_e32 v89, v45
	v_sub_f32_e32 v82, v82, v53
	v_cmp_nlt_f32_e32 vcc_lo, 0x42b17218, v72
	s_delay_alu instid0(VALU_DEP_3) | instskip(NEXT) | instid1(VALU_DEP_3)
	v_dual_fmac_f32 v88, 0x32a5705f, v51 :: v_dual_sub_f32 v45, v45, v89
	v_add_f32_e32 v46, v82, v46
	v_cvt_f16_f32_e32 v82, v55
	s_delay_alu instid0(TRANS32_DEP_1)
	v_ldexp_f32 v39, v39, v47
	v_cndmask_b32_e32 v47, 0x7f800000, v42, vcc_lo
	v_add_f32_e32 v45, v45, v88
	v_exp_f32_e32 v42, v46
	v_cmp_ngt_f32_e32 vcc_lo, 0xc2ce8ed0, v80
	v_cvt_i32_f32_e32 v46, v53
	v_cvt_f16_f32_e32 v53, v81
	v_exp_f32_e32 v45, v45
	s_waitcnt_depctr 0xfff
	v_ldexp_f32 v88, v42, v46
	v_cndmask_b32_e32 v39, 0, v39, vcc_lo
	v_cmp_nlt_f32_e32 vcc_lo, 0x42b17218, v80
	s_delay_alu instid0(VALU_DEP_2) | instskip(SKIP_2) | instid1(VALU_DEP_3)
	v_cndmask_b32_e32 v72, 0x7f800000, v39, vcc_lo
	v_cvt_i32_f32_e32 v39, v89
	v_cmp_ngt_f32_e32 vcc_lo, 0xc2ce8ed0, v52
	v_cvt_f16_f32_e32 v46, v72
	v_add_f32_e32 v72, v81, v72
	v_cvt_f16_f32_e32 v80, v47
	v_ldexp_f32 v89, v45, v39
	v_cndmask_b32_e32 v48, 0, v88, vcc_lo
	v_cmp_ngt_f32_e32 vcc_lo, 0xc2ce8ed0, v51
	v_pack_b32_f16 v39, v83, v84
	v_pack_b32_f16 v42, v80, v53
	;; [unrolled: 1-line block ×4, first 2 shown]
	v_cndmask_b32_e32 v53, 0, v89, vcc_lo
	v_cmp_nlt_f32_e32 vcc_lo, 0x42b17218, v52
	ds_store_b128 v31, v[39:42]
	ds_store_b128 v31, v[43:46] offset:512
	s_waitcnt vmcnt(1)
	ds_store_b128 v26, v[97:100]
	s_waitcnt vmcnt(0)
	ds_store_b128 v27, v[101:104]
	s_waitcnt lgkmcnt(0)
	s_barrier
	buffer_gl0_inv
	ds_load_2addr_b64 v[39:42], v29 offset1:32
	ds_load_b128 v[43:46], v23
	v_dual_cndmask_b32 v48, 0x7f800000, v48 :: v_dual_add_f32 v73, v47, v55
	v_cmp_nlt_f32_e32 vcc_lo, 0x42b17218, v51
	s_delay_alu instid0(VALU_DEP_2) | instskip(NEXT) | instid1(VALU_DEP_3)
	v_cvt_f16_f32_e32 v47, v48
	v_fmac_f32_e32 v73, v50, v48
	v_cndmask_b32_e32 v51, 0x7f800000, v53, vcc_lo
	s_delay_alu instid0(VALU_DEP_3) | instskip(SKIP_1) | instid1(VALU_DEP_3)
	v_pk_mul_f16 v55, v47, v35 op_sel_hi:[0,1]
	v_pk_mul_f16 v59, v47, v36 op_sel_hi:[0,1]
	v_cvt_f16_f32_e32 v52, v51
	v_fmac_f32_e32 v72, v49, v51
	s_delay_alu instid0(VALU_DEP_2)
	v_pk_mul_f16 v74, v52, v34 op_sel_hi:[0,1]
	v_pk_mul_f16 v78, v52, v33 op_sel_hi:[0,1]
	ds_load_b128 v[33:36], v23 offset:16
	ds_load_b128 v[47:50], v23 offset:32
	ds_load_b128 v[51:54], v23 offset:48
	s_waitcnt lgkmcnt(3)
	v_pk_fma_f16 v80, v39, v43, v58 op_sel_hi:[1,0,1]
	v_pk_fma_f16 v82, v39, v44, v57 op_sel_hi:[1,0,1]
	v_pk_fma_f16 v83, v39, v44, v56 op_sel:[0,1,0]
	v_pk_fma_f16 v85, v39, v46, v55 op_sel_hi:[1,0,1]
	ds_load_2addr_b64 v[55:58], v29 offset0:64 offset1:96
	v_pk_fma_f16 v81, v39, v43, v86 op_sel:[0,1,0]
	v_pk_fma_f16 v84, v39, v45, v87 op_sel_hi:[1,0,1]
	v_pk_fma_f16 v37, v39, v45, v37 op_sel:[0,1,0]
	v_pk_fma_f16 v39, v39, v46, v74 op_sel:[0,1,0]
	v_pk_fma_f16 v74, v40, v43, v79 op_sel_hi:[1,0,1]
	v_pk_fma_f16 v43, v40, v43, v76 op_sel:[0,1,0]
	v_pk_fma_f16 v75, v40, v44, v75 op_sel_hi:[1,0,1]
	;; [unrolled: 2-line block ×4, first 2 shown]
	v_pk_fma_f16 v40, v40, v46, v78 op_sel:[0,1,0]
	s_waitcnt lgkmcnt(3)
	v_pk_fma_f16 v46, v41, v33, v80 op_sel_hi:[1,0,1]
	v_pk_fma_f16 v59, v41, v33, v81 op_sel:[0,1,0]
	v_pk_fma_f16 v76, v41, v34, v82 op_sel_hi:[1,0,1]
	v_pk_fma_f16 v77, v41, v34, v83 op_sel:[0,1,0]
	;; [unrolled: 2-line block ×8, first 2 shown]
	s_waitcnt lgkmcnt(0)
	v_pk_fma_f16 v46, v55, v47, v46 op_sel_hi:[1,0,1]
	v_pk_fma_f16 v59, v55, v47, v59 op_sel:[0,1,0]
	v_pk_fma_f16 v60, v55, v48, v76 op_sel_hi:[1,0,1]
	v_pk_fma_f16 v74, v55, v48, v77 op_sel:[0,1,0]
	;; [unrolled: 2-line block ×7, first 2 shown]
	ds_load_2addr_b64 v[33:36], v29 offset0:128 offset1:160
	ds_load_b128 v[37:40], v23 offset:64
	v_pk_fma_f16 v45, v56, v50, v45 op_sel_hi:[1,0,1]
	v_pk_fma_f16 v50, v56, v50, v42 op_sel:[0,1,0]
	v_pk_fma_f16 v46, v57, v51, v46 op_sel_hi:[1,0,1]
	v_pk_fma_f16 v56, v57, v51, v59 op_sel:[0,1,0]
	v_pk_fma_f16 v59, v57, v52, v60 op_sel_hi:[1,0,1]
	v_pk_fma_f16 v60, v57, v52, v74 op_sel:[0,1,0]
	v_pk_fma_f16 v74, v57, v53, v75 op_sel_hi:[1,0,1]
	v_pk_fma_f16 v75, v57, v53, v76 op_sel:[0,1,0]
	v_pk_fma_f16 v76, v57, v54, v77 op_sel_hi:[1,0,1]
	v_pk_fma_f16 v55, v57, v54, v55 op_sel:[0,1,0]
	v_pk_fma_f16 v57, v58, v51, v41 op_sel_hi:[1,0,1]
	v_pk_fma_f16 v47, v58, v51, v47 op_sel:[0,1,0]
	v_pk_fma_f16 v51, v58, v52, v43 op_sel_hi:[1,0,1]
	v_pk_fma_f16 v48, v58, v52, v48 op_sel:[0,1,0]
	v_pk_fma_f16 v52, v58, v53, v44 op_sel_hi:[1,0,1]
	v_pk_fma_f16 v49, v58, v53, v49 op_sel:[0,1,0]
	ds_load_b128 v[41:44], v23 offset:80
	v_pk_fma_f16 v53, v58, v54, v45 op_sel_hi:[1,0,1]
	v_pk_fma_f16 v54, v58, v54, v50 op_sel:[0,1,0]
	s_waitcnt lgkmcnt(1)
	v_pk_fma_f16 v58, v33, v37, v46 op_sel_hi:[1,0,1]
	v_pk_fma_f16 v56, v33, v37, v56 op_sel:[0,1,0]
	v_pk_fma_f16 v59, v33, v38, v59 op_sel_hi:[1,0,1]
	v_pk_fma_f16 v60, v33, v38, v60 op_sel:[0,1,0]
	;; [unrolled: 2-line block ×7, first 2 shown]
	ds_load_2addr_b64 v[45:48], v29 offset0:192 offset1:224
	ds_load_b128 v[49:52], v23 offset:96
	v_pk_fma_f16 v53, v34, v40, v53 op_sel_hi:[1,0,1]
	v_pk_fma_f16 v34, v34, v40, v54 op_sel:[0,1,0]
	s_waitcnt lgkmcnt(2)
	v_pk_fma_f16 v40, v35, v41, v58 op_sel_hi:[1,0,1]
	v_pk_fma_f16 v54, v35, v41, v56 op_sel:[0,1,0]
	v_pk_fma_f16 v56, v35, v42, v59 op_sel_hi:[1,0,1]
	v_pk_fma_f16 v58, v35, v42, v60 op_sel:[0,1,0]
	;; [unrolled: 2-line block ×8, first 2 shown]
	ds_load_b128 v[36:39], v23 offset:112
	s_waitcnt lgkmcnt(1)
	v_pk_fma_f16 v44, v45, v49, v40 op_sel_hi:[1,0,1]
	v_pk_fma_f16 v76, v45, v49, v54 op_sel:[0,1,0]
	v_pk_fma_f16 v77, v45, v50, v56 op_sel_hi:[1,0,1]
	v_pk_fma_f16 v58, v45, v50, v58 op_sel:[0,1,0]
	;; [unrolled: 2-line block ×4, first 2 shown]
	v_pk_fma_f16 v45, v46, v49, v35 op_sel_hi:[1,0,1]
	v_add_nc_u32_e32 v35, 0x800, v29
	v_pk_fma_f16 v49, v46, v49, v41 op_sel:[0,1,0]
	v_pk_fma_f16 v78, v46, v50, v55 op_sel_hi:[1,0,1]
	v_pk_fma_f16 v50, v46, v50, v42 op_sel:[0,1,0]
	v_pk_fma_f16 v57, v46, v51, v57 op_sel_hi:[1,0,1]
	v_pk_fma_f16 v51, v46, v51, v43 op_sel:[0,1,0]
	ds_load_2addr_b64 v[40:43], v35 offset1:32
	ds_load_b128 v[53:56], v23 offset:128
	v_pk_fma_f16 v75, v46, v52, v75 op_sel_hi:[1,0,1]
	v_pk_fma_f16 v34, v46, v52, v34 op_sel:[0,1,0]
	s_waitcnt lgkmcnt(2)
	v_pk_fma_f16 v52, v47, v36, v44 op_sel_hi:[1,0,1]
	v_pk_fma_f16 v76, v47, v36, v76 op_sel:[0,1,0]
	v_pk_fma_f16 v77, v47, v37, v77 op_sel_hi:[1,0,1]
	v_pk_fma_f16 v58, v47, v37, v58 op_sel:[0,1,0]
	;; [unrolled: 2-line block ×7, first 2 shown]
	ds_load_b128 v[44:47], v23 offset:144
	v_pk_fma_f16 v57, v48, v39, v75 op_sel_hi:[1,0,1]
	v_pk_fma_f16 v34, v48, v39, v34 op_sel:[0,1,0]
	s_waitcnt lgkmcnt(1)
	v_pk_fma_f16 v52, v40, v53, v52 op_sel_hi:[1,0,1]
	v_pk_fma_f16 v75, v40, v53, v76 op_sel:[0,1,0]
	v_pk_fma_f16 v76, v40, v54, v77 op_sel_hi:[1,0,1]
	v_pk_fma_f16 v58, v40, v54, v58 op_sel:[0,1,0]
	;; [unrolled: 2-line block ×7, first 2 shown]
	ds_load_2addr_b64 v[36:39], v35 offset0:64 offset1:96
	ds_load_b128 v[48:51], v23 offset:160
	v_pk_fma_f16 v57, v41, v56, v57 op_sel_hi:[1,0,1]
	v_pk_fma_f16 v34, v41, v56, v34 op_sel:[0,1,0]
	s_waitcnt lgkmcnt(2)
	v_pk_fma_f16 v41, v42, v44, v52 op_sel_hi:[1,0,1]
	v_pk_fma_f16 v56, v42, v44, v75 op_sel:[0,1,0]
	v_pk_fma_f16 v75, v42, v45, v76 op_sel_hi:[1,0,1]
	v_pk_fma_f16 v58, v42, v45, v58 op_sel:[0,1,0]
	;; [unrolled: 2-line block ×6, first 2 shown]
	ds_load_b128 v[52:55], v23 offset:176
	v_pk_fma_f16 v76, v43, v46, v78 op_sel_hi:[1,0,1]
	v_pk_fma_f16 v46, v43, v46, v79 op_sel:[0,1,0]
	v_pk_fma_f16 v57, v43, v47, v57 op_sel_hi:[1,0,1]
	v_pk_fma_f16 v34, v43, v47, v34 op_sel:[0,1,0]
	s_waitcnt lgkmcnt(1)
	v_pk_fma_f16 v41, v36, v48, v41 op_sel_hi:[1,0,1]
	v_pk_fma_f16 v43, v36, v48, v56 op_sel:[0,1,0]
	v_pk_fma_f16 v186, v36, v49, v75 op_sel_hi:[1,0,1]
	v_pk_fma_f16 v187, v36, v49, v58 op_sel:[0,1,0]
	v_pk_fma_f16 v188, v36, v50, v59 op_sel_hi:[1,0,1]
	v_pk_fma_f16 v60, v36, v50, v60 op_sel:[0,1,0]
	v_pk_fma_f16 v189, v36, v51, v74 op_sel_hi:[1,0,1]
	v_pk_fma_f16 v190, v36, v51, v33 op_sel:[0,1,0]
	v_add_co_u32 v36, vcc_lo, s18, v13
	v_pk_fma_f16 v191, v37, v48, v40 op_sel_hi:[1,0,1]
	v_pk_fma_f16 v192, v37, v48, v42 op_sel:[0,1,0]
	v_pk_fma_f16 v193, v37, v49, v44 op_sel_hi:[1,0,1]
	v_pk_fma_f16 v194, v37, v49, v45 op_sel:[0,1,0]
	;; [unrolled: 2-line block ×4, first 2 shown]
	v_add_co_ci_u32_e32 v37, vcc_lo, s19, v14, vcc_lo
	v_add_co_u32 v178, vcc_lo, s18, v15
	v_add_co_ci_u32_e32 v179, vcc_lo, s19, v16, vcc_lo
	v_add_co_u32 v36, vcc_lo, v36, v32
	s_delay_alu instid0(VALU_DEP_4) | instskip(NEXT) | instid1(VALU_DEP_4)
	v_add_co_ci_u32_e32 v37, vcc_lo, 0, v37, vcc_lo
	v_add_co_u32 v182, vcc_lo, v178, v32
	v_add_nc_u32_e32 v33, 0x1800, v29
	v_add_co_ci_u32_e32 v183, vcc_lo, 0, v179, vcc_lo
	v_add_nc_u32_e32 v34, 0x1000, v29
	s_waitcnt lgkmcnt(0)
	v_pk_fma_f16 v199, v38, v52, v41 op_sel_hi:[1,0,1]
	v_pk_fma_f16 v200, v38, v52, v43 op_sel:[0,1,0]
	ds_load_2addr_b64 v[40:43], v35 offset0:128 offset1:160
	ds_load_b128 v[44:47], v23 offset:192
	ds_load_b128 v[48:51], v23 offset:208
	ds_load_2addr_b64 v[56:59], v35 offset0:192 offset1:224
	ds_load_b128 v[74:77], v23 offset:224
	ds_load_b128 v[78:81], v23 offset:240
	ds_load_2addr_b64 v[82:85], v34 offset1:32
	ds_load_b128 v[86:89], v23 offset:256
	ds_load_b128 v[90:93], v23 offset:272
	ds_load_2addr_b64 v[94:97], v34 offset0:64 offset1:96
	ds_load_b128 v[98:101], v23 offset:288
	ds_load_b128 v[102:105], v23 offset:304
	ds_load_2addr_b64 v[106:109], v34 offset0:128 offset1:160
	;; [unrolled: 3-line block ×3, first 2 shown]
	ds_load_b128 v[122:125], v23 offset:352
	ds_load_b128 v[126:129], v23 offset:368
	ds_load_2addr_b64 v[130:133], v33 offset1:32
	ds_load_b128 v[134:137], v23 offset:384
	ds_load_b128 v[138:141], v23 offset:400
	ds_load_2addr_b64 v[142:145], v33 offset0:64 offset1:96
	ds_load_b128 v[146:149], v23 offset:416
	ds_load_b128 v[150:153], v23 offset:432
	ds_load_2addr_b64 v[154:157], v33 offset0:128 offset1:160
	;; [unrolled: 3-line block ×3, first 2 shown]
	ds_load_b128 v[170:173], v23 offset:480
	ds_load_b128 v[174:177], v23 offset:496
	s_waitcnt lgkmcnt(0)
	s_barrier
	buffer_gl0_inv
	s_clause 0x1
	global_load_b128 v[178:181], v[36:37], off
	global_load_b128 v[182:185], v[182:183], off
	v_pk_fma_f16 v36, v38, v53, v186 op_sel_hi:[1,0,1]
	v_pk_fma_f16 v37, v38, v53, v187 op_sel:[0,1,0]
	v_pk_fma_f16 v186, v38, v54, v188 op_sel_hi:[1,0,1]
	v_pk_fma_f16 v60, v38, v54, v60 op_sel:[0,1,0]
	;; [unrolled: 2-line block ×12, first 2 shown]
	v_pk_fma_f16 v39, v41, v47, v39 op_sel:[0,1,0]
	v_pk_fma_f16 v52, v41, v45, v189 op_sel_hi:[1,0,1]
	v_pk_fma_f16 v45, v41, v45, v53 op_sel:[0,1,0]
	v_pk_fma_f16 v53, v41, v46, v190 op_sel_hi:[1,0,1]
	;; [unrolled: 2-line block ×3, first 2 shown]
	v_pk_fma_f16 v41, v42, v48, v55 op_sel_hi:[1,0,1]
	v_pk_fma_f16 v47, v42, v48, v192 op_sel:[0,1,0]
	v_pk_fma_f16 v36, v42, v49, v36 op_sel_hi:[1,0,1]
	v_pk_fma_f16 v37, v42, v49, v37 op_sel:[0,1,0]
	v_pk_fma_f16 v55, v42, v50, v186 op_sel_hi:[1,0,1]
	v_pk_fma_f16 v60, v42, v50, v60 op_sel:[0,1,0]
	v_pk_fma_f16 v186, v42, v51, v187 op_sel_hi:[1,0,1]
	v_pk_fma_f16 v38, v42, v51, v38 op_sel:[0,1,0]
	v_pk_fma_f16 v40, v43, v48, v40 op_sel_hi:[1,0,1]
	v_pk_fma_f16 v42, v43, v48, v44 op_sel:[0,1,0]
	v_pk_fma_f16 v39, v43, v51, v39 op_sel:[0,1,0]
	v_pk_fma_f16 v44, v43, v49, v52 op_sel_hi:[1,0,1]
	v_pk_fma_f16 v45, v43, v49, v45 op_sel:[0,1,0]
	v_pk_fma_f16 v48, v43, v50, v53 op_sel_hi:[1,0,1]
	;; [unrolled: 2-line block ×3, first 2 shown]
	v_pk_fma_f16 v41, v56, v74, v41 op_sel_hi:[1,0,1]
	v_pk_fma_f16 v43, v56, v74, v47 op_sel:[0,1,0]
	v_pk_fma_f16 v36, v56, v75, v36 op_sel_hi:[1,0,1]
	v_pk_fma_f16 v37, v56, v75, v37 op_sel:[0,1,0]
	v_pk_fma_f16 v38, v56, v77, v38 op_sel:[0,1,0]
	v_pk_fma_f16 v40, v57, v74, v40 op_sel_hi:[1,0,1]
	v_pk_fma_f16 v42, v57, v74, v42 op_sel:[0,1,0]
	;; [unrolled: 3-line block ×3, first 2 shown]
	v_pk_fma_f16 v36, v58, v79, v36 op_sel_hi:[1,0,1]
	v_pk_fma_f16 v37, v58, v79, v37 op_sel:[0,1,0]
	v_pk_fma_f16 v38, v58, v81, v38 op_sel:[0,1,0]
	v_pk_fma_f16 v40, v59, v78, v40 op_sel_hi:[1,0,1]
	v_pk_fma_f16 v42, v59, v78, v42 op_sel:[0,1,0]
	v_pk_fma_f16 v39, v59, v81, v39 op_sel:[0,1,0]
	v_pk_fma_f16 v47, v56, v76, v55 op_sel_hi:[1,0,1]
	v_pk_fma_f16 v50, v56, v76, v60 op_sel:[0,1,0]
	v_pk_fma_f16 v51, v56, v77, v186 op_sel_hi:[1,0,1]
	v_pk_fma_f16 v41, v82, v86, v41 op_sel_hi:[1,0,1]
	v_pk_fma_f16 v43, v82, v86, v43 op_sel:[0,1,0]
	v_pk_fma_f16 v36, v82, v87, v36 op_sel_hi:[1,0,1]
	v_pk_fma_f16 v37, v82, v87, v37 op_sel:[0,1,0]
	v_pk_fma_f16 v38, v82, v89, v38 op_sel:[0,1,0]
	v_pk_fma_f16 v40, v83, v86, v40 op_sel_hi:[1,0,1]
	v_pk_fma_f16 v42, v83, v86, v42 op_sel:[0,1,0]
	v_pk_fma_f16 v39, v83, v89, v39 op_sel:[0,1,0]
	v_pk_fma_f16 v44, v57, v75, v44 op_sel_hi:[1,0,1]
	v_pk_fma_f16 v45, v57, v75, v45 op_sel:[0,1,0]
	v_pk_fma_f16 v48, v57, v76, v48 op_sel_hi:[1,0,1]
	v_pk_fma_f16 v46, v57, v76, v46 op_sel:[0,1,0]
	v_pk_fma_f16 v49, v57, v77, v49 op_sel_hi:[1,0,1]
	v_pk_fma_f16 v47, v58, v80, v47 op_sel_hi:[1,0,1]
	v_pk_fma_f16 v50, v58, v80, v50 op_sel:[0,1,0]
	v_pk_fma_f16 v51, v58, v81, v51 op_sel_hi:[1,0,1]
	v_pk_fma_f16 v41, v84, v90, v41 op_sel_hi:[1,0,1]
	v_pk_fma_f16 v43, v84, v90, v43 op_sel:[0,1,0]
	v_pk_fma_f16 v36, v84, v91, v36 op_sel_hi:[1,0,1]
	v_pk_fma_f16 v37, v84, v91, v37 op_sel:[0,1,0]
	v_pk_fma_f16 v38, v84, v93, v38 op_sel:[0,1,0]
	v_pk_fma_f16 v40, v85, v90, v40 op_sel_hi:[1,0,1]
	v_pk_fma_f16 v42, v85, v90, v42 op_sel:[0,1,0]
	v_pk_fma_f16 v39, v85, v93, v39 op_sel:[0,1,0]
	v_pk_fma_f16 v44, v59, v79, v44 op_sel_hi:[1,0,1]
	v_pk_fma_f16 v45, v59, v79, v45 op_sel:[0,1,0]
	v_pk_fma_f16 v48, v59, v80, v48 op_sel_hi:[1,0,1]
	v_pk_fma_f16 v46, v59, v80, v46 op_sel:[0,1,0]
	v_pk_fma_f16 v49, v59, v81, v49 op_sel_hi:[1,0,1]
	;; [unrolled: 16-line block ×14, first 2 shown]
	v_pk_fma_f16 v47, v154, v160, v47 op_sel_hi:[1,0,1]
	v_pk_fma_f16 v50, v154, v160, v50 op_sel:[0,1,0]
	v_pk_fma_f16 v51, v154, v161, v51 op_sel_hi:[1,0,1]
	v_pk_fma_f16 v52, v166, v170, v41 op_sel_hi:[1,0,1]
	v_pk_fma_f16 v53, v166, v170, v43 op_sel:[0,1,0]
	v_pk_fma_f16 v54, v166, v171, v36 op_sel_hi:[1,0,1]
	v_pk_fma_f16 v55, v166, v171, v37 op_sel:[0,1,0]
	v_pk_fma_f16 v56, v166, v173, v38 op_sel:[0,1,0]
	v_pk_fma_f16 v57, v167, v170, v40 op_sel_hi:[1,0,1]
	v_pk_fma_f16 v58, v167, v170, v42 op_sel:[0,1,0]
	v_pk_fma_f16 v59, v167, v173, v39 op_sel:[0,1,0]
	s_waitcnt vmcnt(1)
	ds_store_b128 v26, v[178:181]
	s_waitcnt vmcnt(0)
	ds_store_b128 v27, v[182:185]
	s_waitcnt lgkmcnt(0)
	s_barrier
	buffer_gl0_inv
	ds_load_2addr_b64 v[36:39], v29 offset1:32
	ds_load_b128 v[40:43], v23 offset:512
	v_pk_fma_f16 v44, v155, v159, v44 op_sel_hi:[1,0,1]
	v_pk_fma_f16 v45, v155, v159, v45 op_sel:[0,1,0]
	v_pk_fma_f16 v48, v155, v160, v48 op_sel_hi:[1,0,1]
	v_pk_fma_f16 v46, v155, v160, v46 op_sel:[0,1,0]
	v_pk_fma_f16 v49, v155, v161, v49 op_sel_hi:[1,0,1]
	v_pk_fma_f16 v47, v156, v164, v47 op_sel_hi:[1,0,1]
	v_pk_fma_f16 v50, v156, v164, v50 op_sel:[0,1,0]
	v_pk_fma_f16 v51, v156, v165, v51 op_sel_hi:[1,0,1]
	v_pk_fma_f16 v44, v157, v163, v44 op_sel_hi:[1,0,1]
	v_pk_fma_f16 v45, v157, v163, v45 op_sel:[0,1,0]
	v_pk_fma_f16 v48, v157, v164, v48 op_sel_hi:[1,0,1]
	v_pk_fma_f16 v46, v157, v164, v46 op_sel:[0,1,0]
	v_pk_fma_f16 v49, v157, v165, v49 op_sel_hi:[1,0,1]
	v_pk_fma_f16 v47, v166, v172, v47 op_sel_hi:[1,0,1]
	v_pk_fma_f16 v50, v166, v172, v50 op_sel:[0,1,0]
	v_pk_fma_f16 v51, v166, v173, v51 op_sel_hi:[1,0,1]
	;; [unrolled: 8-line block ×3, first 2 shown]
	v_pk_fma_f16 v76, v168, v175, v55 op_sel:[0,1,0]
	v_pk_fma_f16 v77, v168, v176, v47 op_sel_hi:[1,0,1]
	v_pk_fma_f16 v78, v168, v176, v50 op_sel:[0,1,0]
	v_pk_fma_f16 v79, v168, v177, v51 op_sel_hi:[1,0,1]
	;; [unrolled: 2-line block ×6, first 2 shown]
	ds_load_b128 v[44:47], v23 offset:528
	ds_load_b128 v[48:51], v23 offset:544
	;; [unrolled: 1-line block ×3, first 2 shown]
	v_pk_fma_f16 v85, v169, v177, v59 op_sel:[0,1,0]
	s_waitcnt lgkmcnt(3)
	v_pk_fma_f16 v60, v36, v40, v60 op_sel_hi:[1,0,1]
	v_pk_fma_f16 v74, v36, v40, v74 op_sel:[0,1,0]
	v_pk_fma_f16 v75, v36, v41, v75 op_sel_hi:[1,0,1]
	v_pk_fma_f16 v76, v36, v41, v76 op_sel:[0,1,0]
	;; [unrolled: 2-line block ×5, first 2 shown]
	ds_load_2addr_b64 v[56:59], v29 offset0:64 offset1:96
	v_pk_fma_f16 v80, v37, v41, v80 op_sel_hi:[1,0,1]
	v_pk_fma_f16 v41, v37, v41, v81 op_sel:[0,1,0]
	v_pk_fma_f16 v81, v37, v42, v82 op_sel_hi:[1,0,1]
	v_pk_fma_f16 v42, v37, v42, v83 op_sel:[0,1,0]
	v_pk_fma_f16 v82, v37, v43, v84 op_sel_hi:[1,0,1]
	v_pk_fma_f16 v37, v37, v43, v85 op_sel:[0,1,0]
	s_waitcnt lgkmcnt(3)
	v_pk_fma_f16 v43, v38, v44, v60 op_sel_hi:[1,0,1]
	v_pk_fma_f16 v60, v38, v44, v74 op_sel:[0,1,0]
	v_pk_fma_f16 v74, v38, v45, v75 op_sel_hi:[1,0,1]
	v_pk_fma_f16 v75, v38, v45, v76 op_sel:[0,1,0]
	;; [unrolled: 2-line block ×8, first 2 shown]
	s_waitcnt lgkmcnt(0)
	v_pk_fma_f16 v79, v56, v48, v43 op_sel_hi:[1,0,1]
	v_pk_fma_f16 v60, v56, v48, v60 op_sel:[0,1,0]
	v_pk_fma_f16 v74, v56, v49, v74 op_sel_hi:[1,0,1]
	v_pk_fma_f16 v75, v56, v49, v75 op_sel:[0,1,0]
	;; [unrolled: 2-line block ×7, first 2 shown]
	ds_load_2addr_b64 v[36:39], v29 offset0:128 offset1:160
	ds_load_b128 v[40:43], v23 offset:576
	v_pk_fma_f16 v46, v57, v51, v46 op_sel_hi:[1,0,1]
	v_pk_fma_f16 v51, v57, v51, v47 op_sel:[0,1,0]
	v_pk_fma_f16 v57, v58, v52, v79 op_sel_hi:[1,0,1]
	v_pk_fma_f16 v60, v58, v52, v60 op_sel:[0,1,0]
	;; [unrolled: 2-line block ×7, first 2 shown]
	v_pk_fma_f16 v53, v59, v54, v45 op_sel_hi:[1,0,1]
	v_pk_fma_f16 v79, v59, v55, v46 op_sel_hi:[1,0,1]
	ds_load_b128 v[44:47], v23 offset:592
	v_pk_fma_f16 v50, v59, v54, v50 op_sel:[0,1,0]
	v_pk_fma_f16 v59, v59, v55, v51 op_sel:[0,1,0]
	s_waitcnt lgkmcnt(1)
	v_pk_fma_f16 v57, v36, v40, v57 op_sel_hi:[1,0,1]
	v_pk_fma_f16 v60, v36, v40, v60 op_sel:[0,1,0]
	v_pk_fma_f16 v74, v36, v41, v74 op_sel_hi:[1,0,1]
	v_pk_fma_f16 v75, v36, v41, v75 op_sel:[0,1,0]
	;; [unrolled: 2-line block ×7, first 2 shown]
	ds_load_2addr_b64 v[48:51], v29 offset0:192 offset1:224
	ds_load_b128 v[52:55], v23 offset:608
	v_pk_fma_f16 v79, v37, v43, v79 op_sel_hi:[1,0,1]
	v_pk_fma_f16 v37, v37, v43, v59 op_sel:[0,1,0]
	s_waitcnt lgkmcnt(2)
	v_pk_fma_f16 v57, v38, v44, v57 op_sel_hi:[1,0,1]
	v_pk_fma_f16 v59, v38, v44, v60 op_sel:[0,1,0]
	v_pk_fma_f16 v60, v38, v45, v74 op_sel_hi:[1,0,1]
	v_pk_fma_f16 v74, v38, v45, v75 op_sel:[0,1,0]
	;; [unrolled: 2-line block ×7, first 2 shown]
	ds_load_b128 v[40:43], v23 offset:624
	v_pk_fma_f16 v78, v39, v47, v79 op_sel_hi:[1,0,1]
	v_pk_fma_f16 v79, v39, v47, v37 op_sel:[0,1,0]
	s_waitcnt lgkmcnt(1)
	v_pk_fma_f16 v57, v48, v52, v57 op_sel_hi:[1,0,1]
	v_pk_fma_f16 v59, v48, v52, v59 op_sel:[0,1,0]
	v_pk_fma_f16 v60, v48, v53, v60 op_sel_hi:[1,0,1]
	v_pk_fma_f16 v74, v48, v53, v74 op_sel:[0,1,0]
	;; [unrolled: 2-line block ×7, first 2 shown]
	ds_load_2addr_b64 v[36:39], v35 offset1:32
	ds_load_b128 v[44:47], v23 offset:640
	v_pk_fma_f16 v78, v49, v55, v78 op_sel_hi:[1,0,1]
	v_pk_fma_f16 v49, v49, v55, v79 op_sel:[0,1,0]
	s_waitcnt lgkmcnt(2)
	v_pk_fma_f16 v57, v50, v40, v57 op_sel_hi:[1,0,1]
	v_pk_fma_f16 v59, v50, v40, v59 op_sel:[0,1,0]
	v_pk_fma_f16 v60, v50, v41, v60 op_sel_hi:[1,0,1]
	v_pk_fma_f16 v74, v50, v41, v74 op_sel:[0,1,0]
	v_pk_fma_f16 v75, v50, v42, v75 op_sel_hi:[1,0,1]
	v_pk_fma_f16 v76, v50, v42, v76 op_sel:[0,1,0]
	v_pk_fma_f16 v77, v50, v43, v77 op_sel_hi:[1,0,1]
	v_pk_fma_f16 v48, v50, v43, v48 op_sel:[0,1,0]
	v_pk_fma_f16 v50, v51, v40, v80 op_sel_hi:[1,0,1]
	v_pk_fma_f16 v40, v51, v40, v52 op_sel:[0,1,0]
	v_pk_fma_f16 v56, v51, v41, v56 op_sel_hi:[1,0,1]
	v_pk_fma_f16 v41, v51, v41, v53 op_sel:[0,1,0]
	v_pk_fma_f16 v58, v51, v42, v58 op_sel_hi:[1,0,1]
	v_pk_fma_f16 v42, v51, v42, v54 op_sel:[0,1,0]
	ds_load_b128 v[52:55], v23 offset:656
	v_pk_fma_f16 v78, v51, v43, v78 op_sel_hi:[1,0,1]
	v_pk_fma_f16 v79, v51, v43, v49 op_sel:[0,1,0]
	s_waitcnt lgkmcnt(1)
	v_pk_fma_f16 v57, v36, v44, v57 op_sel_hi:[1,0,1]
	v_pk_fma_f16 v59, v36, v44, v59 op_sel:[0,1,0]
	v_pk_fma_f16 v60, v36, v45, v60 op_sel_hi:[1,0,1]
	v_pk_fma_f16 v74, v36, v45, v74 op_sel:[0,1,0]
	v_pk_fma_f16 v75, v36, v46, v75 op_sel_hi:[1,0,1]
	v_pk_fma_f16 v76, v36, v46, v76 op_sel:[0,1,0]
	v_pk_fma_f16 v77, v36, v47, v77 op_sel_hi:[1,0,1]
	v_pk_fma_f16 v36, v36, v47, v48 op_sel:[0,1,0]
	v_pk_fma_f16 v80, v37, v44, v50 op_sel_hi:[1,0,1]
	v_pk_fma_f16 v44, v37, v44, v40 op_sel:[0,1,0]
	v_pk_fma_f16 v56, v37, v45, v56 op_sel_hi:[1,0,1]
	v_pk_fma_f16 v45, v37, v45, v41 op_sel:[0,1,0]
	v_pk_fma_f16 v58, v37, v46, v58 op_sel_hi:[1,0,1]
	v_pk_fma_f16 v46, v37, v46, v42 op_sel:[0,1,0]
	ds_load_2addr_b64 v[40:43], v35 offset0:64 offset1:96
	ds_load_b128 v[48:51], v23 offset:672
	v_pk_fma_f16 v78, v37, v47, v78 op_sel_hi:[1,0,1]
	v_pk_fma_f16 v37, v37, v47, v79 op_sel:[0,1,0]
	s_waitcnt lgkmcnt(2)
	v_pk_fma_f16 v57, v38, v52, v57 op_sel_hi:[1,0,1]
	v_pk_fma_f16 v59, v38, v52, v59 op_sel:[0,1,0]
	v_pk_fma_f16 v60, v38, v53, v60 op_sel_hi:[1,0,1]
	v_pk_fma_f16 v74, v38, v53, v74 op_sel:[0,1,0]
	v_pk_fma_f16 v75, v38, v54, v75 op_sel_hi:[1,0,1]
	v_pk_fma_f16 v76, v38, v54, v76 op_sel:[0,1,0]
	v_pk_fma_f16 v77, v38, v55, v77 op_sel_hi:[1,0,1]
	v_pk_fma_f16 v36, v38, v55, v36 op_sel:[0,1,0]
	v_pk_fma_f16 v38, v39, v52, v80 op_sel_hi:[1,0,1]
	v_pk_fma_f16 v52, v39, v52, v44 op_sel:[0,1,0]
	v_pk_fma_f16 v56, v39, v53, v56 op_sel_hi:[1,0,1]
	v_pk_fma_f16 v53, v39, v53, v45 op_sel:[0,1,0]
	v_pk_fma_f16 v58, v39, v54, v58 op_sel_hi:[1,0,1]
	v_pk_fma_f16 v54, v39, v54, v46 op_sel:[0,1,0]
	ds_load_b128 v[44:47], v23 offset:688
	v_pk_fma_f16 v78, v39, v55, v78 op_sel_hi:[1,0,1]
	v_pk_fma_f16 v79, v39, v55, v37 op_sel:[0,1,0]
	s_waitcnt lgkmcnt(1)
	v_pk_fma_f16 v57, v40, v48, v57 op_sel_hi:[1,0,1]
	v_pk_fma_f16 v59, v40, v48, v59 op_sel:[0,1,0]
	v_pk_fma_f16 v60, v40, v49, v60 op_sel_hi:[1,0,1]
	v_pk_fma_f16 v74, v40, v49, v74 op_sel:[0,1,0]
	v_pk_fma_f16 v75, v40, v50, v75 op_sel_hi:[1,0,1]
	v_pk_fma_f16 v76, v40, v50, v76 op_sel:[0,1,0]
	v_pk_fma_f16 v77, v40, v51, v77 op_sel_hi:[1,0,1]
	v_pk_fma_f16 v40, v40, v51, v36 op_sel:[0,1,0]
	v_pk_fma_f16 v80, v41, v48, v38 op_sel_hi:[1,0,1]
	v_pk_fma_f16 v48, v41, v48, v52 op_sel:[0,1,0]
	v_pk_fma_f16 v56, v41, v49, v56 op_sel_hi:[1,0,1]
	v_pk_fma_f16 v49, v41, v49, v53 op_sel:[0,1,0]
	v_pk_fma_f16 v58, v41, v50, v58 op_sel_hi:[1,0,1]
	v_pk_fma_f16 v50, v41, v50, v54 op_sel:[0,1,0]
	ds_load_2addr_b64 v[36:39], v35 offset0:128 offset1:160
	;; [unrolled: 37-line block ×3, first 2 shown]
	ds_load_b128 v[44:47], v23 offset:736
	v_pk_fma_f16 v35, v37, v55, v78 op_sel_hi:[1,0,1]
	v_pk_fma_f16 v55, v37, v55, v79 op_sel:[0,1,0]
	s_waitcnt lgkmcnt(2)
	v_pk_fma_f16 v57, v38, v48, v57 op_sel_hi:[1,0,1]
	v_pk_fma_f16 v59, v38, v48, v59 op_sel:[0,1,0]
	v_pk_fma_f16 v60, v38, v49, v60 op_sel_hi:[1,0,1]
	v_pk_fma_f16 v74, v38, v49, v74 op_sel:[0,1,0]
	;; [unrolled: 2-line block ×5, first 2 shown]
	v_pk_fma_f16 v52, v39, v49, v56 op_sel_hi:[1,0,1]
	v_pk_fma_f16 v56, v39, v51, v35 op_sel_hi:[1,0,1]
	ds_load_b128 v[35:38], v23 offset:752
	v_pk_fma_f16 v49, v39, v49, v53 op_sel:[0,1,0]
	v_pk_fma_f16 v53, v39, v50, v58 op_sel_hi:[1,0,1]
	v_pk_fma_f16 v50, v39, v50, v54 op_sel:[0,1,0]
	v_pk_fma_f16 v39, v39, v51, v55 op_sel:[0,1,0]
	s_waitcnt lgkmcnt(1)
	v_pk_fma_f16 v57, v40, v44, v57 op_sel_hi:[1,0,1]
	v_pk_fma_f16 v58, v40, v44, v59 op_sel:[0,1,0]
	v_pk_fma_f16 v59, v40, v45, v60 op_sel_hi:[1,0,1]
	v_pk_fma_f16 v60, v40, v45, v74 op_sel:[0,1,0]
	;; [unrolled: 2-line block ×7, first 2 shown]
	ds_load_2addr_b64 v[48:51], v34 offset1:32
	ds_load_b128 v[52:55], v23 offset:768
	v_pk_fma_f16 v56, v41, v47, v56 op_sel_hi:[1,0,1]
	v_pk_fma_f16 v47, v41, v47, v39 op_sel:[0,1,0]
	s_waitcnt lgkmcnt(2)
	v_pk_fma_f16 v57, v42, v35, v57 op_sel_hi:[1,0,1]
	v_pk_fma_f16 v58, v42, v35, v58 op_sel:[0,1,0]
	v_pk_fma_f16 v59, v42, v36, v59 op_sel_hi:[1,0,1]
	v_pk_fma_f16 v60, v42, v36, v60 op_sel:[0,1,0]
	;; [unrolled: 2-line block ×4, first 2 shown]
	ds_load_b128 v[39:42], v23 offset:784
	v_pk_fma_f16 v77, v43, v35, v77 op_sel_hi:[1,0,1]
	v_pk_fma_f16 v35, v43, v35, v44 op_sel:[0,1,0]
	v_pk_fma_f16 v44, v43, v36, v78 op_sel_hi:[1,0,1]
	v_pk_fma_f16 v36, v43, v36, v45 op_sel:[0,1,0]
	;; [unrolled: 2-line block ×4, first 2 shown]
	s_waitcnt lgkmcnt(1)
	v_pk_fma_f16 v57, v48, v52, v57 op_sel_hi:[1,0,1]
	v_pk_fma_f16 v58, v48, v52, v58 op_sel:[0,1,0]
	v_pk_fma_f16 v59, v48, v53, v59 op_sel_hi:[1,0,1]
	v_pk_fma_f16 v60, v48, v53, v60 op_sel:[0,1,0]
	;; [unrolled: 2-line block ×7, first 2 shown]
	ds_load_2addr_b64 v[35:38], v34 offset0:64 offset1:96
	ds_load_b128 v[43:46], v23 offset:800
	v_pk_fma_f16 v56, v49, v55, v56 op_sel_hi:[1,0,1]
	v_pk_fma_f16 v55, v49, v55, v47 op_sel:[0,1,0]
	s_waitcnt lgkmcnt(2)
	v_pk_fma_f16 v57, v50, v39, v57 op_sel_hi:[1,0,1]
	v_pk_fma_f16 v58, v50, v39, v58 op_sel:[0,1,0]
	v_pk_fma_f16 v59, v50, v40, v59 op_sel_hi:[1,0,1]
	v_pk_fma_f16 v60, v50, v40, v60 op_sel:[0,1,0]
	;; [unrolled: 2-line block ×4, first 2 shown]
	ds_load_b128 v[47:50], v23 offset:816
	v_pk_fma_f16 v77, v51, v39, v77 op_sel_hi:[1,0,1]
	v_pk_fma_f16 v39, v51, v39, v52 op_sel:[0,1,0]
	v_pk_fma_f16 v52, v51, v40, v78 op_sel_hi:[1,0,1]
	v_pk_fma_f16 v40, v51, v40, v53 op_sel:[0,1,0]
	;; [unrolled: 2-line block ×4, first 2 shown]
	s_waitcnt lgkmcnt(1)
	v_pk_fma_f16 v57, v35, v43, v57 op_sel_hi:[1,0,1]
	v_pk_fma_f16 v58, v35, v43, v58 op_sel:[0,1,0]
	v_pk_fma_f16 v59, v35, v44, v59 op_sel_hi:[1,0,1]
	v_pk_fma_f16 v60, v35, v44, v60 op_sel:[0,1,0]
	;; [unrolled: 2-line block ×7, first 2 shown]
	ds_load_2addr_b64 v[39:42], v34 offset0:128 offset1:160
	ds_load_b128 v[51:54], v23 offset:832
	v_pk_fma_f16 v56, v36, v46, v56 op_sel_hi:[1,0,1]
	v_pk_fma_f16 v36, v36, v46, v55 op_sel:[0,1,0]
	s_waitcnt lgkmcnt(2)
	v_pk_fma_f16 v55, v37, v47, v57 op_sel_hi:[1,0,1]
	v_pk_fma_f16 v57, v37, v47, v58 op_sel:[0,1,0]
	v_pk_fma_f16 v58, v37, v48, v59 op_sel_hi:[1,0,1]
	v_pk_fma_f16 v59, v37, v48, v60 op_sel:[0,1,0]
	;; [unrolled: 2-line block ×7, first 2 shown]
	ds_load_b128 v[43:46], v23 offset:848
	v_pk_fma_f16 v56, v38, v50, v56 op_sel_hi:[1,0,1]
	v_pk_fma_f16 v38, v38, v50, v36 op_sel:[0,1,0]
	s_waitcnt lgkmcnt(1)
	v_pk_fma_f16 v55, v39, v51, v55 op_sel_hi:[1,0,1]
	v_pk_fma_f16 v57, v39, v51, v57 op_sel:[0,1,0]
	v_pk_fma_f16 v58, v39, v52, v58 op_sel_hi:[1,0,1]
	v_pk_fma_f16 v59, v39, v52, v59 op_sel:[0,1,0]
	;; [unrolled: 2-line block ×7, first 2 shown]
	ds_load_2addr_b64 v[34:37], v34 offset0:192 offset1:224
	ds_load_b128 v[47:50], v23 offset:864
	v_pk_fma_f16 v56, v40, v54, v56 op_sel_hi:[1,0,1]
	v_pk_fma_f16 v54, v40, v54, v38 op_sel:[0,1,0]
	s_waitcnt lgkmcnt(2)
	v_pk_fma_f16 v55, v41, v43, v55 op_sel_hi:[1,0,1]
	v_pk_fma_f16 v57, v41, v43, v57 op_sel:[0,1,0]
	v_pk_fma_f16 v58, v41, v44, v58 op_sel_hi:[1,0,1]
	v_pk_fma_f16 v59, v41, v44, v59 op_sel:[0,1,0]
	;; [unrolled: 2-line block ×4, first 2 shown]
	ds_load_b128 v[38:41], v23 offset:880
	v_pk_fma_f16 v78, v42, v43, v78 op_sel_hi:[1,0,1]
	v_pk_fma_f16 v43, v42, v43, v51 op_sel:[0,1,0]
	v_pk_fma_f16 v51, v42, v44, v76 op_sel_hi:[1,0,1]
	v_pk_fma_f16 v44, v42, v44, v52 op_sel:[0,1,0]
	;; [unrolled: 2-line block ×4, first 2 shown]
	s_waitcnt lgkmcnt(1)
	v_pk_fma_f16 v55, v34, v47, v55 op_sel_hi:[1,0,1]
	v_pk_fma_f16 v56, v34, v47, v57 op_sel:[0,1,0]
	v_pk_fma_f16 v57, v34, v48, v58 op_sel_hi:[1,0,1]
	v_pk_fma_f16 v58, v34, v48, v59 op_sel:[0,1,0]
	;; [unrolled: 2-line block ×7, first 2 shown]
	ds_load_2addr_b64 v[42:45], v33 offset1:32
	ds_load_b128 v[46:49], v23 offset:896
	v_pk_fma_f16 v53, v35, v50, v53 op_sel_hi:[1,0,1]
	v_pk_fma_f16 v35, v35, v50, v54 op_sel:[0,1,0]
	s_waitcnt lgkmcnt(2)
	v_pk_fma_f16 v54, v36, v38, v55 op_sel_hi:[1,0,1]
	v_pk_fma_f16 v55, v36, v38, v56 op_sel:[0,1,0]
	v_pk_fma_f16 v56, v36, v39, v57 op_sel_hi:[1,0,1]
	v_pk_fma_f16 v57, v36, v39, v58 op_sel:[0,1,0]
	v_pk_fma_f16 v58, v36, v40, v59 op_sel_hi:[1,0,1]
	v_pk_fma_f16 v59, v36, v40, v60 op_sel:[0,1,0]
	v_pk_fma_f16 v60, v36, v41, v74 op_sel_hi:[1,0,1]
	v_pk_fma_f16 v34, v36, v41, v34 op_sel:[0,1,0]
	v_pk_fma_f16 v36, v37, v38, v75 op_sel_hi:[1,0,1]
	v_pk_fma_f16 v38, v37, v38, v76 op_sel:[0,1,0]
	v_pk_fma_f16 v74, v37, v39, v51 op_sel_hi:[1,0,1]
	v_pk_fma_f16 v75, v37, v40, v52 op_sel_hi:[1,0,1]
	;; [unrolled: 1-line block ×3, first 2 shown]
	ds_load_b128 v[50:53], v23 offset:912
	v_pk_fma_f16 v39, v37, v39, v77 op_sel:[0,1,0]
	v_pk_fma_f16 v40, v37, v40, v78 op_sel:[0,1,0]
	;; [unrolled: 1-line block ×3, first 2 shown]
	s_waitcnt lgkmcnt(1)
	v_pk_fma_f16 v54, v42, v46, v54 op_sel_hi:[1,0,1]
	v_pk_fma_f16 v55, v42, v46, v55 op_sel:[0,1,0]
	v_pk_fma_f16 v56, v42, v47, v56 op_sel_hi:[1,0,1]
	v_pk_fma_f16 v57, v42, v47, v57 op_sel:[0,1,0]
	;; [unrolled: 2-line block ×7, first 2 shown]
	ds_load_2addr_b64 v[34:37], v33 offset0:64 offset1:96
	ds_load_b128 v[38:41], v23 offset:928
	v_pk_fma_f16 v76, v43, v49, v76 op_sel_hi:[1,0,1]
	v_pk_fma_f16 v43, v43, v49, v77 op_sel:[0,1,0]
	s_waitcnt lgkmcnt(2)
	v_pk_fma_f16 v54, v44, v50, v54 op_sel_hi:[1,0,1]
	v_pk_fma_f16 v55, v44, v50, v55 op_sel:[0,1,0]
	v_pk_fma_f16 v56, v44, v51, v56 op_sel_hi:[1,0,1]
	v_pk_fma_f16 v57, v44, v51, v57 op_sel:[0,1,0]
	v_pk_fma_f16 v58, v44, v52, v58 op_sel_hi:[1,0,1]
	v_pk_fma_f16 v59, v44, v52, v59 op_sel:[0,1,0]
	v_pk_fma_f16 v60, v44, v53, v60 op_sel_hi:[1,0,1]
	v_pk_fma_f16 v42, v44, v53, v42 op_sel:[0,1,0]
	v_pk_fma_f16 v44, v45, v50, v78 op_sel_hi:[1,0,1]
	v_pk_fma_f16 v50, v45, v50, v46 op_sel:[0,1,0]
	v_pk_fma_f16 v74, v45, v51, v74 op_sel_hi:[1,0,1]
	v_pk_fma_f16 v51, v45, v51, v47 op_sel:[0,1,0]
	v_pk_fma_f16 v75, v45, v52, v75 op_sel_hi:[1,0,1]
	v_pk_fma_f16 v52, v45, v52, v48 op_sel:[0,1,0]
	ds_load_b128 v[46:49], v23 offset:944
	v_pk_fma_f16 v76, v45, v53, v76 op_sel_hi:[1,0,1]
	v_pk_fma_f16 v77, v45, v53, v43 op_sel:[0,1,0]
	s_waitcnt lgkmcnt(1)
	v_pk_fma_f16 v54, v34, v38, v54 op_sel_hi:[1,0,1]
	v_pk_fma_f16 v55, v34, v38, v55 op_sel:[0,1,0]
	v_pk_fma_f16 v56, v34, v39, v56 op_sel_hi:[1,0,1]
	v_pk_fma_f16 v57, v34, v39, v57 op_sel:[0,1,0]
	v_pk_fma_f16 v58, v34, v40, v58 op_sel_hi:[1,0,1]
	v_pk_fma_f16 v59, v34, v40, v59 op_sel:[0,1,0]
	v_pk_fma_f16 v60, v34, v41, v60 op_sel_hi:[1,0,1]
	v_pk_fma_f16 v34, v34, v41, v42 op_sel:[0,1,0]
	v_pk_fma_f16 v78, v35, v38, v44 op_sel_hi:[1,0,1]
	v_pk_fma_f16 v38, v35, v38, v50 op_sel:[0,1,0]
	v_pk_fma_f16 v74, v35, v39, v74 op_sel_hi:[1,0,1]
	v_pk_fma_f16 v39, v35, v39, v51 op_sel:[0,1,0]
	v_pk_fma_f16 v75, v35, v40, v75 op_sel_hi:[1,0,1]
	v_pk_fma_f16 v40, v35, v40, v52 op_sel:[0,1,0]
	ds_load_2addr_b64 v[42:45], v33 offset0:128 offset1:160
	ds_load_b128 v[50:53], v23 offset:960
	v_pk_fma_f16 v76, v35, v41, v76 op_sel_hi:[1,0,1]
	v_pk_fma_f16 v35, v35, v41, v77 op_sel:[0,1,0]
	s_waitcnt lgkmcnt(2)
	v_pk_fma_f16 v54, v36, v46, v54 op_sel_hi:[1,0,1]
	v_pk_fma_f16 v55, v36, v46, v55 op_sel:[0,1,0]
	v_pk_fma_f16 v56, v36, v47, v56 op_sel_hi:[1,0,1]
	v_pk_fma_f16 v57, v36, v47, v57 op_sel:[0,1,0]
	;; [unrolled: 2-line block ×7, first 2 shown]
	ds_load_b128 v[38:41], v23 offset:976
	v_pk_fma_f16 v76, v37, v49, v76 op_sel_hi:[1,0,1]
	v_pk_fma_f16 v37, v37, v49, v35 op_sel:[0,1,0]
	s_waitcnt lgkmcnt(1)
	v_pk_fma_f16 v54, v42, v50, v54 op_sel_hi:[1,0,1]
	v_pk_fma_f16 v55, v42, v50, v55 op_sel:[0,1,0]
	v_pk_fma_f16 v56, v42, v51, v56 op_sel_hi:[1,0,1]
	v_pk_fma_f16 v57, v42, v51, v57 op_sel:[0,1,0]
	v_pk_fma_f16 v58, v42, v52, v58 op_sel_hi:[1,0,1]
	v_pk_fma_f16 v59, v42, v52, v59 op_sel:[0,1,0]
	v_pk_fma_f16 v60, v42, v53, v60 op_sel_hi:[1,0,1]
	v_pk_fma_f16 v42, v42, v53, v34 op_sel:[0,1,0]
	v_pk_fma_f16 v77, v43, v50, v36 op_sel_hi:[1,0,1]
	v_pk_fma_f16 v50, v43, v50, v46 op_sel:[0,1,0]
	v_pk_fma_f16 v74, v43, v51, v74 op_sel_hi:[1,0,1]
	v_pk_fma_f16 v51, v43, v51, v47 op_sel:[0,1,0]
	v_pk_fma_f16 v75, v43, v52, v75 op_sel_hi:[1,0,1]
	v_pk_fma_f16 v52, v43, v52, v48 op_sel:[0,1,0]
	ds_load_2addr_b64 v[46:49], v33 offset0:192 offset1:224
	ds_load_b128 v[33:36], v23 offset:992
	v_pk_fma_f16 v76, v43, v53, v76 op_sel_hi:[1,0,1]
	v_pk_fma_f16 v37, v43, v53, v37 op_sel:[0,1,0]
	s_waitcnt lgkmcnt(2)
	v_pk_fma_f16 v43, v44, v38, v54 op_sel_hi:[1,0,1]
	v_pk_fma_f16 v54, v44, v38, v55 op_sel:[0,1,0]
	v_pk_fma_f16 v55, v44, v39, v56 op_sel_hi:[1,0,1]
	v_pk_fma_f16 v56, v44, v39, v57 op_sel:[0,1,0]
	;; [unrolled: 2-line block ×7, first 2 shown]
	ds_load_b128 v[50:53], v23 offset:1008
	s_waitcnt lgkmcnt(0)
	s_barrier
	buffer_gl0_inv
	s_load_b32 s18, s[4:5], 0x4
	v_pk_fma_f16 v75, v45, v41, v76 op_sel_hi:[1,0,1]
	v_pk_fma_f16 v37, v45, v41, v37 op_sel:[0,1,0]
	v_pk_fma_f16 v41, v46, v33, v43 op_sel_hi:[1,0,1]
	v_pk_fma_f16 v43, v46, v33, v54 op_sel:[0,1,0]
	;; [unrolled: 2-line block ×9, first 2 shown]
	v_pk_fma_f16 v47, v48, v50, v41 op_sel_hi:[1,0,1]
	s_waitcnt lgkmcnt(0)
	s_lshl_b32 s18, s18, 6
	v_pk_fma_f16 v45, v48, v50, v43 op_sel:[0,1,0]
	v_pk_fma_f16 v43, v48, v51, v54 op_sel_hi:[1,0,1]
	v_pk_fma_f16 v41, v48, v51, v55 op_sel:[0,1,0]
	v_pk_fma_f16 v39, v48, v52, v56 op_sel_hi:[1,0,1]
	;; [unrolled: 2-line block ×7, first 2 shown]
	v_pk_fma_f16 v33, v49, v53, v76 op_sel:[0,1,0]
	s_add_i32 s3, s18, s3
	s_delay_alu instid0(SALU_CYCLE_1)
	s_cmp_ge_i32 s3, s34
	s_cbranch_scc1 .LBB71_75
; %bb.74:                               ;   in Loop: Header=BB71_9 Depth=1
	v_dual_mov_b32 v59, v0 :: v_dual_mov_b32 v60, v1
	v_dual_mov_b32 v57, v2 :: v_dual_mov_b32 v56, v3
	;; [unrolled: 1-line block ×8, first 2 shown]
	s_branch .LBB71_9
.LBB71_75:
	v_mov_b32_e32 v8, v19
.LBB71_76:
	v_cmp_lt_i32_e32 vcc_lo, v70, v18
	s_cmp_lg_u64 s[24:25], 0
	s_cselect_b32 s3, -1, 0
	s_cmp_eq_u32 s14, 0
	v_cndmask_b32_e32 v9, v8, v70, vcc_lo
	v_cmp_lt_i32_e32 vcc_lo, v68, v18
	s_cselect_b32 s4, -1, 0
	s_delay_alu instid0(SALU_CYCLE_1) | instskip(NEXT) | instid1(VALU_DEP_2)
	s_and_b32 s3, s4, s3
	v_lshlrev_b32_e32 v9, 2, v9
	ds_bpermute_b32 v10, v9, v61
	s_waitcnt lgkmcnt(0)
	v_add_f32_e32 v10, v61, v10
	ds_bpermute_b32 v14, v9, v69
	ds_bpermute_b32 v12, v9, v63
	ds_bpermute_b32 v16, v9, v73
	v_cndmask_b32_e32 v17, v8, v68, vcc_lo
	ds_bpermute_b32 v11, v9, v62
	ds_bpermute_b32 v13, v9, v64
	;; [unrolled: 1-line block ×4, first 2 shown]
	v_cmp_lt_i32_e32 vcc_lo, v67, v18
	s_waitcnt lgkmcnt(6)
	v_dual_add_f32 v14, v69, v14 :: v_dual_lshlrev_b32 v17, 2, v17
	s_waitcnt lgkmcnt(4)
	v_add_f32_e32 v16, v73, v16
	v_add_f32_e32 v12, v63, v12
	ds_bpermute_b32 v19, v17, v10
	ds_bpermute_b32 v23, v17, v14
	;; [unrolled: 1-line block ×3, first 2 shown]
	s_waitcnt lgkmcnt(6)
	v_add_f32_e32 v11, v62, v11
	s_waitcnt lgkmcnt(5)
	v_add_f32_e32 v13, v64, v13
	;; [unrolled: 2-line block ×3, first 2 shown]
	ds_bpermute_b32 v27, v17, v16
	s_waitcnt lgkmcnt(3)
	v_add_f32_e32 v10, v10, v19
	s_waitcnt lgkmcnt(2)
	v_add_f32_e32 v14, v14, v23
	v_add_f32_e32 v15, v71, v15
	ds_bpermute_b32 v22, v17, v13
	s_waitcnt lgkmcnt(2)
	v_add_f32_e32 v12, v12, v21
	ds_bpermute_b32 v20, v17, v11
	v_cndmask_b32_e32 v29, v8, v67, vcc_lo
	ds_bpermute_b32 v26, v17, v15
	ds_bpermute_b32 v17, v17, v9
	s_waitcnt lgkmcnt(4)
	v_add_f32_e32 v16, v16, v27
	v_cmp_lt_i32_e32 vcc_lo, v66, v18
	v_lshlrev_b32_e32 v29, 2, v29
	s_waitcnt lgkmcnt(0)
	v_add_f32_e32 v9, v9, v17
	ds_bpermute_b32 v17, v29, v10
	ds_bpermute_b32 v27, v29, v9
	s_waitcnt lgkmcnt(1)
	v_dual_add_f32 v10, v10, v17 :: v_dual_add_f32 v15, v15, v26
	ds_bpermute_b32 v26, v29, v16
	v_add_f32_e32 v11, v11, v20
	ds_bpermute_b32 v20, v29, v12
	v_add_f32_e32 v13, v13, v22
	ds_bpermute_b32 v22, v29, v14
	ds_bpermute_b32 v23, v29, v15
	s_waitcnt lgkmcnt(3)
	v_add_f32_e32 v16, v16, v26
	ds_bpermute_b32 v19, v29, v11
	s_waitcnt lgkmcnt(3)
	v_add_f32_e32 v12, v12, v20
	ds_bpermute_b32 v21, v29, v13
	v_cndmask_b32_e32 v29, v8, v66, vcc_lo
	s_waitcnt lgkmcnt(3)
	v_add_f32_e32 v14, v14, v22
	v_cmp_lt_i32_e32 vcc_lo, v65, v18
	s_delay_alu instid0(VALU_DEP_3)
	v_lshlrev_b32_e32 v29, 2, v29
	v_cndmask_b32_e32 v8, v8, v65, vcc_lo
	s_and_b32 vcc_lo, exec_lo, s3
	ds_bpermute_b32 v20, v29, v12
	v_lshlrev_b32_e32 v8, 2, v8
	s_waitcnt lgkmcnt(0)
	v_add_f32_e32 v12, v12, v20
	ds_bpermute_b32 v22, v29, v14
	ds_bpermute_b32 v26, v29, v16
	v_add_f32_e32 v11, v11, v19
	v_add_f32_e32 v13, v13, v21
	ds_bpermute_b32 v17, v29, v10
	s_waitcnt lgkmcnt(2)
	v_add_f32_e32 v14, v14, v22
	s_waitcnt lgkmcnt(1)
	v_add_f32_e32 v16, v16, v26
	ds_bpermute_b32 v19, v29, v11
	ds_bpermute_b32 v21, v29, v13
	s_waitcnt lgkmcnt(1)
	v_dual_add_f32 v10, v10, v17 :: v_dual_add_f32 v11, v11, v19
	ds_bpermute_b32 v19, v8, v12
	s_waitcnt lgkmcnt(1)
	v_add_f32_e32 v13, v13, v21
	ds_bpermute_b32 v21, v8, v14
	v_add_f32_e32 v9, v9, v27
	ds_bpermute_b32 v18, v8, v11
	ds_bpermute_b32 v20, v8, v13
	;; [unrolled: 1-line block ×3, first 2 shown]
	s_waitcnt lgkmcnt(0)
	v_add_f32_e32 v17, v9, v27
	ds_bpermute_b32 v9, v8, v10
	v_add_f32_e32 v15, v15, v23
	ds_bpermute_b32 v26, v8, v17
	ds_bpermute_b32 v23, v29, v15
	s_waitcnt lgkmcnt(0)
	v_add_f32_e32 v15, v15, v23
	ds_bpermute_b32 v23, v8, v16
	ds_bpermute_b32 v22, v8, v15
	v_dual_add_f32 v8, v10, v9 :: v_dual_add_f32 v9, v11, v18
	v_dual_add_f32 v10, v12, v19 :: v_dual_add_f32 v11, v13, v20
	v_add_f32_e32 v12, v14, v21
	s_waitcnt lgkmcnt(0)
	v_dual_add_f32 v14, v16, v23 :: v_dual_add_f32 v13, v15, v22
	v_add_f32_e32 v15, v17, v26
	s_cbranch_vccz .LBB71_79
; %bb.77:
	s_ashr_i32 s3, s2, 31
	v_dual_mov_b32 v16, 0 :: v_dual_max_f32 v17, v1, v1
	s_lshl_b64 s[4:5], s[2:3], 2
	v_dual_max_f32 v18, v2, v2 :: v_dual_max_f32 v21, v5, v5
	s_add_u32 s4, s24, s4
	s_addc_u32 s5, s25, s5
	s_clause 0x1
	global_load_b128 v[29:32], v16, s[4:5]
	global_load_b128 v[49:52], v16, s[4:5] offset:16
	v_dual_max_f32 v16, v0, v0 :: v_dual_max_f32 v19, v3, v3
	v_dual_max_f32 v20, v4, v4 :: v_dual_max_f32 v23, v7, v7
	s_waitcnt vmcnt(1)
	v_dual_max_f32 v22, v6, v6 :: v_dual_max_f32 v53, v31, v31
	v_dual_max_f32 v26, v29, v29 :: v_dual_max_f32 v27, v30, v30
	s_waitcnt vmcnt(0)
	v_dual_max_f32 v54, v32, v32 :: v_dual_max_f32 v55, v49, v49
	v_dual_max_f32 v56, v50, v50 :: v_dual_max_f32 v57, v51, v51
	s_delay_alu instid0(VALU_DEP_3) | instskip(NEXT) | instid1(VALU_DEP_2)
	v_dual_max_f32 v58, v52, v52 :: v_dual_max_f32 v17, v17, v27
	v_dual_max_f32 v16, v16, v26 :: v_dual_max_f32 v21, v21, v56
	s_delay_alu instid0(VALU_DEP_4) | instskip(NEXT) | instid1(VALU_DEP_3)
	v_dual_max_f32 v18, v18, v53 :: v_dual_max_f32 v19, v19, v54
	v_dual_max_f32 v20, v20, v55 :: v_dual_max_f32 v23, v23, v58
	s_delay_alu instid0(VALU_DEP_3) | instskip(SKIP_1) | instid1(VALU_DEP_4)
	v_dual_max_f32 v22, v22, v57 :: v_dual_sub_f32 v27, v29, v16
	v_dual_sub_f32 v26, v0, v16 :: v_dual_sub_f32 v29, v1, v17
	v_dual_sub_f32 v53, v2, v18 :: v_dual_sub_f32 v54, v3, v19
	s_delay_alu instid0(VALU_DEP_4) | instskip(NEXT) | instid1(VALU_DEP_4)
	v_dual_sub_f32 v55, v4, v20 :: v_dual_sub_f32 v56, v5, v21
	v_dual_sub_f32 v57, v6, v22 :: v_dual_sub_f32 v58, v7, v23
	v_dual_mov_b32 v0, v16 :: v_dual_mov_b32 v3, v19
	v_dual_sub_f32 v30, v30, v17 :: v_dual_sub_f32 v31, v31, v18
	v_dual_sub_f32 v52, v52, v23 :: v_dual_mov_b32 v1, v17
	v_dual_mov_b32 v2, v18 :: v_dual_mov_b32 v5, v21
	v_dual_mov_b32 v4, v20 :: v_dual_mov_b32 v7, v23
	v_dual_mov_b32 v6, v22 :: v_dual_mul_f32 v17, 0x3fb8aa3b, v27
	v_mul_f32_e32 v16, 0x3fb8aa3b, v26
	v_dual_sub_f32 v32, v32, v19 :: v_dual_sub_f32 v49, v49, v20
	v_dual_sub_f32 v50, v50, v21 :: v_dual_sub_f32 v51, v51, v22
	v_dual_mul_f32 v18, 0x3fb8aa3b, v29 :: v_dual_mul_f32 v19, 0x3fb8aa3b, v30
	v_mul_f32_e32 v21, 0x3fb8aa3b, v31
	v_fma_f32 v67, 0x3fb8aa3b, v26, -v16
	v_rndne_f32_e32 v68, v16
	v_fma_f32 v69, 0x3fb8aa3b, v27, -v17
	v_rndne_f32_e32 v74, v19
	v_rndne_f32_e32 v70, v17
	s_delay_alu instid0(VALU_DEP_4) | instskip(SKIP_1) | instid1(VALU_DEP_4)
	v_dual_fmac_f32 v67, 0x32a5705f, v26 :: v_dual_sub_f32 v16, v16, v68
	v_fma_f32 v73, 0x3fb8aa3b, v30, -v19
	v_dual_sub_f32 v19, v19, v74 :: v_dual_mul_f32 v20, 0x3fb8aa3b, v53
	s_delay_alu instid0(VALU_DEP_3)
	v_dual_mul_f32 v23, 0x3fb8aa3b, v32 :: v_dual_add_f32 v16, v16, v67
	v_dual_mul_f32 v66, 0x3fb8aa3b, v52 :: v_dual_sub_f32 v17, v17, v70
	v_fma_f32 v71, 0x3fb8aa3b, v29, -v18
	v_rndne_f32_e32 v72, v18
	v_fmac_f32_e32 v69, 0x32a5705f, v27
	v_exp_f32_e32 v16, v16
	v_dual_mul_f32 v22, 0x3fb8aa3b, v54 :: v_dual_mul_f32 v59, 0x3fb8aa3b, v55
	v_dual_mul_f32 v60, 0x3fb8aa3b, v49 :: v_dual_mul_f32 v61, 0x3fb8aa3b, v56
	v_rndne_f32_e32 v76, v20
	v_rndne_f32_e32 v78, v21
	v_cvt_i32_f32_e32 v68, v68
	v_dual_fmac_f32 v71, 0x32a5705f, v29 :: v_dual_sub_f32 v18, v18, v72
	v_add_f32_e32 v17, v17, v69
	v_fma_f32 v75, 0x3fb8aa3b, v53, -v20
	v_fma_f32 v77, 0x3fb8aa3b, v31, -v21
	v_rndne_f32_e32 v80, v22
	v_fma_f32 v85, 0x3fb8aa3b, v49, -v60
	v_dual_fmac_f32 v73, 0x32a5705f, v30 :: v_dual_sub_f32 v20, v20, v76
	v_dual_sub_f32 v21, v21, v78 :: v_dual_add_f32 v18, v18, v71
	v_exp_f32_e32 v17, v17
	v_ldexp_f32 v16, v16, v68
	v_cmp_ngt_f32_e32 vcc_lo, 0xc2ce8ed0, v26
	v_dual_mul_f32 v62, 0x3fb8aa3b, v50 :: v_dual_mul_f32 v63, 0x3fb8aa3b, v57
	v_fma_f32 v79, 0x3fb8aa3b, v54, -v22
	v_rndne_f32_e32 v86, v60
	v_cvt_i32_f32_e32 v70, v70
	v_dual_fmac_f32 v75, 0x32a5705f, v53 :: v_dual_sub_f32 v22, v22, v80
	v_dual_fmac_f32 v85, 0x32a5705f, v49 :: v_dual_cndmask_b32 v16, 0, v16
	v_add_f32_e32 v19, v19, v73
	v_exp_f32_e32 v18, v18
	v_rndne_f32_e32 v90, v62
	v_cvt_i32_f32_e32 v72, v72
	v_dual_fmac_f32 v77, 0x32a5705f, v31 :: v_dual_sub_f32 v60, v60, v86
	v_dual_fmac_f32 v79, 0x32a5705f, v54 :: v_dual_add_f32 v20, v20, v75
	v_exp_f32_e32 v19, v19
	v_ldexp_f32 v17, v17, v70
	v_cmp_ngt_f32_e32 vcc_lo, 0xc2ce8ed0, v27
	v_dual_mul_f32 v64, 0x3fb8aa3b, v51 :: v_dual_mul_f32 v65, 0x3fb8aa3b, v58
	v_fma_f32 v81, 0x3fb8aa3b, v32, -v23
	v_rndne_f32_e32 v82, v23
	v_fma_f32 v89, 0x3fb8aa3b, v50, -v62
	v_fma_f32 v91, 0x3fb8aa3b, v57, -v63
	v_cvt_i32_f32_e32 v74, v74
	v_dual_sub_f32 v62, v62, v90 :: v_dual_add_f32 v21, v21, v77
	v_exp_f32_e32 v20, v20
	v_ldexp_f32 v18, v18, v72
	v_cndmask_b32_e32 v17, 0, v17, vcc_lo
	v_cmp_ngt_f32_e32 vcc_lo, 0xc2ce8ed0, v29
	v_fma_f32 v83, 0x3fb8aa3b, v55, -v59
	v_rndne_f32_e32 v84, v59
	v_rndne_f32_e32 v94, v64
	v_cvt_i32_f32_e32 v76, v76
	v_fmac_f32_e32 v81, 0x32a5705f, v32
	v_dual_sub_f32 v23, v23, v82 :: v_dual_add_f32 v22, v22, v79
	v_dual_fmac_f32 v91, 0x32a5705f, v57 :: v_dual_cndmask_b32 v18, 0, v18
	v_exp_f32_e32 v21, v21
	v_ldexp_f32 v19, v19, v74
	v_cmp_ngt_f32_e32 vcc_lo, 0xc2ce8ed0, v30
	v_fma_f32 v93, 0x3fb8aa3b, v51, -v64
	v_fma_f32 v97, 0x3fb8aa3b, v52, -v66
	v_rndne_f32_e32 v98, v66
	v_cvt_i32_f32_e32 v78, v78
	v_fmac_f32_e32 v83, 0x32a5705f, v55
	v_dual_sub_f32 v59, v59, v84 :: v_dual_add_f32 v60, v60, v85
	v_dual_sub_f32 v64, v64, v94 :: v_dual_add_f32 v23, v23, v81
	v_exp_f32_e32 v22, v22
	v_ldexp_f32 v20, v20, v76
	v_cndmask_b32_e32 v19, 0, v19, vcc_lo
	v_cmp_ngt_f32_e32 vcc_lo, 0xc2ce8ed0, v53
	v_fma_f32 v87, 0x3fb8aa3b, v56, -v61
	v_rndne_f32_e32 v88, v61
	v_cvt_i32_f32_e32 v80, v80
	v_dual_fmac_f32 v93, 0x32a5705f, v51 :: v_dual_cndmask_b32 v20, 0, v20
	v_dual_fmac_f32 v97, 0x32a5705f, v52 :: v_dual_sub_f32 v66, v66, v98
	v_add_f32_e32 v59, v59, v83
	v_exp_f32_e32 v23, v23
	v_ldexp_f32 v21, v21, v78
	v_cmp_ngt_f32_e32 vcc_lo, 0xc2ce8ed0, v31
	v_rndne_f32_e32 v92, v63
	v_cvt_i32_f32_e32 v82, v82
	v_dual_sub_f32 v61, v61, v88 :: v_dual_add_f32 v64, v64, v93
	v_dual_fmac_f32 v89, 0x32a5705f, v50 :: v_dual_add_f32 v66, v66, v97
	v_fmac_f32_e32 v87, 0x32a5705f, v56
	v_exp_f32_e32 v59, v59
	v_ldexp_f32 v22, v22, v80
	s_delay_alu instid0(VALU_DEP_3)
	v_add_f32_e32 v62, v62, v89
	v_cndmask_b32_e32 v21, 0, v21, vcc_lo
	v_cmp_ngt_f32_e32 vcc_lo, 0xc2ce8ed0, v54
	v_cvt_i32_f32_e32 v84, v84
	v_sub_f32_e32 v63, v63, v92
	v_add_f32_e32 v61, v61, v87
	v_exp_f32_e32 v60, v60
	v_ldexp_f32 v23, v23, v82
	v_cndmask_b32_e32 v22, 0, v22, vcc_lo
	v_cmp_ngt_f32_e32 vcc_lo, 0xc2ce8ed0, v32
	v_cvt_i32_f32_e32 v86, v86
	v_exp_f32_e32 v61, v61
	v_ldexp_f32 v59, v59, v84
	v_fma_f32 v95, 0x3fb8aa3b, v58, -v65
	v_cndmask_b32_e32 v23, 0, v23, vcc_lo
	v_cmp_ngt_f32_e32 vcc_lo, 0xc2ce8ed0, v55
	v_cvt_i32_f32_e32 v88, v88
	v_ldexp_f32 v60, v60, v86
	v_exp_f32_e32 v62, v62
	v_cvt_i32_f32_e32 v90, v90
	v_cndmask_b32_e32 v59, 0, v59, vcc_lo
	v_cmp_ngt_f32_e32 vcc_lo, 0xc2ce8ed0, v49
	v_fmac_f32_e32 v95, 0x32a5705f, v58
	v_ldexp_f32 v61, v61, v88
	v_rndne_f32_e32 v96, v65
	v_cvt_i32_f32_e32 v92, v92
	v_cndmask_b32_e32 v60, 0, v60, vcc_lo
	v_cmp_ngt_f32_e32 vcc_lo, 0xc2ce8ed0, v56
	v_exp_f32_e32 v64, v64
	v_ldexp_f32 v62, v62, v90
	v_cvt_i32_f32_e32 v94, v94
	v_exp_f32_e32 v66, v66
	v_cndmask_b32_e32 v61, 0, v61, vcc_lo
	v_add_f32_e32 v63, v63, v91
	v_cmp_ngt_f32_e32 vcc_lo, 0xc2ce8ed0, v50
	v_sub_f32_e32 v65, v65, v96
	v_cvt_i32_f32_e32 v96, v96
	v_cvt_i32_f32_e32 v98, v98
	v_exp_f32_e32 v63, v63
	v_cndmask_b32_e32 v62, 0, v62, vcc_lo
	v_cmp_ngt_f32_e32 vcc_lo, 0xc2ce8ed0, v57
	v_ldexp_f32 v64, v64, v94
	v_ldexp_f32 v66, v66, v98
	s_waitcnt_depctr 0xfff
	v_ldexp_f32 v63, v63, v92
	s_delay_alu instid0(VALU_DEP_1) | instskip(SKIP_3) | instid1(VALU_DEP_2)
	v_cndmask_b32_e32 v63, 0, v63, vcc_lo
	v_cmp_ngt_f32_e32 vcc_lo, 0xc2ce8ed0, v51
	v_dual_cndmask_b32 v64, 0, v64 :: v_dual_add_f32 v65, v65, v95
	v_cmp_ngt_f32_e32 vcc_lo, 0xc2ce8ed0, v58
	v_exp_f32_e32 v65, v65
	s_waitcnt_depctr 0xfff
	v_ldexp_f32 v65, v65, v96
	s_delay_alu instid0(VALU_DEP_1)
	v_cndmask_b32_e32 v65, 0, v65, vcc_lo
	v_cmp_ngt_f32_e32 vcc_lo, 0xc2ce8ed0, v52
	v_cndmask_b32_e32 v66, 0, v66, vcc_lo
	v_cmp_nlt_f32_e32 vcc_lo, 0x42b17218, v26
	v_cndmask_b32_e32 v26, 0x7f800000, v16, vcc_lo
	v_cmp_nlt_f32_e32 vcc_lo, 0x42b17218, v27
	;; [unrolled: 2-line block ×3, first 2 shown]
	s_delay_alu instid0(VALU_DEP_2)
	v_fmac_f32_e32 v16, v8, v26
	v_cndmask_b32_e32 v27, 0x7f800000, v18, vcc_lo
	v_cmp_nlt_f32_e32 vcc_lo, 0x42b17218, v30
	v_cvt_f16_f32_e32 v8, v26
	v_cndmask_b32_e32 v17, 0x7f800000, v19, vcc_lo
	v_cmp_nlt_f32_e32 vcc_lo, 0x42b17218, v53
	s_delay_alu instid0(VALU_DEP_3) | instskip(SKIP_1) | instid1(VALU_DEP_4)
	v_pk_mul_f16 v47, v8, v47 op_sel_hi:[0,1]
	v_pk_mul_f16 v48, v8, v48 op_sel_hi:[0,1]
	v_dual_mov_b32 v8, v16 :: v_dual_fmac_f32 v17, v9, v27
	v_cndmask_b32_e32 v29, 0x7f800000, v20, vcc_lo
	v_cmp_nlt_f32_e32 vcc_lo, 0x42b17218, v31
	v_cvt_f16_f32_e32 v9, v27
	v_cndmask_b32_e32 v18, 0x7f800000, v21, vcc_lo
	v_cmp_nlt_f32_e32 vcc_lo, 0x42b17218, v54
	s_delay_alu instid0(VALU_DEP_3) | instskip(SKIP_1) | instid1(VALU_DEP_4)
	v_pk_mul_f16 v45, v9, v45 op_sel_hi:[0,1]
	v_pk_mul_f16 v46, v9, v46 op_sel_hi:[0,1]
	v_dual_mov_b32 v9, v17 :: v_dual_fmac_f32 v18, v10, v29
	;; [unrolled: 9-line block ×6, first 2 shown]
	v_cvt_f16_f32_e32 v14, v49
	s_delay_alu instid0(VALU_DEP_1) | instskip(SKIP_1) | instid1(VALU_DEP_4)
	v_pk_mul_f16 v35, v14, v35 op_sel_hi:[0,1]
	v_pk_mul_f16 v36, v14, v36 op_sel_hi:[0,1]
	v_mov_b32_e32 v14, v22
	v_cndmask_b32_e32 v50, 0x7f800000, v65, vcc_lo
	v_cmp_nlt_f32_e32 vcc_lo, 0x42b17218, v52
	v_cndmask_b32_e32 v23, 0x7f800000, v66, vcc_lo
	s_delay_alu instid0(VALU_DEP_1) | instskip(SKIP_1) | instid1(VALU_DEP_1)
	v_fmac_f32_e32 v23, v15, v50
	v_cvt_f16_f32_e32 v15, v50
	v_pk_mul_f16 v34, v15, v34 op_sel_hi:[0,1]
	v_pk_mul_f16 v33, v15, v33 op_sel_hi:[0,1]
	s_delay_alu instid0(VALU_DEP_4)
	v_mov_b32_e32 v15, v23
	s_mov_b32 s3, exec_lo
	v_cmpx_gt_i32_e64 s6, v24
	s_cbranch_execnz .LBB71_80
.LBB71_78:
	s_nop 0
	s_sendmsg sendmsg(MSG_DEALLOC_VGPRS)
	s_endpgm
.LBB71_79:
	s_delay_alu instid0(VALU_DEP_1) | instskip(NEXT) | instid1(VALU_DEP_3)
	v_dual_mov_b32 v23, v15 :: v_dual_mov_b32 v22, v14
	v_dual_mov_b32 v21, v13 :: v_dual_mov_b32 v20, v12
	;; [unrolled: 1-line block ×4, first 2 shown]
	s_mov_b32 s3, exec_lo
	v_cmpx_gt_i32_e64 s6, v24
	s_cbranch_execz .LBB71_78
.LBB71_80:
	s_load_b32 s1, s[0:1], 0xd4
	v_mov_b32_e32 v29, 1.0
	s_waitcnt lgkmcnt(0)
	s_cmp_lg_u32 s1, 1
	s_cselect_b32 s4, -1, 0
	s_cmp_eq_u32 s1, 1
	s_cselect_b32 s3, -1, 0
	s_and_b32 vcc_lo, exec_lo, s4
	s_cbranch_vccnz .LBB71_82
; %bb.81:
	v_div_scale_f32 v26, null, v8, v8, 1.0
	s_delay_alu instid0(VALU_DEP_1) | instskip(SKIP_2) | instid1(VALU_DEP_1)
	v_rcp_f32_e32 v27, v26
	s_waitcnt_depctr 0xfff
	v_fma_f32 v29, -v26, v27, 1.0
	v_fmac_f32_e32 v27, v29, v27
	v_div_scale_f32 v29, vcc_lo, 1.0, v8, 1.0
	s_delay_alu instid0(VALU_DEP_1) | instskip(NEXT) | instid1(VALU_DEP_1)
	v_mul_f32_e32 v30, v29, v27
	v_fma_f32 v31, -v26, v30, v29
	s_delay_alu instid0(VALU_DEP_1) | instskip(NEXT) | instid1(VALU_DEP_1)
	v_fmac_f32_e32 v30, v31, v27
	v_fma_f32 v26, -v26, v30, v29
	s_delay_alu instid0(VALU_DEP_1) | instskip(NEXT) | instid1(VALU_DEP_1)
	v_div_fmas_f32 v26, v26, v27, v30
	v_div_fixup_f32 v29, v26, v8, 1.0
.LBB71_82:
	v_mad_u64_u32 v[26:27], null, s12, s6, v[24:25]
	v_lshrrev_b32_e32 v8, 16, v47
	v_cmp_eq_u32_e32 vcc_lo, 0, v25
	s_delay_alu instid0(VALU_DEP_2) | instskip(NEXT) | instid1(VALU_DEP_4)
	v_cvt_f32_f16_e32 v8, v8
	v_mad_u64_u32 v[30:31], null, v26, s7, s[2:3]
	v_mov_b32_e32 v25, 0
	v_cvt_f32_f16_e32 v31, v48
	s_delay_alu instid0(VALU_DEP_1) | instskip(NEXT) | instid1(VALU_DEP_4)
	v_mul_f32_e32 v49, v29, v31
	v_mad_u64_u32 v[26:27], null, s1, v30, s[14:15]
	v_lshrrev_b32_e32 v27, 16, v48
	v_mul_f32_e32 v48, v29, v8
	v_cvt_f32_f16_e32 v30, v47
	s_delay_alu instid0(VALU_DEP_3) | instskip(SKIP_1) | instid1(VALU_DEP_3)
	v_cvt_f32_f16_e32 v27, v27
	v_lshl_add_u32 v24, v26, 7, v28
	v_mul_f32_e32 v47, v29, v30
	s_delay_alu instid0(VALU_DEP_3) | instskip(NEXT) | instid1(VALU_DEP_3)
	v_mul_f32_e32 v50, v29, v27
	v_lshlrev_b64 v[24:25], 2, v[24:25]
	s_delay_alu instid0(VALU_DEP_1) | instskip(NEXT) | instid1(VALU_DEP_1)
	v_add_co_u32 v24, s0, s28, v24
	v_add_co_ci_u32_e64 v25, s0, s29, v25, s0
	s_and_b32 s0, vcc_lo, s4
	global_store_b128 v[24:25], v[47:50], off
	s_and_saveexec_b32 s2, s0
	s_cbranch_execz .LBB71_84
; %bb.83:
	v_ashrrev_i32_e32 v27, 31, v26
	v_mov_b32_e32 v29, v0
	v_mov_b32_e32 v30, v16
	s_delay_alu instid0(VALU_DEP_3) | instskip(NEXT) | instid1(VALU_DEP_1)
	v_lshlrev_b64 v[24:25], 3, v[26:27]
	v_add_co_u32 v24, vcc_lo, s30, v24
	s_delay_alu instid0(VALU_DEP_2)
	v_add_co_ci_u32_e32 v25, vcc_lo, s31, v25, vcc_lo
	global_store_b64 v[24:25], v[29:30], off
.LBB71_84:
	s_or_b32 exec_lo, exec_lo, s2
	v_cndmask_b32_e64 v24, 0, 1, s3
	v_mov_b32_e32 v0, 1.0
	s_and_not1_b32 vcc_lo, exec_lo, s3
	s_cbranch_vccnz .LBB71_86
; %bb.85:
	v_div_scale_f32 v0, null, v9, v9, 1.0
	s_delay_alu instid0(VALU_DEP_1) | instskip(SKIP_2) | instid1(VALU_DEP_1)
	v_rcp_f32_e32 v8, v0
	s_waitcnt_depctr 0xfff
	v_fma_f32 v16, -v0, v8, 1.0
	v_fmac_f32_e32 v8, v16, v8
	v_div_scale_f32 v16, vcc_lo, 1.0, v9, 1.0
	s_delay_alu instid0(VALU_DEP_1) | instskip(NEXT) | instid1(VALU_DEP_1)
	v_mul_f32_e32 v25, v16, v8
	v_fma_f32 v27, -v0, v25, v16
	s_delay_alu instid0(VALU_DEP_1) | instskip(NEXT) | instid1(VALU_DEP_1)
	v_fmac_f32_e32 v25, v27, v8
	v_fma_f32 v0, -v0, v25, v16
	s_delay_alu instid0(VALU_DEP_1) | instskip(NEXT) | instid1(VALU_DEP_1)
	v_div_fmas_f32 v0, v0, v8, v25
	v_div_fixup_f32 v0, v0, v9, 1.0
.LBB71_86:
	v_cvt_f32_f16_e32 v27, v45
	v_add_nc_u32_e32 v8, s1, v26
	v_cvt_f32_f16_e32 v30, v46
	v_mov_b32_e32 v26, 0
	v_lshrrev_b32_e32 v9, 16, v45
	v_mul_f32_e32 v29, v0, v27
	v_lshl_add_u32 v25, v8, 7, v28
	v_mul_f32_e32 v31, v0, v30
	v_lshrrev_b32_e32 v16, 16, v46
	v_cvt_f32_f16_e32 v9, v9
	s_delay_alu instid0(VALU_DEP_4) | instskip(NEXT) | instid1(VALU_DEP_3)
	v_lshlrev_b64 v[25:26], 2, v[25:26]
	v_cvt_f32_f16_e32 v16, v16
	s_delay_alu instid0(VALU_DEP_3) | instskip(NEXT) | instid1(VALU_DEP_3)
	v_mul_f32_e32 v30, v0, v9
	v_add_co_u32 v25, vcc_lo, s28, v25
	s_delay_alu instid0(VALU_DEP_3)
	v_mul_f32_e32 v32, v0, v16
	v_add_co_ci_u32_e32 v26, vcc_lo, s29, v26, vcc_lo
	global_store_b128 v[25:26], v[29:32], off
	s_and_saveexec_b32 s2, s0
	s_cbranch_execz .LBB71_88
; %bb.87:
	v_ashrrev_i32_e32 v9, 31, v8
	v_mov_b32_e32 v16, v1
	s_delay_alu instid0(VALU_DEP_2) | instskip(NEXT) | instid1(VALU_DEP_1)
	v_lshlrev_b64 v[25:26], 3, v[8:9]
	v_add_co_u32 v25, vcc_lo, s30, v25
	s_delay_alu instid0(VALU_DEP_2)
	v_add_co_ci_u32_e32 v26, vcc_lo, s31, v26, vcc_lo
	global_store_b64 v[25:26], v[16:17], off
.LBB71_88:
	s_or_b32 exec_lo, exec_lo, s2
	v_cmp_ne_u32_e32 vcc_lo, 1, v24
	v_mov_b32_e32 v1, 1.0
	s_cbranch_vccnz .LBB71_90
; %bb.89:
	v_div_scale_f32 v0, null, v10, v10, 1.0
	s_delay_alu instid0(VALU_DEP_1) | instskip(SKIP_2) | instid1(VALU_DEP_1)
	v_rcp_f32_e32 v1, v0
	s_waitcnt_depctr 0xfff
	v_fma_f32 v9, -v0, v1, 1.0
	v_fmac_f32_e32 v1, v9, v1
	v_div_scale_f32 v9, vcc_lo, 1.0, v10, 1.0
	s_delay_alu instid0(VALU_DEP_1) | instskip(NEXT) | instid1(VALU_DEP_1)
	v_mul_f32_e32 v16, v9, v1
	v_fma_f32 v17, -v0, v16, v9
	s_delay_alu instid0(VALU_DEP_1) | instskip(NEXT) | instid1(VALU_DEP_1)
	v_fmac_f32_e32 v16, v17, v1
	v_fma_f32 v0, -v0, v16, v9
	s_delay_alu instid0(VALU_DEP_1) | instskip(NEXT) | instid1(VALU_DEP_1)
	v_div_fmas_f32 v0, v0, v1, v16
	v_div_fixup_f32 v1, v0, v10, 1.0
.LBB71_90:
	v_dual_mov_b32 v9, 0 :: v_dual_add_nc_u32 v0, s1, v8
	v_lshrrev_b32_e32 v10, 16, v43
	v_lshrrev_b32_e32 v16, 16, v44
	v_cvt_f32_f16_e32 v17, v43
	s_delay_alu instid0(VALU_DEP_4)
	v_lshl_add_u32 v8, v0, 7, v28
	v_cvt_f32_f16_e32 v25, v44
	v_cvt_f32_f16_e32 v10, v10
	;; [unrolled: 1-line block ×3, first 2 shown]
	v_mul_f32_e32 v29, v1, v17
	v_lshlrev_b64 v[8:9], 2, v[8:9]
	v_mul_f32_e32 v31, v1, v25
	v_mul_f32_e32 v30, v1, v10
	;; [unrolled: 1-line block ×3, first 2 shown]
	s_delay_alu instid0(VALU_DEP_4)
	v_add_co_u32 v8, vcc_lo, s28, v8
	v_add_co_ci_u32_e32 v9, vcc_lo, s29, v9, vcc_lo
	global_store_b128 v[8:9], v[29:32], off
	s_and_saveexec_b32 s2, s0
	s_cbranch_execz .LBB71_92
; %bb.91:
	v_ashrrev_i32_e32 v1, 31, v0
	v_mov_b32_e32 v17, v2
	s_delay_alu instid0(VALU_DEP_2) | instskip(NEXT) | instid1(VALU_DEP_1)
	v_lshlrev_b64 v[8:9], 3, v[0:1]
	v_add_co_u32 v8, vcc_lo, s30, v8
	s_delay_alu instid0(VALU_DEP_2)
	v_add_co_ci_u32_e32 v9, vcc_lo, s31, v9, vcc_lo
	global_store_b64 v[8:9], v[17:18], off
.LBB71_92:
	s_or_b32 exec_lo, exec_lo, s2
	v_cmp_ne_u32_e32 vcc_lo, 1, v24
	v_mov_b32_e32 v1, 1.0
	s_cbranch_vccnz .LBB71_94
; %bb.93:
	v_div_scale_f32 v1, null, v11, v11, 1.0
	s_delay_alu instid0(VALU_DEP_1) | instskip(SKIP_2) | instid1(VALU_DEP_1)
	v_rcp_f32_e32 v2, v1
	s_waitcnt_depctr 0xfff
	v_fma_f32 v8, -v1, v2, 1.0
	v_fmac_f32_e32 v2, v8, v2
	v_div_scale_f32 v8, vcc_lo, 1.0, v11, 1.0
	s_delay_alu instid0(VALU_DEP_1) | instskip(NEXT) | instid1(VALU_DEP_1)
	v_mul_f32_e32 v9, v8, v2
	v_fma_f32 v10, -v1, v9, v8
	s_delay_alu instid0(VALU_DEP_1) | instskip(NEXT) | instid1(VALU_DEP_1)
	v_fmac_f32_e32 v9, v10, v2
	v_fma_f32 v1, -v1, v9, v8
	s_delay_alu instid0(VALU_DEP_1) | instskip(NEXT) | instid1(VALU_DEP_1)
	v_div_fmas_f32 v1, v1, v2, v9
	v_div_fixup_f32 v1, v1, v11, 1.0
.LBB71_94:
	v_dual_mov_b32 v9, 0 :: v_dual_add_nc_u32 v0, s1, v0
	v_lshrrev_b32_e32 v2, 16, v41
	v_lshrrev_b32_e32 v10, 16, v42
	v_cvt_f32_f16_e32 v11, v41
	s_delay_alu instid0(VALU_DEP_4) | instskip(SKIP_3) | instid1(VALU_DEP_4)
	v_lshl_add_u32 v8, v0, 7, v28
	v_cvt_f32_f16_e32 v18, v42
	v_cvt_f32_f16_e32 v2, v2
	;; [unrolled: 1-line block ×3, first 2 shown]
	v_lshlrev_b64 v[16:17], 2, v[8:9]
	v_mul_f32_e32 v8, v1, v11
	v_mul_f32_e32 v10, v1, v18
	;; [unrolled: 1-line block ×4, first 2 shown]
	v_add_co_u32 v1, vcc_lo, s28, v16
	v_add_co_ci_u32_e32 v2, vcc_lo, s29, v17, vcc_lo
	global_store_b128 v[1:2], v[8:11], off
	s_and_saveexec_b32 s2, s0
	s_cbranch_execz .LBB71_96
; %bb.95:
	v_ashrrev_i32_e32 v1, 31, v0
	v_mov_b32_e32 v18, v3
	s_delay_alu instid0(VALU_DEP_2) | instskip(NEXT) | instid1(VALU_DEP_1)
	v_lshlrev_b64 v[1:2], 3, v[0:1]
	v_add_co_u32 v1, vcc_lo, s30, v1
	s_delay_alu instid0(VALU_DEP_2)
	v_add_co_ci_u32_e32 v2, vcc_lo, s31, v2, vcc_lo
	global_store_b64 v[1:2], v[18:19], off
.LBB71_96:
	s_or_b32 exec_lo, exec_lo, s2
	v_cmp_ne_u32_e32 vcc_lo, 1, v24
	v_mov_b32_e32 v1, 1.0
	s_cbranch_vccnz .LBB71_98
; %bb.97:
	v_div_scale_f32 v1, null, v12, v12, 1.0
	s_delay_alu instid0(VALU_DEP_1) | instskip(SKIP_2) | instid1(VALU_DEP_1)
	v_rcp_f32_e32 v2, v1
	s_waitcnt_depctr 0xfff
	v_fma_f32 v3, -v1, v2, 1.0
	v_fmac_f32_e32 v2, v3, v2
	v_div_scale_f32 v3, vcc_lo, 1.0, v12, 1.0
	s_delay_alu instid0(VALU_DEP_1) | instskip(NEXT) | instid1(VALU_DEP_1)
	v_mul_f32_e32 v8, v3, v2
	v_fma_f32 v9, -v1, v8, v3
	s_delay_alu instid0(VALU_DEP_1) | instskip(NEXT) | instid1(VALU_DEP_1)
	v_fmac_f32_e32 v8, v9, v2
	v_fma_f32 v1, -v1, v8, v3
	s_delay_alu instid0(VALU_DEP_1) | instskip(NEXT) | instid1(VALU_DEP_1)
	v_div_fmas_f32 v1, v1, v2, v8
	v_div_fixup_f32 v1, v1, v12, 1.0
.LBB71_98:
	v_dual_mov_b32 v3, 0 :: v_dual_add_nc_u32 v0, s1, v0
	v_lshrrev_b32_e32 v8, 16, v39
	v_lshrrev_b32_e32 v9, 16, v40
	v_cvt_f32_f16_e32 v10, v39
	s_delay_alu instid0(VALU_DEP_4)
	v_lshl_add_u32 v2, v0, 7, v28
	v_cvt_f32_f16_e32 v11, v40
	v_cvt_f32_f16_e32 v12, v8
	;; [unrolled: 1-line block ×3, first 2 shown]
	v_mul_f32_e32 v8, v1, v10
	v_lshlrev_b64 v[2:3], 2, v[2:3]
	v_mul_f32_e32 v10, v1, v11
	v_mul_f32_e32 v9, v1, v12
	;; [unrolled: 1-line block ×3, first 2 shown]
	s_delay_alu instid0(VALU_DEP_4)
	v_add_co_u32 v1, vcc_lo, s28, v2
	v_add_co_ci_u32_e32 v2, vcc_lo, s29, v3, vcc_lo
	global_store_b128 v[1:2], v[8:11], off
	s_and_saveexec_b32 s2, s0
	s_cbranch_execz .LBB71_100
; %bb.99:
	v_ashrrev_i32_e32 v1, 31, v0
	v_mov_b32_e32 v19, v4
	s_delay_alu instid0(VALU_DEP_2) | instskip(NEXT) | instid1(VALU_DEP_1)
	v_lshlrev_b64 v[1:2], 3, v[0:1]
	v_add_co_u32 v1, vcc_lo, s30, v1
	s_delay_alu instid0(VALU_DEP_2)
	v_add_co_ci_u32_e32 v2, vcc_lo, s31, v2, vcc_lo
	global_store_b64 v[1:2], v[19:20], off
.LBB71_100:
	s_or_b32 exec_lo, exec_lo, s2
	v_cmp_ne_u32_e32 vcc_lo, 1, v24
	v_mov_b32_e32 v1, 1.0
	s_cbranch_vccnz .LBB71_102
; %bb.101:
	v_div_scale_f32 v1, null, v13, v13, 1.0
	s_delay_alu instid0(VALU_DEP_1) | instskip(SKIP_2) | instid1(VALU_DEP_1)
	v_rcp_f32_e32 v2, v1
	s_waitcnt_depctr 0xfff
	v_fma_f32 v3, -v1, v2, 1.0
	v_fmac_f32_e32 v2, v3, v2
	v_div_scale_f32 v3, vcc_lo, 1.0, v13, 1.0
	s_delay_alu instid0(VALU_DEP_1) | instskip(NEXT) | instid1(VALU_DEP_1)
	v_mul_f32_e32 v4, v3, v2
	v_fma_f32 v8, -v1, v4, v3
	s_delay_alu instid0(VALU_DEP_1) | instskip(NEXT) | instid1(VALU_DEP_1)
	v_fmac_f32_e32 v4, v8, v2
	v_fma_f32 v1, -v1, v4, v3
	s_delay_alu instid0(VALU_DEP_1) | instskip(NEXT) | instid1(VALU_DEP_1)
	v_div_fmas_f32 v1, v1, v2, v4
	v_div_fixup_f32 v1, v1, v13, 1.0
.LBB71_102:
	v_dual_mov_b32 v3, 0 :: v_dual_add_nc_u32 v0, s1, v0
	v_lshrrev_b32_e32 v4, 16, v37
	v_lshrrev_b32_e32 v8, 16, v38
	v_cvt_f32_f16_e32 v9, v37
	s_delay_alu instid0(VALU_DEP_4)
	v_lshl_add_u32 v2, v0, 7, v28
	v_cvt_f32_f16_e32 v10, v38
	v_cvt_f32_f16_e32 v4, v4
	;; [unrolled: 1-line block ×3, first 2 shown]
	v_mul_f32_e32 v8, v1, v9
	v_lshlrev_b64 v[2:3], 2, v[2:3]
	v_mul_f32_e32 v10, v1, v10
	v_mul_f32_e32 v9, v1, v4
	;; [unrolled: 1-line block ×3, first 2 shown]
	s_delay_alu instid0(VALU_DEP_4)
	v_add_co_u32 v1, vcc_lo, s28, v2
	v_add_co_ci_u32_e32 v2, vcc_lo, s29, v3, vcc_lo
	global_store_b128 v[1:2], v[8:11], off
	s_and_saveexec_b32 s2, s0
	s_cbranch_execz .LBB71_104
; %bb.103:
	v_ashrrev_i32_e32 v1, 31, v0
	v_mov_b32_e32 v20, v5
	s_delay_alu instid0(VALU_DEP_2) | instskip(NEXT) | instid1(VALU_DEP_1)
	v_lshlrev_b64 v[1:2], 3, v[0:1]
	v_add_co_u32 v1, vcc_lo, s30, v1
	s_delay_alu instid0(VALU_DEP_2)
	v_add_co_ci_u32_e32 v2, vcc_lo, s31, v2, vcc_lo
	global_store_b64 v[1:2], v[20:21], off
.LBB71_104:
	s_or_b32 exec_lo, exec_lo, s2
	v_cmp_ne_u32_e32 vcc_lo, 1, v24
	v_mov_b32_e32 v1, 1.0
	s_cbranch_vccnz .LBB71_106
; %bb.105:
	v_div_scale_f32 v1, null, v14, v14, 1.0
	s_delay_alu instid0(VALU_DEP_1) | instskip(SKIP_2) | instid1(VALU_DEP_1)
	v_rcp_f32_e32 v2, v1
	s_waitcnt_depctr 0xfff
	v_fma_f32 v3, -v1, v2, 1.0
	v_fmac_f32_e32 v2, v3, v2
	v_div_scale_f32 v3, vcc_lo, 1.0, v14, 1.0
	s_delay_alu instid0(VALU_DEP_1) | instskip(NEXT) | instid1(VALU_DEP_1)
	v_mul_f32_e32 v4, v3, v2
	v_fma_f32 v5, -v1, v4, v3
	s_delay_alu instid0(VALU_DEP_1) | instskip(NEXT) | instid1(VALU_DEP_1)
	v_fmac_f32_e32 v4, v5, v2
	v_fma_f32 v1, -v1, v4, v3
	s_delay_alu instid0(VALU_DEP_1) | instskip(NEXT) | instid1(VALU_DEP_1)
	v_div_fmas_f32 v1, v1, v2, v4
	v_div_fixup_f32 v1, v1, v14, 1.0
.LBB71_106:
	v_dual_mov_b32 v3, 0 :: v_dual_add_nc_u32 v0, s1, v0
	v_lshrrev_b32_e32 v4, 16, v35
	v_lshrrev_b32_e32 v5, 16, v36
	v_cvt_f32_f16_e32 v10, v35
	s_delay_alu instid0(VALU_DEP_4) | instskip(SKIP_3) | instid1(VALU_DEP_4)
	v_lshl_add_u32 v2, v0, 7, v28
	v_cvt_f32_f16_e32 v11, v36
	v_cvt_f32_f16_e32 v12, v4
	;; [unrolled: 1-line block ×3, first 2 shown]
	v_lshlrev_b64 v[8:9], 2, v[2:3]
	v_mul_f32_e32 v2, v1, v10
	v_mul_f32_e32 v4, v1, v11
	;; [unrolled: 1-line block ×4, first 2 shown]
	v_add_co_u32 v8, vcc_lo, s28, v8
	v_add_co_ci_u32_e32 v9, vcc_lo, s29, v9, vcc_lo
	global_store_b128 v[8:9], v[2:5], off
	s_and_saveexec_b32 s2, s0
	s_cbranch_execz .LBB71_108
; %bb.107:
	v_ashrrev_i32_e32 v1, 31, v0
	v_mov_b32_e32 v21, v6
	s_delay_alu instid0(VALU_DEP_2) | instskip(NEXT) | instid1(VALU_DEP_1)
	v_lshlrev_b64 v[1:2], 3, v[0:1]
	v_add_co_u32 v1, vcc_lo, s30, v1
	s_delay_alu instid0(VALU_DEP_2)
	v_add_co_ci_u32_e32 v2, vcc_lo, s31, v2, vcc_lo
	global_store_b64 v[1:2], v[21:22], off
.LBB71_108:
	s_or_b32 exec_lo, exec_lo, s2
	v_cmp_ne_u32_e32 vcc_lo, 1, v24
	v_mov_b32_e32 v1, 1.0
	s_cbranch_vccnz .LBB71_110
; %bb.109:
	v_div_scale_f32 v1, null, v15, v15, 1.0
	s_delay_alu instid0(VALU_DEP_1) | instskip(SKIP_2) | instid1(VALU_DEP_1)
	v_rcp_f32_e32 v2, v1
	s_waitcnt_depctr 0xfff
	v_fma_f32 v3, -v1, v2, 1.0
	v_fmac_f32_e32 v2, v3, v2
	v_div_scale_f32 v3, vcc_lo, 1.0, v15, 1.0
	s_delay_alu instid0(VALU_DEP_1) | instskip(NEXT) | instid1(VALU_DEP_1)
	v_mul_f32_e32 v4, v3, v2
	v_fma_f32 v5, -v1, v4, v3
	s_delay_alu instid0(VALU_DEP_1) | instskip(NEXT) | instid1(VALU_DEP_1)
	v_fmac_f32_e32 v4, v5, v2
	v_fma_f32 v1, -v1, v4, v3
	s_delay_alu instid0(VALU_DEP_1) | instskip(NEXT) | instid1(VALU_DEP_1)
	v_div_fmas_f32 v1, v1, v2, v4
	v_div_fixup_f32 v1, v1, v15, 1.0
.LBB71_110:
	v_dual_mov_b32 v3, 0 :: v_dual_add_nc_u32 v0, s1, v0
	v_lshrrev_b32_e32 v4, 16, v34
	v_lshrrev_b32_e32 v5, 16, v33
	v_cvt_f32_f16_e32 v6, v34
	s_delay_alu instid0(VALU_DEP_4) | instskip(SKIP_3) | instid1(VALU_DEP_4)
	v_lshl_add_u32 v2, v0, 7, v28
	v_cvt_f32_f16_e32 v10, v33
	v_cvt_f32_f16_e32 v11, v4
	;; [unrolled: 1-line block ×3, first 2 shown]
	v_lshlrev_b64 v[8:9], 2, v[2:3]
	v_mul_f32_e32 v2, v1, v6
	v_mul_f32_e32 v4, v1, v10
	;; [unrolled: 1-line block ×4, first 2 shown]
	v_add_co_u32 v8, vcc_lo, s28, v8
	v_add_co_ci_u32_e32 v9, vcc_lo, s29, v9, vcc_lo
	global_store_b128 v[8:9], v[2:5], off
	s_and_b32 exec_lo, exec_lo, s0
	s_cbranch_execz .LBB71_78
; %bb.111:
	v_ashrrev_i32_e32 v1, 31, v0
	v_mov_b32_e32 v22, v7
	s_delay_alu instid0(VALU_DEP_2) | instskip(NEXT) | instid1(VALU_DEP_1)
	v_lshlrev_b64 v[0:1], 3, v[0:1]
	v_add_co_u32 v0, vcc_lo, s30, v0
	s_delay_alu instid0(VALU_DEP_2)
	v_add_co_ci_u32_e32 v1, vcc_lo, s31, v1, vcc_lo
	global_store_b64 v[0:1], v[22:23], off
	s_nop 0
	s_sendmsg sendmsg(MSG_DEALLOC_VGPRS)
	s_endpgm
	.section	.rodata,"a",@progbits
	.p2align	6, 0x0
	.amdhsa_kernel _ZL15flash_attn_tileILi128ELi128ELi8ELi8ELb1EEvPKcS1_S1_S1_S1_PKiPfP15HIP_vector_typeIfLj2EEffffjfiS5_IjLj3EEiiiiiiiiiiiliiliiiiil
		.amdhsa_group_segment_fixed_size 33792
		.amdhsa_private_segment_fixed_size 0
		.amdhsa_kernarg_size 464
		.amdhsa_user_sgpr_count 13
		.amdhsa_user_sgpr_dispatch_ptr 0
		.amdhsa_user_sgpr_queue_ptr 0
		.amdhsa_user_sgpr_kernarg_segment_ptr 1
		.amdhsa_user_sgpr_dispatch_id 0
		.amdhsa_user_sgpr_private_segment_size 0
		.amdhsa_wavefront_size32 1
		.amdhsa_uses_dynamic_stack 0
		.amdhsa_enable_private_segment 0
		.amdhsa_system_sgpr_workgroup_id_x 1
		.amdhsa_system_sgpr_workgroup_id_y 1
		.amdhsa_system_sgpr_workgroup_id_z 1
		.amdhsa_system_sgpr_workgroup_info 0
		.amdhsa_system_vgpr_workitem_id 1
		.amdhsa_next_free_vgpr 201
		.amdhsa_next_free_sgpr 40
		.amdhsa_reserve_vcc 1
		.amdhsa_float_round_mode_32 0
		.amdhsa_float_round_mode_16_64 0
		.amdhsa_float_denorm_mode_32 3
		.amdhsa_float_denorm_mode_16_64 3
		.amdhsa_dx10_clamp 1
		.amdhsa_ieee_mode 1
		.amdhsa_fp16_overflow 0
		.amdhsa_workgroup_processor_mode 1
		.amdhsa_memory_ordered 1
		.amdhsa_forward_progress 0
		.amdhsa_shared_vgpr_count 0
		.amdhsa_exception_fp_ieee_invalid_op 0
		.amdhsa_exception_fp_denorm_src 0
		.amdhsa_exception_fp_ieee_div_zero 0
		.amdhsa_exception_fp_ieee_overflow 0
		.amdhsa_exception_fp_ieee_underflow 0
		.amdhsa_exception_fp_ieee_inexact 0
		.amdhsa_exception_int_div_zero 0
	.end_amdhsa_kernel
	.section	.text._ZL15flash_attn_tileILi128ELi128ELi8ELi8ELb1EEvPKcS1_S1_S1_S1_PKiPfP15HIP_vector_typeIfLj2EEffffjfiS5_IjLj3EEiiiiiiiiiiiliiliiiiil,"axG",@progbits,_ZL15flash_attn_tileILi128ELi128ELi8ELi8ELb1EEvPKcS1_S1_S1_S1_PKiPfP15HIP_vector_typeIfLj2EEffffjfiS5_IjLj3EEiiiiiiiiiiiliiliiiiil,comdat
.Lfunc_end71:
	.size	_ZL15flash_attn_tileILi128ELi128ELi8ELi8ELb1EEvPKcS1_S1_S1_S1_PKiPfP15HIP_vector_typeIfLj2EEffffjfiS5_IjLj3EEiiiiiiiiiiiliiliiiiil, .Lfunc_end71-_ZL15flash_attn_tileILi128ELi128ELi8ELi8ELb1EEvPKcS1_S1_S1_S1_PKiPfP15HIP_vector_typeIfLj2EEffffjfiS5_IjLj3EEiiiiiiiiiiiliiliiiiil
                                        ; -- End function
	.section	.AMDGPU.csdata,"",@progbits
; Kernel info:
; codeLenInByte = 47160
; NumSgprs: 42
; NumVgprs: 201
; ScratchSize: 0
; MemoryBound: 0
; FloatMode: 240
; IeeeMode: 1
; LDSByteSize: 33792 bytes/workgroup (compile time only)
; SGPRBlocks: 5
; VGPRBlocks: 25
; NumSGPRsForWavesPerEU: 42
; NumVGPRsForWavesPerEU: 201
; Occupancy: 6
; WaveLimiterHint : 1
; COMPUTE_PGM_RSRC2:SCRATCH_EN: 0
; COMPUTE_PGM_RSRC2:USER_SGPR: 13
; COMPUTE_PGM_RSRC2:TRAP_HANDLER: 0
; COMPUTE_PGM_RSRC2:TGID_X_EN: 1
; COMPUTE_PGM_RSRC2:TGID_Y_EN: 1
; COMPUTE_PGM_RSRC2:TGID_Z_EN: 1
; COMPUTE_PGM_RSRC2:TIDIG_COMP_CNT: 1
	.section	.text._ZL15flash_attn_tileILi128ELi128ELi4ELi8ELb1EEvPKcS1_S1_S1_S1_PKiPfP15HIP_vector_typeIfLj2EEffffjfiS5_IjLj3EEiiiiiiiiiiiliiliiiiil,"axG",@progbits,_ZL15flash_attn_tileILi128ELi128ELi4ELi8ELb1EEvPKcS1_S1_S1_S1_PKiPfP15HIP_vector_typeIfLj2EEffffjfiS5_IjLj3EEiiiiiiiiiiiliiliiiiil,comdat
	.globl	_ZL15flash_attn_tileILi128ELi128ELi4ELi8ELb1EEvPKcS1_S1_S1_S1_PKiPfP15HIP_vector_typeIfLj2EEffffjfiS5_IjLj3EEiiiiiiiiiiiliiliiiiil ; -- Begin function _ZL15flash_attn_tileILi128ELi128ELi4ELi8ELb1EEvPKcS1_S1_S1_S1_PKiPfP15HIP_vector_typeIfLj2EEffffjfiS5_IjLj3EEiiiiiiiiiiiliiliiiiil
	.p2align	8
	.type	_ZL15flash_attn_tileILi128ELi128ELi4ELi8ELb1EEvPKcS1_S1_S1_S1_PKiPfP15HIP_vector_typeIfLj2EEffffjfiS5_IjLj3EEiiiiiiiiiiiliiliiiiil,@function
_ZL15flash_attn_tileILi128ELi128ELi4ELi8ELb1EEvPKcS1_S1_S1_S1_PKiPfP15HIP_vector_typeIfLj2EEffffjfiS5_IjLj3EEiiiiiiiiiiiliiliiiiil: ; @_ZL15flash_attn_tileILi128ELi128ELi4ELi8ELb1EEvPKcS1_S1_S1_S1_PKiPfP15HIP_vector_typeIfLj2EEffffjfiS5_IjLj3EEiiiiiiiiiiiliiliiiiil
; %bb.0:
	s_clause 0x1
	s_load_b128 s[4:7], s[0:1], 0x5c
	s_load_b64 s[2:3], s[0:1], 0x80
	s_mov_b64 s[34:35], 0
	s_waitcnt lgkmcnt(0)
	s_ashr_i32 s8, s7, 31
	s_delay_alu instid0(SALU_CYCLE_1) | instskip(NEXT) | instid1(SALU_CYCLE_1)
	s_lshr_b32 s8, s8, 29
	s_add_i32 s8, s7, s8
	s_delay_alu instid0(SALU_CYCLE_1) | instskip(NEXT) | instid1(SALU_CYCLE_1)
	s_ashr_i32 s8, s8, 3
	v_cvt_f32_u32_e32 v1, s8
	s_sub_i32 s10, 0, s8
	s_delay_alu instid0(VALU_DEP_1) | instskip(SKIP_2) | instid1(VALU_DEP_1)
	v_rcp_iflag_f32_e32 v1, v1
	s_waitcnt_depctr 0xfff
	v_mul_f32_e32 v1, 0x4f7ffffe, v1
	v_cvt_u32_f32_e32 v1, v1
	s_delay_alu instid0(VALU_DEP_1) | instskip(NEXT) | instid1(VALU_DEP_1)
	v_readfirstlane_b32 s9, v1
	s_mul_i32 s10, s10, s9
	s_delay_alu instid0(SALU_CYCLE_1) | instskip(NEXT) | instid1(SALU_CYCLE_1)
	s_mul_hi_u32 s10, s9, s10
	s_add_i32 s9, s9, s10
	s_delay_alu instid0(SALU_CYCLE_1) | instskip(NEXT) | instid1(SALU_CYCLE_1)
	s_mul_hi_u32 s9, s15, s9
	s_mul_i32 s10, s9, s8
	s_add_i32 s11, s9, 1
	s_sub_i32 s10, s15, s10
	s_delay_alu instid0(SALU_CYCLE_1)
	s_sub_i32 s12, s10, s8
	s_cmp_ge_u32 s10, s8
	s_cselect_b32 s9, s11, s9
	s_cselect_b32 s10, s12, s10
	s_add_i32 s11, s9, 1
	s_cmp_ge_u32 s10, s8
	s_cselect_b32 s12, s11, s9
	s_abs_i32 s8, s3
	s_abs_i32 s16, s7
	v_cvt_f32_u32_e32 v1, s8
	s_sub_i32 s10, 0, s8
	s_lshl_b32 s11, s15, 3
	s_mul_i32 s15, s12, s7
	s_xor_b32 s3, s7, s3
	v_rcp_iflag_f32_e32 v1, v1
	s_sub_i32 s15, s11, s15
	s_ashr_i32 s3, s3, 31
	s_waitcnt_depctr 0xfff
	v_mul_f32_e32 v1, 0x4f7ffffe, v1
	s_delay_alu instid0(VALU_DEP_1) | instskip(NEXT) | instid1(VALU_DEP_1)
	v_cvt_u32_f32_e32 v1, v1
	v_readfirstlane_b32 s9, v1
	s_delay_alu instid0(VALU_DEP_1) | instskip(NEXT) | instid1(SALU_CYCLE_1)
	s_mul_i32 s10, s10, s9
	s_mul_hi_u32 s10, s9, s10
	s_delay_alu instid0(SALU_CYCLE_1) | instskip(NEXT) | instid1(SALU_CYCLE_1)
	s_add_i32 s9, s9, s10
	s_mul_hi_u32 s9, s16, s9
	s_delay_alu instid0(SALU_CYCLE_1) | instskip(SKIP_2) | instid1(SALU_CYCLE_1)
	s_mul_i32 s10, s9, s8
	s_add_i32 s11, s9, 1
	s_sub_i32 s10, s16, s10
	s_sub_i32 s16, s10, s8
	s_cmp_ge_u32 s10, s8
	s_cselect_b32 s9, s11, s9
	s_cselect_b32 s10, s16, s10
	s_add_i32 s11, s9, 1
	s_cmp_ge_u32 s10, s8
	s_clause 0x1
	s_load_b512 s[16:31], s[0:1], 0x0
	s_load_b64 s[36:37], s[0:1], 0xb8
	s_cselect_b32 s8, s11, s9
	s_delay_alu instid0(SALU_CYCLE_1) | instskip(NEXT) | instid1(SALU_CYCLE_1)
	s_xor_b32 s8, s8, s3
	s_sub_i32 s38, s8, s3
	s_delay_alu instid0(SALU_CYCLE_1) | instskip(NEXT) | instid1(SALU_CYCLE_1)
	s_abs_i32 s33, s38
	v_cvt_f32_u32_e32 v1, s33
	s_delay_alu instid0(VALU_DEP_1) | instskip(SKIP_4) | instid1(VALU_DEP_1)
	v_rcp_iflag_f32_e32 v1, v1
	s_waitcnt lgkmcnt(0)
	s_cmp_eq_u64 s[22:23], 0
	s_waitcnt_depctr 0xfff
	v_mul_f32_e32 v1, 0x4f7ffffe, v1
	v_cvt_u32_f32_e32 v1, v1
	s_delay_alu instid0(VALU_DEP_1)
	v_readfirstlane_b32 s39, v1
	s_cbranch_scc1 .LBB72_2
; %bb.1:
	s_abs_i32 s3, s36
	s_abs_i32 s10, s12
	v_cvt_f32_u32_e32 v1, s3
	s_sub_i32 s9, 0, s3
	s_delay_alu instid0(VALU_DEP_1) | instskip(SKIP_2) | instid1(VALU_DEP_1)
	v_rcp_iflag_f32_e32 v1, v1
	s_waitcnt_depctr 0xfff
	v_mul_f32_e32 v1, 0x4f7ffffe, v1
	v_cvt_u32_f32_e32 v1, v1
	s_delay_alu instid0(VALU_DEP_1) | instskip(NEXT) | instid1(VALU_DEP_1)
	v_readfirstlane_b32 s8, v1
	s_mul_i32 s9, s9, s8
	s_delay_alu instid0(SALU_CYCLE_1) | instskip(NEXT) | instid1(SALU_CYCLE_1)
	s_mul_hi_u32 s9, s8, s9
	s_add_i32 s11, s8, s9
	s_load_b64 s[8:9], s[0:1], 0xc8
	s_mul_hi_u32 s11, s10, s11
	s_delay_alu instid0(SALU_CYCLE_1) | instskip(NEXT) | instid1(SALU_CYCLE_1)
	s_mul_i32 s11, s11, s3
	s_sub_i32 s10, s10, s11
	s_ashr_i32 s11, s12, 31
	s_sub_i32 s34, s10, s3
	s_cmp_ge_u32 s10, s3
	s_cselect_b32 s10, s34, s10
	s_delay_alu instid0(SALU_CYCLE_1) | instskip(SKIP_2) | instid1(SALU_CYCLE_1)
	s_sub_i32 s34, s10, s3
	s_cmp_ge_u32 s10, s3
	s_cselect_b32 s3, s34, s10
	s_xor_b32 s3, s3, s11
	s_delay_alu instid0(SALU_CYCLE_1)
	s_sub_i32 s3, s3, s11
	s_waitcnt lgkmcnt(0)
	s_mul_i32 s9, s3, s9
	s_mul_hi_u32 s10, s3, s8
	s_ashr_i32 s11, s3, 31
	s_add_i32 s9, s10, s9
	s_mul_i32 s11, s11, s8
	s_mul_i32 s3, s3, s8
	s_add_i32 s9, s9, s11
	s_add_u32 s34, s22, s3
	s_addc_u32 s35, s23, s9
.LBB72_2:
	v_bfe_u32 v4, v0, 10, 10
	s_load_b128 s[8:11], s[0:1], 0x70
	v_and_b32_e32 v12, 0x3ff, v0
	s_delay_alu instid0(VALU_DEP_2) | instskip(SKIP_2) | instid1(VALU_DEP_3)
	v_lshrrev_b32_e32 v1, 1, v4
	v_lshlrev_b32_e32 v5, 2, v4
	v_lshlrev_b32_e32 v25, 8, v4
	v_lshl_add_u32 v13, s13, 2, v1
	s_delay_alu instid0(VALU_DEP_3)
	v_or_b32_e32 v22, 1, v5
	v_or_b32_e32 v24, 3, v5
	v_or_b32_e32 v23, 2, v5
	v_and_b32_e32 v32, 4, v5
	v_mul_hi_u32 v1, s4, v13
	v_and_b32_e32 v18, 5, v22
	v_and_b32_e32 v20, 7, v24
	;; [unrolled: 1-line block ×3, first 2 shown]
	v_lshlrev_b32_e32 v22, 6, v22
	v_lshlrev_b32_e32 v23, 6, v23
	s_waitcnt lgkmcnt(0)
	s_mul_i32 s3, s12, s10
	s_mul_i32 s4, s15, s9
	v_add_nc_u32_e32 v0, v13, v1
	v_lshlrev_b32_e32 v24, 6, v24
	s_delay_alu instid0(VALU_DEP_2)
	v_lshrrev_b32_e32 v0, s5, v0
	s_ashr_i32 s5, s3, 31
	s_add_u32 s3, s16, s3
	s_addc_u32 s5, s17, s5
	s_ashr_i32 s10, s4, 31
	v_mul_lo_u32 v0, v0, s6
	s_add_u32 s3, s3, s4
	s_addc_u32 s4, s5, s10
	s_ashr_i32 s5, s8, 31
	s_ashr_i32 s10, s9, 31
	v_alignbit_b32 v2, s5, s8, 2
	v_alignbit_b32 v11, s10, s9, 2
	s_lshr_b32 s5, s5, 2
	v_sub_nc_u32_e32 v6, v13, v0
	s_lshr_b32 s8, s10, 2
	s_cmp_eq_u64 s[26:27], 0
	v_mad_u64_u32 v[9:10], null, v11, v20, 0
	s_delay_alu instid0(VALU_DEP_2) | instskip(SKIP_3) | instid1(VALU_DEP_3)
	v_mad_u64_u32 v[0:1], null, v2, v6, 0
	v_mad_u64_u32 v[2:3], null, v11, v18, 0
	;; [unrolled: 1-line block ×5, first 2 shown]
	v_mov_b32_e32 v1, v10
	v_mad_u64_u32 v[10:11], null, s8, v18, v[3:4]
	v_mad_u64_u32 v[17:18], null, s8, v19, v[8:9]
	s_delay_alu instid0(VALU_DEP_3)
	v_mad_u64_u32 v[18:19], null, s8, v20, v[1:2]
	v_mov_b32_e32 v1, v16
	v_lshlrev_b32_e32 v11, 4, v12
	v_mov_b32_e32 v3, v10
	v_mul_lo_u32 v21, s8, v32
	v_mov_b32_e32 v8, v17
	v_lshlrev_b64 v[0:1], 2, v[0:1]
	v_mov_b32_e32 v10, v18
	v_lshlrev_b64 v[2:3], 2, v[2:3]
	v_or_b32_e32 v15, v15, v21
	s_delay_alu instid0(VALU_DEP_4) | instskip(SKIP_1) | instid1(VALU_DEP_3)
	v_add_co_u32 v16, vcc_lo, s3, v0
	v_add_co_ci_u32_e32 v17, vcc_lo, s4, v1, vcc_lo
	v_lshlrev_b64 v[14:15], 2, v[14:15]
	s_delay_alu instid0(VALU_DEP_3) | instskip(NEXT) | instid1(VALU_DEP_3)
	v_add_co_u32 v11, vcc_lo, v16, v11
	v_add_co_ci_u32_e32 v19, vcc_lo, 0, v17, vcc_lo
	v_lshlrev_b64 v[0:1], 2, v[7:8]
	v_lshlrev_b64 v[7:8], 2, v[9:10]
	s_delay_alu instid0(VALU_DEP_4) | instskip(NEXT) | instid1(VALU_DEP_4)
	v_add_co_u32 v9, vcc_lo, v11, v14
	v_add_co_ci_u32_e32 v10, vcc_lo, v19, v15, vcc_lo
	v_add_co_u32 v14, vcc_lo, v11, v2
	v_add_co_ci_u32_e32 v15, vcc_lo, v19, v3, vcc_lo
	;; [unrolled: 2-line block ×3, first 2 shown]
	v_add_co_u32 v18, vcc_lo, v11, v7
	global_load_b128 v[0:3], v[9:10], off
	v_add_co_ci_u32_e32 v19, vcc_lo, v19, v8, vcc_lo
	s_clause 0x2
	global_load_b128 v[7:10], v[14:15], off
	global_load_b128 v[14:17], v[16:17], off
	;; [unrolled: 1-line block ×3, first 2 shown]
	s_load_b32 s3, s[0:1], 0x40
	v_lshlrev_b32_e32 v11, 1, v12
	s_delay_alu instid0(VALU_DEP_1)
	v_add_lshl_u32 v31, v22, v11, 2
	v_add_lshl_u32 v33, v23, v11, 2
	v_add_lshl_u32 v30, v25, v11, 2
	v_add_lshl_u32 v11, v24, v11, 2
	s_waitcnt vmcnt(3) lgkmcnt(0)
	v_fma_mixlo_f16 v22, v0, s3, 0
	v_fma_mixlo_f16 v23, v2, s3, 0
	s_waitcnt vmcnt(2)
	v_fma_mixlo_f16 v24, v7, s3, 0
	v_fma_mixlo_f16 v25, v9, s3, 0
	s_waitcnt vmcnt(1)
	;; [unrolled: 3-line block ×3, first 2 shown]
	v_fma_mixlo_f16 v28, v18, s3, 0
	v_fma_mixlo_f16 v29, v20, s3, 0
	v_fma_mixhi_f16 v23, v3, s3, 0
	v_fma_mixhi_f16 v22, v1, s3, 0
	;; [unrolled: 1-line block ×8, first 2 shown]
	ds_store_b64 v30, v[22:23] offset:26624
	ds_store_b64 v31, v[24:25] offset:26624
	;; [unrolled: 1-line block ×4, first 2 shown]
	s_waitcnt lgkmcnt(0)
	s_barrier
	buffer_gl0_inv
	s_cbranch_scc1 .LBB72_4
; %bb.3:
	s_load_b32 s2, s[0:1], 0xd0
	s_mov_b32 s3, 0
	s_waitcnt lgkmcnt(0)
	s_mul_i32 s2, s2, s12
	s_delay_alu instid0(SALU_CYCLE_1) | instskip(NEXT) | instid1(SALU_CYCLE_1)
	s_add_i32 s2, s2, s13
	s_lshl_b64 s[2:3], s[2:3], 2
	s_delay_alu instid0(SALU_CYCLE_1)
	s_add_u32 s2, s26, s2
	s_addc_u32 s3, s27, s3
	s_load_b32 s2, s[2:3], 0x0
.LBB72_4:
	v_mbcnt_lo_u32_b32 v33, -1, 0
	s_lshl_b32 s3, s14, 7
	s_waitcnt lgkmcnt(0)
	s_cmp_lt_i32 s3, s2
	s_cbranch_scc1 .LBB72_6
; %bb.5:
	v_mbcnt_lo_u32_b32 v7, -1, 0
	v_mov_b32_e32 v34, 32
	s_mov_b32 s4, 0
	s_mov_b32 s5, 0xfeffffff
	s_delay_alu instid0(VALU_DEP_2)
	v_xor_b32_e32 v69, 16, v7
	v_xor_b32_e32 v68, 8, v7
	;; [unrolled: 1-line block ×5, first 2 shown]
	s_branch .LBB72_7
.LBB72_6:
	s_mov_b32 s4, -1
                                        ; implicit-def: $sgpr5
                                        ; implicit-def: $vgpr7
                                        ; implicit-def: $vgpr34
                                        ; implicit-def: $vgpr69
                                        ; implicit-def: $vgpr68
                                        ; implicit-def: $vgpr67
                                        ; implicit-def: $vgpr66
                                        ; implicit-def: $vgpr65
.LBB72_7:
	s_delay_alu instid0(SALU_CYCLE_1) | instskip(SKIP_3) | instid1(VALU_DEP_4)
	v_cndmask_b32_e64 v0, 0, 1, s4
	v_dual_mov_b32 v3, s5 :: v_dual_mov_b32 v2, s5
	v_lshlrev_b32_e32 v31, 2, v12
	v_dual_mov_b32 v63, s4 :: v_dual_mov_b32 v64, s4
	v_cmp_ne_u32_e32 vcc_lo, 1, v0
	v_dual_mov_b32 v55, s4 :: v_dual_mov_b32 v62, s4
	v_dual_mov_b32 v1, s5 :: v_dual_mov_b32 v56, s4
	v_dual_mov_b32 v0, s5 :: v_dual_mov_b32 v61, s4
	v_dual_mov_b32 v54, s4 :: v_dual_mov_b32 v53, s4
	v_dual_mov_b32 v52, s4 :: v_dual_mov_b32 v51, s4
	v_dual_mov_b32 v50, s4 :: v_dual_mov_b32 v49, s4
	s_cbranch_vccnz .LBB72_76
; %bb.8:
	s_clause 0x1
	s_load_b128 s[8:11], s[0:1], 0x98
	s_load_b64 s[4:5], s[0:1], 0x8c
	s_sub_i32 s13, 0, s33
	s_abs_i32 s22, s15
	s_mul_i32 s13, s13, s39
	s_ashr_i32 s27, s37, 1
	s_mul_hi_u32 s13, s39, s13
	s_ashr_i32 s37, s12, 31
	s_add_i32 s39, s39, s13
	s_ashr_i32 s23, s15, 31
	s_mul_hi_u32 s36, s22, s39
	s_ashr_i32 s26, s38, 31
	s_load_b64 s[16:17], s[0:1], 0xa8
	s_mul_i32 s38, s36, s33
	v_lshrrev_b32_e32 v0, 3, v12
	v_dual_mov_b32 v34, 32 :: v_dual_and_b32 v11, 28, v31
	v_mov_b32_e32 v60, 0xfeffffff
	s_delay_alu instid0(VALU_DEP_3)
	v_dual_mov_b32 v50, 0 :: v_dual_add_nc_u32 v1, v0, v5
	s_waitcnt lgkmcnt(0)
	s_mul_i32 s39, s37, s8
	s_ashr_i32 s13, s4, 2
	s_mul_i32 s4, s12, s9
	s_mul_hi_u32 s9, s12, s8
	s_mul_i32 s8, s12, s8
	s_add_i32 s4, s9, s4
	s_ashr_i32 s10, s10, 2
	s_add_i32 s4, s4, s39
	s_add_u32 s8, s18, s8
	s_addc_u32 s4, s19, s4
	s_sub_i32 s18, s22, s38
	s_xor_b32 s9, s23, s26
	s_add_i32 s19, s36, 1
	s_sub_i32 s22, s18, s33
	s_cmp_ge_u32 s18, s33
	s_mul_i32 s17, s12, s17
	s_cselect_b32 s19, s19, s36
	s_cselect_b32 s18, s22, s18
	s_add_i32 s22, s19, 1
	s_cmp_ge_u32 s18, s33
	s_mul_i32 s37, s37, s16
	s_cselect_b32 s18, s22, s19
	s_mul_hi_u32 s19, s12, s16
	s_xor_b32 s18, s18, s9
	v_mul_lo_u32 v0, s13, v1
	s_sub_i32 s18, s18, s9
	v_lshlrev_b32_e32 v3, 2, v11
	s_mul_i32 s5, s18, s5
	s_mul_i32 s16, s12, s16
	s_ashr_i32 s9, s5, 31
	s_add_u32 s8, s8, s5
	s_addc_u32 s9, s4, s9
	s_add_i32 s4, s19, s17
	s_mul_i32 s18, s18, s11
	s_add_i32 s4, s4, s37
	s_add_u32 s5, s20, s16
	s_addc_u32 s4, s21, s4
	s_ashr_i32 s16, s18, 31
	s_add_u32 s11, s5, s18
	v_mad_u32_u24 v35, 0x90, v1, v3
	v_lshrrev_b32_e32 v3, 4, v12
	s_addc_u32 s16, s4, s16
	s_lshl_b32 s4, s13, 5
	s_delay_alu instid0(SALU_CYCLE_1) | instskip(NEXT) | instid1(VALU_DEP_2)
	v_dual_mov_b32 v49, 0 :: v_dual_add_nc_u32 v2, s4, v0
	v_lshl_add_u32 v16, v4, 1, v3
	v_mov_b32_e32 v52, 0
	v_mov_b32_e32 v56, 0
	s_load_b32 s17, s[0:1], 0x54
	v_add_nc_u32_e32 v7, s4, v2
	v_mul_lo_u32 v5, s10, v16
	v_dual_mov_b32 v55, 0 :: v_dual_and_b32 v48, 60, v31
	v_ashrrev_i32_e32 v1, 31, v0
	s_delay_alu instid0(VALU_DEP_4) | instskip(SKIP_3) | instid1(VALU_DEP_3)
	v_add_nc_u32_e32 v9, s4, v7
	s_lshl_b32 s4, s10, 4
	v_ashrrev_i32_e32 v8, 31, v7
	v_dual_mov_b32 v58, 0xfeffffff :: v_dual_lshlrev_b32 v17, 2, v48
	v_ashrrev_i32_e32 v10, 31, v9
	v_add_nc_u32_e32 v25, s4, v5
	s_delay_alu instid0(VALU_DEP_4)
	v_lshlrev_b64 v[19:20], 2, v[7:8]
	v_mov_b32_e32 v8, 0
	v_ashrrev_i32_e32 v3, 31, v2
	v_lshlrev_b64 v[21:22], 2, v[9:10]
	v_dual_mov_b32 v10, 0xfeffffff :: v_dual_add_nc_u32 v27, s4, v25
	v_mad_u64_u32 v[14:15], null, v6, s27, v[12:13]
	v_ashrrev_i32_e32 v6, 31, v5
	v_ashrrev_i32_e32 v26, 31, v25
	s_delay_alu instid0(VALU_DEP_4)
	v_add_nc_u32_e32 v29, s4, v27
	v_ashrrev_i32_e32 v28, 31, v27
	v_lshlrev_b32_e32 v4, 10, v4
	v_lshl_or_b32 v41, v16, 8, v17
	v_lshlrev_b64 v[15:16], 2, v[0:1]
	v_ashrrev_i32_e32 v30, 31, v29
	v_lshlrev_b64 v[17:18], 2, v[2:3]
	v_lshlrev_b64 v[23:24], 2, v[5:6]
	;; [unrolled: 1-line block ×5, first 2 shown]
	v_dual_mov_b32 v51, 0 :: v_dual_add_nc_u32 v36, 0x1200, v35
	v_dual_mov_b32 v54, 0 :: v_dual_add_nc_u32 v37, 0x2400, v35
	;; [unrolled: 1-line block ×3, first 2 shown]
	v_mul_u32_u24_e32 v39, 0x90, v12
	v_lshlrev_b32_e32 v43, 3, v12
	v_dual_mov_b32 v9, 0 :: v_dual_add_nc_u32 v44, 0x1000, v41
	v_add_nc_u32_e32 v45, 0x2000, v41
	v_add_nc_u32_e32 v46, 0x3000, v41
	v_lshlrev_b32_e32 v47, 2, v11
	v_dual_mov_b32 v11, 0xfeffffff :: v_dual_lshlrev_b32 v48, 2, v48
	v_dual_mov_b32 v59, 0 :: v_dual_add_nc_u32 v40, 0x6800, v4
	v_dual_mov_b32 v57, 0 :: v_dual_add_nc_u32 v42, 0x4800, v4
	s_add_u32 s4, s0, 0xd0
	s_addc_u32 s5, s1, 0
	s_mov_b32 s18, 0xbbbac73d
.LBB72_9:                               ; =>This Inner Loop Header: Depth=1
	s_mul_hi_i32 s21, s3, s13
	s_mul_i32 s20, s3, s13
	v_dual_mov_b32 v65, 0 :: v_dual_mov_b32 v74, 0
	s_lshl_b64 s[20:21], s[20:21], 2
	v_mov_b32_e32 v70, 0
	s_add_u32 s19, s8, s20
	s_addc_u32 s20, s9, s21
	v_add_co_u32 v0, vcc_lo, s19, v15
	v_add_co_ci_u32_e32 v1, vcc_lo, s20, v16, vcc_lo
	v_add_co_u32 v2, vcc_lo, s19, v17
	v_add_co_ci_u32_e32 v3, vcc_lo, s20, v18, vcc_lo
	s_delay_alu instid0(VALU_DEP_4) | instskip(NEXT) | instid1(VALU_DEP_4)
	v_add_co_u32 v0, vcc_lo, v0, v47
	v_add_co_ci_u32_e32 v1, vcc_lo, 0, v1, vcc_lo
	s_delay_alu instid0(VALU_DEP_4) | instskip(NEXT) | instid1(VALU_DEP_4)
	v_add_co_u32 v2, vcc_lo, v2, v47
	v_add_co_ci_u32_e32 v3, vcc_lo, 0, v3, vcc_lo
	v_add_co_u32 v4, vcc_lo, s19, v19
	v_add_co_ci_u32_e32 v5, vcc_lo, s20, v20, vcc_lo
	v_add_co_u32 v6, vcc_lo, s19, v21
	v_add_co_ci_u32_e32 v7, vcc_lo, s20, v22, vcc_lo
	s_delay_alu instid0(VALU_DEP_4) | instskip(NEXT) | instid1(VALU_DEP_4)
	v_add_co_u32 v4, vcc_lo, v4, v47
	v_add_co_ci_u32_e32 v5, vcc_lo, 0, v5, vcc_lo
	s_delay_alu instid0(VALU_DEP_4) | instskip(NEXT) | instid1(VALU_DEP_4)
	v_add_co_u32 v6, vcc_lo, v6, v47
	v_add_co_ci_u32_e32 v7, vcc_lo, 0, v7, vcc_lo
	s_clause 0x3
	global_load_b128 v[61:64], v[0:1], off
	global_load_b128 v[66:69], v[2:3], off
	;; [unrolled: 1-line block ×4, first 2 shown]
	v_dual_mov_b32 v71, 0 :: v_dual_mov_b32 v72, 0
	v_mov_b32_e32 v73, 0
	s_waitcnt vmcnt(3)
	ds_store_b128 v35, v[61:64]
	s_waitcnt vmcnt(2)
	ds_store_b128 v36, v[66:69]
	;; [unrolled: 2-line block ×4, first 2 shown]
	v_mov_b32_e32 v64, 0
	s_waitcnt lgkmcnt(0)
	s_barrier
	buffer_gl0_inv
	ds_load_b128 v[78:81], v39
	ds_load_b128 v[82:85], v40
	ds_load_b128 v[86:89], v40 offset:256
	ds_load_b128 v[98:101], v39 offset:4608
	;; [unrolled: 1-line block ×6, first 2 shown]
	s_waitcnt lgkmcnt(6)
	;;#ASMSTART
	v_dot2_f32_f16 v65, v78, v82, v65
	;;#ASMEND
	;;#ASMSTART
	v_dot2_f32_f16 v65, v79, v83, v65
	;;#ASMEND
	;; [unrolled: 3-line block ×4, first 2 shown]
	s_waitcnt lgkmcnt(5)
	;;#ASMSTART
	v_dot2_f32_f16 v74, v78, v86, v74
	;;#ASMEND
	;;#ASMSTART
	v_dot2_f32_f16 v74, v79, v87, v74
	;;#ASMEND
	;; [unrolled: 3-line block ×3, first 2 shown]
	v_mov_b32_e32 v61, 0
	;;#ASMSTART
	v_dot2_f32_f16 v74, v81, v89, v74
	;;#ASMEND
	s_waitcnt lgkmcnt(3)
	;;#ASMSTART
	v_dot2_f32_f16 v70, v78, v90, v70
	;;#ASMEND
	;;#ASMSTART
	v_dot2_f32_f16 v70, v79, v91, v70
	;;#ASMEND
	;; [unrolled: 3-line block ×4, first 2 shown]
	s_waitcnt lgkmcnt(2)
	;;#ASMSTART
	v_dot2_f32_f16 v61, v78, v94, v61
	;;#ASMEND
	;;#ASMSTART
	v_dot2_f32_f16 v61, v79, v95, v61
	;;#ASMEND
	v_dual_mov_b32 v66, 0 :: v_dual_mov_b32 v75, 0
	;;#ASMSTART
	v_dot2_f32_f16 v61, v80, v96, v61
	;;#ASMEND
	;;#ASMSTART
	v_dot2_f32_f16 v61, v81, v97, v61
	;;#ASMEND
	;; [unrolled: 3-line block ×9, first 2 shown]
	v_mov_b32_e32 v62, 0
	;;#ASMSTART
	v_dot2_f32_f16 v75, v101, v89, v75
	;;#ASMEND
	;;#ASMSTART
	v_dot2_f32_f16 v71, v98, v90, v71
	;;#ASMEND
	;; [unrolled: 3-line block ×7, first 2 shown]
	v_dual_mov_b32 v67, 0 :: v_dual_mov_b32 v76, 0
	;;#ASMSTART
	v_dot2_f32_f16 v62, v100, v96, v62
	;;#ASMEND
	;;#ASMSTART
	v_dot2_f32_f16 v62, v101, v97, v62
	;;#ASMEND
	s_waitcnt lgkmcnt(1)
	;;#ASMSTART
	v_dot2_f32_f16 v67, v102, v82, v67
	;;#ASMEND
	;;#ASMSTART
	v_dot2_f32_f16 v67, v103, v83, v67
	;;#ASMEND
	;; [unrolled: 3-line block ×7, first 2 shown]
	v_mov_b32_e32 v63, 0
	;;#ASMSTART
	v_dot2_f32_f16 v76, v105, v89, v76
	;;#ASMEND
	;;#ASMSTART
	v_dot2_f32_f16 v72, v102, v90, v72
	;;#ASMEND
	;;#ASMSTART
	v_dot2_f32_f16 v72, v103, v91, v72
	;;#ASMEND
	;;#ASMSTART
	v_dot2_f32_f16 v72, v104, v92, v72
	;;#ASMEND
	;;#ASMSTART
	v_dot2_f32_f16 v72, v105, v93, v72
	;;#ASMEND
	;;#ASMSTART
	v_dot2_f32_f16 v63, v102, v94, v63
	;;#ASMEND
	;;#ASMSTART
	v_dot2_f32_f16 v63, v103, v95, v63
	;;#ASMEND
	v_dual_mov_b32 v68, 0 :: v_dual_mov_b32 v77, 0
	;;#ASMSTART
	v_dot2_f32_f16 v63, v104, v96, v63
	;;#ASMEND
	;;#ASMSTART
	v_dot2_f32_f16 v63, v105, v97, v63
	;;#ASMEND
	s_waitcnt lgkmcnt(0)
	;;#ASMSTART
	v_dot2_f32_f16 v68, v106, v82, v68
	;;#ASMEND
	;;#ASMSTART
	v_dot2_f32_f16 v68, v107, v83, v68
	;;#ASMEND
	;; [unrolled: 3-line block ×16, first 2 shown]
	ds_load_b128 v[78:81], v39 offset:16
	ds_load_b128 v[82:85], v40 offset:16
	;; [unrolled: 1-line block ×8, first 2 shown]
	s_waitcnt lgkmcnt(6)
	;;#ASMSTART
	v_dot2_f32_f16 v65, v78, v82, v65
	;;#ASMEND
	;;#ASMSTART
	v_dot2_f32_f16 v65, v79, v83, v65
	;;#ASMEND
	;;#ASMSTART
	v_dot2_f32_f16 v65, v80, v84, v65
	;;#ASMEND
	;;#ASMSTART
	v_dot2_f32_f16 v65, v81, v85, v65
	;;#ASMEND
	s_waitcnt lgkmcnt(5)
	;;#ASMSTART
	v_dot2_f32_f16 v74, v78, v86, v74
	;;#ASMEND
	;;#ASMSTART
	v_dot2_f32_f16 v74, v79, v87, v74
	;;#ASMEND
	;;#ASMSTART
	v_dot2_f32_f16 v74, v80, v88, v74
	;;#ASMEND
	;;#ASMSTART
	v_dot2_f32_f16 v74, v81, v89, v74
	;;#ASMEND
	;; [unrolled: 13-line block ×5, first 2 shown]
	;;#ASMSTART
	v_dot2_f32_f16 v75, v98, v86, v75
	;;#ASMEND
	;;#ASMSTART
	v_dot2_f32_f16 v75, v99, v87, v75
	;;#ASMEND
	;; [unrolled: 3-line block ×12, first 2 shown]
	s_waitcnt lgkmcnt(1)
	;;#ASMSTART
	v_dot2_f32_f16 v67, v102, v82, v67
	;;#ASMEND
	;;#ASMSTART
	v_dot2_f32_f16 v67, v103, v83, v67
	;;#ASMEND
	;; [unrolled: 3-line block ×16, first 2 shown]
	s_waitcnt lgkmcnt(0)
	;;#ASMSTART
	v_dot2_f32_f16 v68, v106, v82, v68
	;;#ASMEND
	;;#ASMSTART
	v_dot2_f32_f16 v68, v107, v83, v68
	;;#ASMEND
	;;#ASMSTART
	v_dot2_f32_f16 v68, v108, v84, v68
	;;#ASMEND
	;;#ASMSTART
	v_dot2_f32_f16 v68, v109, v85, v68
	;;#ASMEND
	;;#ASMSTART
	v_dot2_f32_f16 v77, v106, v86, v77
	;;#ASMEND
	;;#ASMSTART
	v_dot2_f32_f16 v77, v107, v87, v77
	;;#ASMEND
	;;#ASMSTART
	v_dot2_f32_f16 v77, v108, v88, v77
	;;#ASMEND
	;;#ASMSTART
	v_dot2_f32_f16 v77, v109, v89, v77
	;;#ASMEND
	;;#ASMSTART
	v_dot2_f32_f16 v73, v106, v90, v73
	;;#ASMEND
	;;#ASMSTART
	v_dot2_f32_f16 v73, v107, v91, v73
	;;#ASMEND
	;;#ASMSTART
	v_dot2_f32_f16 v73, v108, v92, v73
	;;#ASMEND
	;;#ASMSTART
	v_dot2_f32_f16 v73, v109, v93, v73
	;;#ASMEND
	;;#ASMSTART
	v_dot2_f32_f16 v64, v106, v94, v64
	;;#ASMEND
	;;#ASMSTART
	v_dot2_f32_f16 v64, v107, v95, v64
	;;#ASMEND
	;;#ASMSTART
	v_dot2_f32_f16 v64, v108, v96, v64
	;;#ASMEND
	;;#ASMSTART
	v_dot2_f32_f16 v64, v109, v97, v64
	;;#ASMEND
	ds_load_b128 v[78:81], v39 offset:32
	ds_load_b128 v[82:85], v40 offset:32
	ds_load_b128 v[86:89], v40 offset:288
	ds_load_b128 v[90:93], v40 offset:544
	ds_load_b128 v[94:97], v40 offset:800
	ds_load_b128 v[98:101], v39 offset:4640
	ds_load_b128 v[102:105], v39 offset:9248
	ds_load_b128 v[106:109], v39 offset:13856
	s_waitcnt lgkmcnt(6)
	;;#ASMSTART
	v_dot2_f32_f16 v65, v78, v82, v65
	;;#ASMEND
	;;#ASMSTART
	v_dot2_f32_f16 v65, v79, v83, v65
	;;#ASMEND
	;;#ASMSTART
	v_dot2_f32_f16 v65, v80, v84, v65
	;;#ASMEND
	;;#ASMSTART
	v_dot2_f32_f16 v65, v81, v85, v65
	;;#ASMEND
	s_waitcnt lgkmcnt(5)
	;;#ASMSTART
	v_dot2_f32_f16 v74, v78, v86, v74
	;;#ASMEND
	;;#ASMSTART
	v_dot2_f32_f16 v74, v79, v87, v74
	;;#ASMEND
	;;#ASMSTART
	v_dot2_f32_f16 v74, v80, v88, v74
	;;#ASMEND
	;;#ASMSTART
	v_dot2_f32_f16 v74, v81, v89, v74
	;;#ASMEND
	;; [unrolled: 13-line block ×5, first 2 shown]
	;;#ASMSTART
	v_dot2_f32_f16 v75, v98, v86, v75
	;;#ASMEND
	;;#ASMSTART
	v_dot2_f32_f16 v75, v99, v87, v75
	;;#ASMEND
	;; [unrolled: 3-line block ×12, first 2 shown]
	s_waitcnt lgkmcnt(1)
	;;#ASMSTART
	v_dot2_f32_f16 v67, v102, v82, v67
	;;#ASMEND
	;;#ASMSTART
	v_dot2_f32_f16 v67, v103, v83, v67
	;;#ASMEND
	;; [unrolled: 3-line block ×16, first 2 shown]
	s_waitcnt lgkmcnt(0)
	;;#ASMSTART
	v_dot2_f32_f16 v68, v106, v82, v68
	;;#ASMEND
	;;#ASMSTART
	v_dot2_f32_f16 v68, v107, v83, v68
	;;#ASMEND
	;; [unrolled: 3-line block ×16, first 2 shown]
	ds_load_b128 v[78:81], v39 offset:48
	ds_load_b128 v[82:85], v40 offset:48
	;; [unrolled: 1-line block ×8, first 2 shown]
	s_waitcnt lgkmcnt(6)
	;;#ASMSTART
	v_dot2_f32_f16 v65, v78, v82, v65
	;;#ASMEND
	;;#ASMSTART
	v_dot2_f32_f16 v65, v79, v83, v65
	;;#ASMEND
	;;#ASMSTART
	v_dot2_f32_f16 v65, v80, v84, v65
	;;#ASMEND
	;;#ASMSTART
	v_dot2_f32_f16 v65, v81, v85, v65
	;;#ASMEND
	s_waitcnt lgkmcnt(5)
	;;#ASMSTART
	v_dot2_f32_f16 v74, v78, v86, v74
	;;#ASMEND
	;;#ASMSTART
	v_dot2_f32_f16 v74, v79, v87, v74
	;;#ASMEND
	;;#ASMSTART
	v_dot2_f32_f16 v74, v80, v88, v74
	;;#ASMEND
	;;#ASMSTART
	v_dot2_f32_f16 v74, v81, v89, v74
	;;#ASMEND
	;; [unrolled: 13-line block ×5, first 2 shown]
	;;#ASMSTART
	v_dot2_f32_f16 v75, v98, v86, v75
	;;#ASMEND
	;;#ASMSTART
	v_dot2_f32_f16 v75, v99, v87, v75
	;;#ASMEND
	;; [unrolled: 3-line block ×12, first 2 shown]
	s_waitcnt lgkmcnt(1)
	;;#ASMSTART
	v_dot2_f32_f16 v67, v102, v82, v67
	;;#ASMEND
	;;#ASMSTART
	v_dot2_f32_f16 v67, v103, v83, v67
	;;#ASMEND
	;; [unrolled: 3-line block ×16, first 2 shown]
	s_waitcnt lgkmcnt(0)
	;;#ASMSTART
	v_dot2_f32_f16 v68, v106, v82, v68
	;;#ASMEND
	;;#ASMSTART
	v_dot2_f32_f16 v68, v107, v83, v68
	;;#ASMEND
	;; [unrolled: 3-line block ×16, first 2 shown]
	ds_load_b128 v[78:81], v39 offset:64
	ds_load_b128 v[82:85], v40 offset:64
	;; [unrolled: 1-line block ×8, first 2 shown]
	s_waitcnt lgkmcnt(6)
	;;#ASMSTART
	v_dot2_f32_f16 v65, v78, v82, v65
	;;#ASMEND
	;;#ASMSTART
	v_dot2_f32_f16 v65, v79, v83, v65
	;;#ASMEND
	;;#ASMSTART
	v_dot2_f32_f16 v65, v80, v84, v65
	;;#ASMEND
	;;#ASMSTART
	v_dot2_f32_f16 v65, v81, v85, v65
	;;#ASMEND
	s_waitcnt lgkmcnt(5)
	;;#ASMSTART
	v_dot2_f32_f16 v74, v78, v86, v74
	;;#ASMEND
	;;#ASMSTART
	v_dot2_f32_f16 v74, v79, v87, v74
	;;#ASMEND
	;;#ASMSTART
	v_dot2_f32_f16 v74, v80, v88, v74
	;;#ASMEND
	;;#ASMSTART
	v_dot2_f32_f16 v74, v81, v89, v74
	;;#ASMEND
	s_waitcnt lgkmcnt(4)
	;;#ASMSTART
	v_dot2_f32_f16 v70, v78, v90, v70
	;;#ASMEND
	;;#ASMSTART
	v_dot2_f32_f16 v70, v79, v91, v70
	;;#ASMEND
	;;#ASMSTART
	v_dot2_f32_f16 v70, v80, v92, v70
	;;#ASMEND
	;;#ASMSTART
	v_dot2_f32_f16 v70, v81, v93, v70
	;;#ASMEND
	s_waitcnt lgkmcnt(3)
	;;#ASMSTART
	v_dot2_f32_f16 v61, v78, v94, v61
	;;#ASMEND
	;;#ASMSTART
	v_dot2_f32_f16 v61, v79, v95, v61
	;;#ASMEND
	;;#ASMSTART
	v_dot2_f32_f16 v61, v80, v96, v61
	;;#ASMEND
	;;#ASMSTART
	v_dot2_f32_f16 v61, v81, v97, v61
	;;#ASMEND
	s_waitcnt lgkmcnt(2)
	;;#ASMSTART
	v_dot2_f32_f16 v66, v98, v82, v66
	;;#ASMEND
	;;#ASMSTART
	v_dot2_f32_f16 v66, v99, v83, v66
	;;#ASMEND
	;;#ASMSTART
	v_dot2_f32_f16 v66, v100, v84, v66
	;;#ASMEND
	;;#ASMSTART
	v_dot2_f32_f16 v66, v101, v85, v66
	;;#ASMEND
	;;#ASMSTART
	v_dot2_f32_f16 v75, v98, v86, v75
	;;#ASMEND
	;;#ASMSTART
	v_dot2_f32_f16 v75, v99, v87, v75
	;;#ASMEND
	;;#ASMSTART
	v_dot2_f32_f16 v75, v100, v88, v75
	;;#ASMEND
	;;#ASMSTART
	v_dot2_f32_f16 v75, v101, v89, v75
	;;#ASMEND
	;;#ASMSTART
	v_dot2_f32_f16 v71, v98, v90, v71
	;;#ASMEND
	;;#ASMSTART
	v_dot2_f32_f16 v71, v99, v91, v71
	;;#ASMEND
	;;#ASMSTART
	v_dot2_f32_f16 v71, v100, v92, v71
	;;#ASMEND
	;;#ASMSTART
	v_dot2_f32_f16 v71, v101, v93, v71
	;;#ASMEND
	;;#ASMSTART
	v_dot2_f32_f16 v62, v98, v94, v62
	;;#ASMEND
	;;#ASMSTART
	v_dot2_f32_f16 v62, v99, v95, v62
	;;#ASMEND
	;;#ASMSTART
	v_dot2_f32_f16 v62, v100, v96, v62
	;;#ASMEND
	;;#ASMSTART
	v_dot2_f32_f16 v62, v101, v97, v62
	;;#ASMEND
	s_waitcnt lgkmcnt(1)
	;;#ASMSTART
	v_dot2_f32_f16 v67, v102, v82, v67
	;;#ASMEND
	;;#ASMSTART
	v_dot2_f32_f16 v67, v103, v83, v67
	;;#ASMEND
	;; [unrolled: 3-line block ×16, first 2 shown]
	s_waitcnt lgkmcnt(0)
	;;#ASMSTART
	v_dot2_f32_f16 v68, v106, v82, v68
	;;#ASMEND
	;;#ASMSTART
	v_dot2_f32_f16 v68, v107, v83, v68
	;;#ASMEND
	;; [unrolled: 3-line block ×16, first 2 shown]
	ds_load_b128 v[78:81], v39 offset:80
	ds_load_b128 v[82:85], v40 offset:80
	;; [unrolled: 1-line block ×8, first 2 shown]
	s_waitcnt lgkmcnt(6)
	;;#ASMSTART
	v_dot2_f32_f16 v65, v78, v82, v65
	;;#ASMEND
	;;#ASMSTART
	v_dot2_f32_f16 v65, v79, v83, v65
	;;#ASMEND
	;;#ASMSTART
	v_dot2_f32_f16 v65, v80, v84, v65
	;;#ASMEND
	;;#ASMSTART
	v_dot2_f32_f16 v65, v81, v85, v65
	;;#ASMEND
	s_waitcnt lgkmcnt(5)
	;;#ASMSTART
	v_dot2_f32_f16 v74, v78, v86, v74
	;;#ASMEND
	;;#ASMSTART
	v_dot2_f32_f16 v74, v79, v87, v74
	;;#ASMEND
	;;#ASMSTART
	v_dot2_f32_f16 v74, v80, v88, v74
	;;#ASMEND
	;;#ASMSTART
	v_dot2_f32_f16 v74, v81, v89, v74
	;;#ASMEND
	s_waitcnt lgkmcnt(4)
	;;#ASMSTART
	v_dot2_f32_f16 v70, v78, v90, v70
	;;#ASMEND
	;;#ASMSTART
	v_dot2_f32_f16 v70, v79, v91, v70
	;;#ASMEND
	;;#ASMSTART
	v_dot2_f32_f16 v70, v80, v92, v70
	;;#ASMEND
	;;#ASMSTART
	v_dot2_f32_f16 v70, v81, v93, v70
	;;#ASMEND
	s_waitcnt lgkmcnt(3)
	;;#ASMSTART
	v_dot2_f32_f16 v61, v78, v94, v61
	;;#ASMEND
	;;#ASMSTART
	v_dot2_f32_f16 v61, v79, v95, v61
	;;#ASMEND
	;;#ASMSTART
	v_dot2_f32_f16 v61, v80, v96, v61
	;;#ASMEND
	;;#ASMSTART
	v_dot2_f32_f16 v61, v81, v97, v61
	;;#ASMEND
	s_waitcnt lgkmcnt(2)
	;;#ASMSTART
	v_dot2_f32_f16 v66, v98, v82, v66
	;;#ASMEND
	;;#ASMSTART
	v_dot2_f32_f16 v66, v99, v83, v66
	;;#ASMEND
	;;#ASMSTART
	v_dot2_f32_f16 v66, v100, v84, v66
	;;#ASMEND
	;;#ASMSTART
	v_dot2_f32_f16 v66, v101, v85, v66
	;;#ASMEND
	;;#ASMSTART
	v_dot2_f32_f16 v75, v98, v86, v75
	;;#ASMEND
	;;#ASMSTART
	v_dot2_f32_f16 v75, v99, v87, v75
	;;#ASMEND
	;; [unrolled: 3-line block ×12, first 2 shown]
	s_waitcnt lgkmcnt(1)
	;;#ASMSTART
	v_dot2_f32_f16 v67, v102, v82, v67
	;;#ASMEND
	;;#ASMSTART
	v_dot2_f32_f16 v67, v103, v83, v67
	;;#ASMEND
	;; [unrolled: 3-line block ×16, first 2 shown]
	s_waitcnt lgkmcnt(0)
	;;#ASMSTART
	v_dot2_f32_f16 v68, v106, v82, v68
	;;#ASMEND
	;;#ASMSTART
	v_dot2_f32_f16 v68, v107, v83, v68
	;;#ASMEND
	;; [unrolled: 3-line block ×16, first 2 shown]
	ds_load_b128 v[78:81], v39 offset:96
	ds_load_b128 v[82:85], v40 offset:96
	;; [unrolled: 1-line block ×8, first 2 shown]
	s_waitcnt lgkmcnt(6)
	;;#ASMSTART
	v_dot2_f32_f16 v65, v78, v82, v65
	;;#ASMEND
	;;#ASMSTART
	v_dot2_f32_f16 v65, v79, v83, v65
	;;#ASMEND
	;;#ASMSTART
	v_dot2_f32_f16 v65, v80, v84, v65
	;;#ASMEND
	;;#ASMSTART
	v_dot2_f32_f16 v65, v81, v85, v65
	;;#ASMEND
	s_waitcnt lgkmcnt(5)
	;;#ASMSTART
	v_dot2_f32_f16 v74, v78, v86, v74
	;;#ASMEND
	;;#ASMSTART
	v_dot2_f32_f16 v74, v79, v87, v74
	;;#ASMEND
	;;#ASMSTART
	v_dot2_f32_f16 v74, v80, v88, v74
	;;#ASMEND
	;;#ASMSTART
	v_dot2_f32_f16 v74, v81, v89, v74
	;;#ASMEND
	;; [unrolled: 13-line block ×5, first 2 shown]
	;;#ASMSTART
	v_dot2_f32_f16 v75, v98, v86, v75
	;;#ASMEND
	;;#ASMSTART
	v_dot2_f32_f16 v75, v99, v87, v75
	;;#ASMEND
	;; [unrolled: 3-line block ×12, first 2 shown]
	s_waitcnt lgkmcnt(1)
	;;#ASMSTART
	v_dot2_f32_f16 v67, v102, v82, v67
	;;#ASMEND
	;;#ASMSTART
	v_dot2_f32_f16 v67, v103, v83, v67
	;;#ASMEND
	;; [unrolled: 3-line block ×16, first 2 shown]
	s_waitcnt lgkmcnt(0)
	;;#ASMSTART
	v_dot2_f32_f16 v68, v106, v82, v68
	;;#ASMEND
	;;#ASMSTART
	v_dot2_f32_f16 v68, v107, v83, v68
	;;#ASMEND
	;; [unrolled: 3-line block ×16, first 2 shown]
	ds_load_b128 v[78:81], v39 offset:112
	ds_load_b128 v[82:85], v40 offset:112
	;; [unrolled: 1-line block ×8, first 2 shown]
	s_waitcnt lgkmcnt(6)
	;;#ASMSTART
	v_dot2_f32_f16 v65, v78, v82, v65
	;;#ASMEND
	;;#ASMSTART
	v_dot2_f32_f16 v65, v79, v83, v65
	;;#ASMEND
	;;#ASMSTART
	v_dot2_f32_f16 v65, v80, v84, v65
	;;#ASMEND
	;;#ASMSTART
	v_dot2_f32_f16 v65, v81, v85, v65
	;;#ASMEND
	s_waitcnt lgkmcnt(5)
	;;#ASMSTART
	v_dot2_f32_f16 v74, v78, v86, v74
	;;#ASMEND
	;;#ASMSTART
	v_dot2_f32_f16 v74, v79, v87, v74
	;;#ASMEND
	;;#ASMSTART
	v_dot2_f32_f16 v74, v80, v88, v74
	;;#ASMEND
	;;#ASMSTART
	v_dot2_f32_f16 v74, v81, v89, v74
	;;#ASMEND
	;; [unrolled: 13-line block ×5, first 2 shown]
	;;#ASMSTART
	v_dot2_f32_f16 v75, v98, v86, v75
	;;#ASMEND
	;;#ASMSTART
	v_dot2_f32_f16 v75, v99, v87, v75
	;;#ASMEND
	;; [unrolled: 3-line block ×12, first 2 shown]
	s_waitcnt lgkmcnt(1)
	;;#ASMSTART
	v_dot2_f32_f16 v67, v102, v82, v67
	;;#ASMEND
	;;#ASMSTART
	v_dot2_f32_f16 v67, v103, v83, v67
	;;#ASMEND
	;; [unrolled: 3-line block ×16, first 2 shown]
	s_waitcnt lgkmcnt(0)
	;;#ASMSTART
	v_dot2_f32_f16 v68, v106, v82, v68
	;;#ASMEND
	;;#ASMSTART
	v_dot2_f32_f16 v68, v107, v83, v68
	;;#ASMEND
	;;#ASMSTART
	v_dot2_f32_f16 v68, v108, v84, v68
	;;#ASMEND
	;;#ASMSTART
	v_dot2_f32_f16 v68, v109, v85, v68
	;;#ASMEND
	;;#ASMSTART
	v_dot2_f32_f16 v77, v106, v86, v77
	;;#ASMEND
	;;#ASMSTART
	v_dot2_f32_f16 v77, v107, v87, v77
	;;#ASMEND
	;;#ASMSTART
	v_dot2_f32_f16 v77, v108, v88, v77
	;;#ASMEND
	;;#ASMSTART
	v_dot2_f32_f16 v77, v109, v89, v77
	;;#ASMEND
	;;#ASMSTART
	v_dot2_f32_f16 v73, v106, v90, v73
	;;#ASMEND
	;;#ASMSTART
	v_dot2_f32_f16 v73, v107, v91, v73
	;;#ASMEND
	;;#ASMSTART
	v_dot2_f32_f16 v73, v108, v92, v73
	;;#ASMEND
	;;#ASMSTART
	v_dot2_f32_f16 v73, v109, v93, v73
	;;#ASMEND
	;;#ASMSTART
	v_dot2_f32_f16 v64, v106, v94, v64
	;;#ASMEND
	;;#ASMSTART
	v_dot2_f32_f16 v64, v107, v95, v64
	;;#ASMEND
	;;#ASMSTART
	v_dot2_f32_f16 v64, v108, v96, v64
	;;#ASMEND
	;;#ASMSTART
	v_dot2_f32_f16 v64, v109, v97, v64
	;;#ASMEND
	s_barrier
	buffer_gl0_inv
	s_clause 0x3
	global_load_b128 v[78:81], v[0:1], off offset:128
	global_load_b128 v[0:3], v[2:3], off offset:128
	;; [unrolled: 1-line block ×4, first 2 shown]
	s_waitcnt vmcnt(3)
	ds_store_b128 v35, v[78:81]
	s_waitcnt vmcnt(2)
	ds_store_b128 v36, v[0:3]
	s_waitcnt vmcnt(1)
	ds_store_b128 v37, v[82:85]
	s_waitcnt vmcnt(0)
	ds_store_b128 v38, v[4:7]
	s_waitcnt lgkmcnt(0)
	s_barrier
	buffer_gl0_inv
	ds_load_b128 v[0:3], v39
	ds_load_b128 v[4:7], v40 offset:128
	ds_load_b128 v[78:81], v40 offset:384
	;; [unrolled: 1-line block ×7, first 2 shown]
	s_waitcnt lgkmcnt(6)
	;;#ASMSTART
	v_dot2_f32_f16 v65, v0, v4, v65
	;;#ASMEND
	;;#ASMSTART
	v_dot2_f32_f16 v65, v1, v5, v65
	;;#ASMEND
	;;#ASMSTART
	v_dot2_f32_f16 v65, v2, v6, v65
	;;#ASMEND
	;;#ASMSTART
	v_dot2_f32_f16 v65, v3, v7, v65
	;;#ASMEND
	s_waitcnt lgkmcnt(5)
	;;#ASMSTART
	v_dot2_f32_f16 v74, v0, v78, v74
	;;#ASMEND
	;;#ASMSTART
	v_dot2_f32_f16 v74, v1, v79, v74
	;;#ASMEND
	;;#ASMSTART
	v_dot2_f32_f16 v74, v2, v80, v74
	;;#ASMEND
	;;#ASMSTART
	v_dot2_f32_f16 v74, v3, v81, v74
	;;#ASMEND
	;; [unrolled: 13-line block ×5, first 2 shown]
	;;#ASMSTART
	v_dot2_f32_f16 v75, v90, v78, v75
	;;#ASMEND
	;;#ASMSTART
	v_dot2_f32_f16 v75, v91, v79, v75
	;;#ASMEND
	;; [unrolled: 3-line block ×12, first 2 shown]
	s_waitcnt lgkmcnt(1)
	;;#ASMSTART
	v_dot2_f32_f16 v67, v94, v4, v67
	;;#ASMEND
	;;#ASMSTART
	v_dot2_f32_f16 v67, v95, v5, v67
	;;#ASMEND
	;; [unrolled: 3-line block ×16, first 2 shown]
	s_waitcnt lgkmcnt(0)
	;;#ASMSTART
	v_dot2_f32_f16 v68, v98, v4, v68
	;;#ASMEND
	;;#ASMSTART
	v_dot2_f32_f16 v68, v99, v5, v68
	;;#ASMEND
	;; [unrolled: 3-line block ×16, first 2 shown]
	ds_load_b128 v[0:3], v39 offset:16
	ds_load_b128 v[4:7], v40 offset:144
	;; [unrolled: 1-line block ×8, first 2 shown]
	s_waitcnt lgkmcnt(6)
	;;#ASMSTART
	v_dot2_f32_f16 v65, v0, v4, v65
	;;#ASMEND
	;;#ASMSTART
	v_dot2_f32_f16 v65, v1, v5, v65
	;;#ASMEND
	;;#ASMSTART
	v_dot2_f32_f16 v65, v2, v6, v65
	;;#ASMEND
	;;#ASMSTART
	v_dot2_f32_f16 v65, v3, v7, v65
	;;#ASMEND
	s_waitcnt lgkmcnt(5)
	;;#ASMSTART
	v_dot2_f32_f16 v74, v0, v78, v74
	;;#ASMEND
	;;#ASMSTART
	v_dot2_f32_f16 v74, v1, v79, v74
	;;#ASMEND
	;;#ASMSTART
	v_dot2_f32_f16 v74, v2, v80, v74
	;;#ASMEND
	;;#ASMSTART
	v_dot2_f32_f16 v74, v3, v81, v74
	;;#ASMEND
	;; [unrolled: 13-line block ×5, first 2 shown]
	;;#ASMSTART
	v_dot2_f32_f16 v75, v90, v78, v75
	;;#ASMEND
	;;#ASMSTART
	v_dot2_f32_f16 v75, v91, v79, v75
	;;#ASMEND
	;; [unrolled: 3-line block ×12, first 2 shown]
	s_waitcnt lgkmcnt(1)
	;;#ASMSTART
	v_dot2_f32_f16 v67, v94, v4, v67
	;;#ASMEND
	;;#ASMSTART
	v_dot2_f32_f16 v67, v95, v5, v67
	;;#ASMEND
	;; [unrolled: 3-line block ×16, first 2 shown]
	s_waitcnt lgkmcnt(0)
	;;#ASMSTART
	v_dot2_f32_f16 v68, v98, v4, v68
	;;#ASMEND
	;;#ASMSTART
	v_dot2_f32_f16 v68, v99, v5, v68
	;;#ASMEND
	;; [unrolled: 3-line block ×16, first 2 shown]
	ds_load_b128 v[0:3], v39 offset:32
	ds_load_b128 v[4:7], v40 offset:160
	;; [unrolled: 1-line block ×8, first 2 shown]
	s_waitcnt lgkmcnt(6)
	;;#ASMSTART
	v_dot2_f32_f16 v65, v0, v4, v65
	;;#ASMEND
	;;#ASMSTART
	v_dot2_f32_f16 v65, v1, v5, v65
	;;#ASMEND
	;;#ASMSTART
	v_dot2_f32_f16 v65, v2, v6, v65
	;;#ASMEND
	;;#ASMSTART
	v_dot2_f32_f16 v65, v3, v7, v65
	;;#ASMEND
	s_waitcnt lgkmcnt(5)
	;;#ASMSTART
	v_dot2_f32_f16 v74, v0, v78, v74
	;;#ASMEND
	;;#ASMSTART
	v_dot2_f32_f16 v74, v1, v79, v74
	;;#ASMEND
	;;#ASMSTART
	v_dot2_f32_f16 v74, v2, v80, v74
	;;#ASMEND
	;;#ASMSTART
	v_dot2_f32_f16 v74, v3, v81, v74
	;;#ASMEND
	;; [unrolled: 13-line block ×5, first 2 shown]
	;;#ASMSTART
	v_dot2_f32_f16 v75, v90, v78, v75
	;;#ASMEND
	;;#ASMSTART
	v_dot2_f32_f16 v75, v91, v79, v75
	;;#ASMEND
	;; [unrolled: 3-line block ×12, first 2 shown]
	s_waitcnt lgkmcnt(1)
	;;#ASMSTART
	v_dot2_f32_f16 v67, v94, v4, v67
	;;#ASMEND
	;;#ASMSTART
	v_dot2_f32_f16 v67, v95, v5, v67
	;;#ASMEND
	;; [unrolled: 3-line block ×16, first 2 shown]
	s_waitcnt lgkmcnt(0)
	;;#ASMSTART
	v_dot2_f32_f16 v68, v98, v4, v68
	;;#ASMEND
	;;#ASMSTART
	v_dot2_f32_f16 v68, v99, v5, v68
	;;#ASMEND
	;;#ASMSTART
	v_dot2_f32_f16 v68, v100, v6, v68
	;;#ASMEND
	;;#ASMSTART
	v_dot2_f32_f16 v68, v101, v7, v68
	;;#ASMEND
	;;#ASMSTART
	v_dot2_f32_f16 v77, v98, v78, v77
	;;#ASMEND
	;;#ASMSTART
	v_dot2_f32_f16 v77, v99, v79, v77
	;;#ASMEND
	;;#ASMSTART
	v_dot2_f32_f16 v77, v100, v80, v77
	;;#ASMEND
	;;#ASMSTART
	v_dot2_f32_f16 v77, v101, v81, v77
	;;#ASMEND
	;;#ASMSTART
	v_dot2_f32_f16 v73, v98, v82, v73
	;;#ASMEND
	;;#ASMSTART
	v_dot2_f32_f16 v73, v99, v83, v73
	;;#ASMEND
	;;#ASMSTART
	v_dot2_f32_f16 v73, v100, v84, v73
	;;#ASMEND
	;;#ASMSTART
	v_dot2_f32_f16 v73, v101, v85, v73
	;;#ASMEND
	;;#ASMSTART
	v_dot2_f32_f16 v64, v98, v86, v64
	;;#ASMEND
	;;#ASMSTART
	v_dot2_f32_f16 v64, v99, v87, v64
	;;#ASMEND
	;;#ASMSTART
	v_dot2_f32_f16 v64, v100, v88, v64
	;;#ASMEND
	;;#ASMSTART
	v_dot2_f32_f16 v64, v101, v89, v64
	;;#ASMEND
	ds_load_b128 v[0:3], v39 offset:48
	ds_load_b128 v[4:7], v40 offset:176
	;; [unrolled: 1-line block ×8, first 2 shown]
	s_waitcnt lgkmcnt(6)
	;;#ASMSTART
	v_dot2_f32_f16 v65, v0, v4, v65
	;;#ASMEND
	;;#ASMSTART
	v_dot2_f32_f16 v65, v1, v5, v65
	;;#ASMEND
	;;#ASMSTART
	v_dot2_f32_f16 v65, v2, v6, v65
	;;#ASMEND
	;;#ASMSTART
	v_dot2_f32_f16 v65, v3, v7, v65
	;;#ASMEND
	s_waitcnt lgkmcnt(5)
	;;#ASMSTART
	v_dot2_f32_f16 v74, v0, v78, v74
	;;#ASMEND
	;;#ASMSTART
	v_dot2_f32_f16 v74, v1, v79, v74
	;;#ASMEND
	;;#ASMSTART
	v_dot2_f32_f16 v74, v2, v80, v74
	;;#ASMEND
	;;#ASMSTART
	v_dot2_f32_f16 v74, v3, v81, v74
	;;#ASMEND
	;; [unrolled: 13-line block ×5, first 2 shown]
	;;#ASMSTART
	v_dot2_f32_f16 v75, v90, v78, v75
	;;#ASMEND
	;;#ASMSTART
	v_dot2_f32_f16 v75, v91, v79, v75
	;;#ASMEND
	;;#ASMSTART
	v_dot2_f32_f16 v75, v92, v80, v75
	;;#ASMEND
	;;#ASMSTART
	v_dot2_f32_f16 v75, v93, v81, v75
	;;#ASMEND
	;;#ASMSTART
	v_dot2_f32_f16 v71, v90, v82, v71
	;;#ASMEND
	;;#ASMSTART
	v_dot2_f32_f16 v71, v91, v83, v71
	;;#ASMEND
	;;#ASMSTART
	v_dot2_f32_f16 v71, v92, v84, v71
	;;#ASMEND
	;;#ASMSTART
	v_dot2_f32_f16 v71, v93, v85, v71
	;;#ASMEND
	;;#ASMSTART
	v_dot2_f32_f16 v62, v90, v86, v62
	;;#ASMEND
	;;#ASMSTART
	v_dot2_f32_f16 v62, v91, v87, v62
	;;#ASMEND
	;;#ASMSTART
	v_dot2_f32_f16 v62, v92, v88, v62
	;;#ASMEND
	;;#ASMSTART
	v_dot2_f32_f16 v62, v93, v89, v62
	;;#ASMEND
	s_waitcnt lgkmcnt(1)
	;;#ASMSTART
	v_dot2_f32_f16 v67, v94, v4, v67
	;;#ASMEND
	;;#ASMSTART
	v_dot2_f32_f16 v67, v95, v5, v67
	;;#ASMEND
	;; [unrolled: 3-line block ×16, first 2 shown]
	s_waitcnt lgkmcnt(0)
	;;#ASMSTART
	v_dot2_f32_f16 v68, v98, v4, v68
	;;#ASMEND
	;;#ASMSTART
	v_dot2_f32_f16 v68, v99, v5, v68
	;;#ASMEND
	;; [unrolled: 3-line block ×16, first 2 shown]
	ds_load_b128 v[0:3], v39 offset:64
	ds_load_b128 v[4:7], v40 offset:192
	;; [unrolled: 1-line block ×8, first 2 shown]
	s_waitcnt lgkmcnt(6)
	;;#ASMSTART
	v_dot2_f32_f16 v65, v0, v4, v65
	;;#ASMEND
	;;#ASMSTART
	v_dot2_f32_f16 v65, v1, v5, v65
	;;#ASMEND
	;;#ASMSTART
	v_dot2_f32_f16 v65, v2, v6, v65
	;;#ASMEND
	;;#ASMSTART
	v_dot2_f32_f16 v65, v3, v7, v65
	;;#ASMEND
	s_waitcnt lgkmcnt(5)
	;;#ASMSTART
	v_dot2_f32_f16 v74, v0, v78, v74
	;;#ASMEND
	;;#ASMSTART
	v_dot2_f32_f16 v74, v1, v79, v74
	;;#ASMEND
	;;#ASMSTART
	v_dot2_f32_f16 v74, v2, v80, v74
	;;#ASMEND
	;;#ASMSTART
	v_dot2_f32_f16 v74, v3, v81, v74
	;;#ASMEND
	;; [unrolled: 13-line block ×5, first 2 shown]
	;;#ASMSTART
	v_dot2_f32_f16 v75, v90, v78, v75
	;;#ASMEND
	;;#ASMSTART
	v_dot2_f32_f16 v75, v91, v79, v75
	;;#ASMEND
	;; [unrolled: 3-line block ×12, first 2 shown]
	s_waitcnt lgkmcnt(1)
	;;#ASMSTART
	v_dot2_f32_f16 v67, v94, v4, v67
	;;#ASMEND
	;;#ASMSTART
	v_dot2_f32_f16 v67, v95, v5, v67
	;;#ASMEND
	;; [unrolled: 3-line block ×16, first 2 shown]
	s_waitcnt lgkmcnt(0)
	;;#ASMSTART
	v_dot2_f32_f16 v68, v98, v4, v68
	;;#ASMEND
	;;#ASMSTART
	v_dot2_f32_f16 v68, v99, v5, v68
	;;#ASMEND
	;; [unrolled: 3-line block ×16, first 2 shown]
	ds_load_b128 v[0:3], v39 offset:80
	ds_load_b128 v[4:7], v40 offset:208
	ds_load_b128 v[78:81], v40 offset:464
	ds_load_b128 v[82:85], v40 offset:720
	ds_load_b128 v[86:89], v40 offset:976
	ds_load_b128 v[90:93], v39 offset:4688
	ds_load_b128 v[94:97], v39 offset:9296
	ds_load_b128 v[98:101], v39 offset:13904
	s_waitcnt lgkmcnt(6)
	;;#ASMSTART
	v_dot2_f32_f16 v65, v0, v4, v65
	;;#ASMEND
	;;#ASMSTART
	v_dot2_f32_f16 v65, v1, v5, v65
	;;#ASMEND
	;;#ASMSTART
	v_dot2_f32_f16 v65, v2, v6, v65
	;;#ASMEND
	;;#ASMSTART
	v_dot2_f32_f16 v65, v3, v7, v65
	;;#ASMEND
	s_waitcnt lgkmcnt(5)
	;;#ASMSTART
	v_dot2_f32_f16 v74, v0, v78, v74
	;;#ASMEND
	;;#ASMSTART
	v_dot2_f32_f16 v74, v1, v79, v74
	;;#ASMEND
	;;#ASMSTART
	v_dot2_f32_f16 v74, v2, v80, v74
	;;#ASMEND
	;;#ASMSTART
	v_dot2_f32_f16 v74, v3, v81, v74
	;;#ASMEND
	;; [unrolled: 13-line block ×5, first 2 shown]
	;;#ASMSTART
	v_dot2_f32_f16 v75, v90, v78, v75
	;;#ASMEND
	;;#ASMSTART
	v_dot2_f32_f16 v75, v91, v79, v75
	;;#ASMEND
	;;#ASMSTART
	v_dot2_f32_f16 v75, v92, v80, v75
	;;#ASMEND
	;;#ASMSTART
	v_dot2_f32_f16 v75, v93, v81, v75
	;;#ASMEND
	;;#ASMSTART
	v_dot2_f32_f16 v71, v90, v82, v71
	;;#ASMEND
	;;#ASMSTART
	v_dot2_f32_f16 v71, v91, v83, v71
	;;#ASMEND
	;;#ASMSTART
	v_dot2_f32_f16 v71, v92, v84, v71
	;;#ASMEND
	;;#ASMSTART
	v_dot2_f32_f16 v71, v93, v85, v71
	;;#ASMEND
	;;#ASMSTART
	v_dot2_f32_f16 v62, v90, v86, v62
	;;#ASMEND
	;;#ASMSTART
	v_dot2_f32_f16 v62, v91, v87, v62
	;;#ASMEND
	;;#ASMSTART
	v_dot2_f32_f16 v62, v92, v88, v62
	;;#ASMEND
	;;#ASMSTART
	v_dot2_f32_f16 v62, v93, v89, v62
	;;#ASMEND
	s_waitcnt lgkmcnt(1)
	;;#ASMSTART
	v_dot2_f32_f16 v67, v94, v4, v67
	;;#ASMEND
	;;#ASMSTART
	v_dot2_f32_f16 v67, v95, v5, v67
	;;#ASMEND
	;; [unrolled: 3-line block ×16, first 2 shown]
	s_waitcnt lgkmcnt(0)
	;;#ASMSTART
	v_dot2_f32_f16 v68, v98, v4, v68
	;;#ASMEND
	;;#ASMSTART
	v_dot2_f32_f16 v68, v99, v5, v68
	;;#ASMEND
	;; [unrolled: 3-line block ×16, first 2 shown]
	ds_load_b128 v[0:3], v39 offset:96
	ds_load_b128 v[4:7], v40 offset:224
	;; [unrolled: 1-line block ×8, first 2 shown]
	s_waitcnt lgkmcnt(6)
	;;#ASMSTART
	v_dot2_f32_f16 v65, v0, v4, v65
	;;#ASMEND
	;;#ASMSTART
	v_dot2_f32_f16 v65, v1, v5, v65
	;;#ASMEND
	;;#ASMSTART
	v_dot2_f32_f16 v65, v2, v6, v65
	;;#ASMEND
	;;#ASMSTART
	v_dot2_f32_f16 v65, v3, v7, v65
	;;#ASMEND
	s_waitcnt lgkmcnt(5)
	;;#ASMSTART
	v_dot2_f32_f16 v74, v0, v78, v74
	;;#ASMEND
	;;#ASMSTART
	v_dot2_f32_f16 v74, v1, v79, v74
	;;#ASMEND
	;;#ASMSTART
	v_dot2_f32_f16 v74, v2, v80, v74
	;;#ASMEND
	;;#ASMSTART
	v_dot2_f32_f16 v74, v3, v81, v74
	;;#ASMEND
	;; [unrolled: 13-line block ×5, first 2 shown]
	;;#ASMSTART
	v_dot2_f32_f16 v75, v90, v78, v75
	;;#ASMEND
	;;#ASMSTART
	v_dot2_f32_f16 v75, v91, v79, v75
	;;#ASMEND
	;; [unrolled: 3-line block ×12, first 2 shown]
	s_waitcnt lgkmcnt(1)
	;;#ASMSTART
	v_dot2_f32_f16 v67, v94, v4, v67
	;;#ASMEND
	;;#ASMSTART
	v_dot2_f32_f16 v67, v95, v5, v67
	;;#ASMEND
	;; [unrolled: 3-line block ×16, first 2 shown]
	s_waitcnt lgkmcnt(0)
	;;#ASMSTART
	v_dot2_f32_f16 v68, v98, v4, v68
	;;#ASMEND
	;;#ASMSTART
	v_dot2_f32_f16 v68, v99, v5, v68
	;;#ASMEND
	;; [unrolled: 3-line block ×16, first 2 shown]
	ds_load_b128 v[0:3], v39 offset:112
	ds_load_b128 v[4:7], v40 offset:240
	;; [unrolled: 1-line block ×8, first 2 shown]
	s_waitcnt lgkmcnt(6)
	;;#ASMSTART
	v_dot2_f32_f16 v65, v0, v4, v65
	;;#ASMEND
	;;#ASMSTART
	v_dot2_f32_f16 v65, v1, v5, v65
	;;#ASMEND
	;;#ASMSTART
	v_dot2_f32_f16 v65, v2, v6, v65
	;;#ASMEND
	;;#ASMSTART
	v_dot2_f32_f16 v65, v3, v7, v65
	;;#ASMEND
	s_waitcnt lgkmcnt(5)
	;;#ASMSTART
	v_dot2_f32_f16 v74, v0, v78, v74
	;;#ASMEND
	;;#ASMSTART
	v_dot2_f32_f16 v74, v1, v79, v74
	;;#ASMEND
	;;#ASMSTART
	v_dot2_f32_f16 v74, v2, v80, v74
	;;#ASMEND
	;;#ASMSTART
	v_dot2_f32_f16 v74, v3, v81, v74
	;;#ASMEND
	;; [unrolled: 13-line block ×5, first 2 shown]
	;;#ASMSTART
	v_dot2_f32_f16 v75, v90, v78, v75
	;;#ASMEND
	;;#ASMSTART
	v_dot2_f32_f16 v75, v91, v79, v75
	;;#ASMEND
	;; [unrolled: 3-line block ×12, first 2 shown]
	s_waitcnt lgkmcnt(1)
	;;#ASMSTART
	v_dot2_f32_f16 v67, v94, v4, v67
	;;#ASMEND
	;;#ASMSTART
	v_dot2_f32_f16 v67, v95, v5, v67
	;;#ASMEND
	;; [unrolled: 3-line block ×16, first 2 shown]
	s_waitcnt lgkmcnt(0)
	;;#ASMSTART
	v_dot2_f32_f16 v68, v98, v4, v68
	;;#ASMEND
	;;#ASMSTART
	v_dot2_f32_f16 v68, v99, v5, v68
	;;#ASMEND
	;; [unrolled: 3-line block ×9, first 2 shown]
	v_cmp_ngt_f32_e64 s19, 0x3f200000, |v65|
	;;#ASMSTART
	v_dot2_f32_f16 v73, v99, v83, v73
	;;#ASMEND
	;;#ASMSTART
	v_dot2_f32_f16 v73, v100, v84, v73
	;;#ASMEND
	;; [unrolled: 3-line block ×7, first 2 shown]
                                        ; implicit-def: $vgpr2
	s_and_saveexec_b32 s20, s19
	s_delay_alu instid0(SALU_CYCLE_1)
	s_xor_b32 s19, exec_lo, s20
	s_cbranch_execz .LBB72_11
; %bb.10:                               ;   in Loop: Header=BB72_9 Depth=1
	v_add_f32_e64 v0, |v65|, |v65|
	s_delay_alu instid0(VALU_DEP_1) | instskip(SKIP_1) | instid1(VALU_DEP_2)
	v_mul_f32_e32 v1, 0x3fb8aa3b, v0
	v_cmp_ngt_f32_e32 vcc_lo, 0xc2ce8ed0, v0
	v_rndne_f32_e32 v2, v1
	v_fma_f32 v3, 0x3fb8aa3b, v0, -v1
	s_delay_alu instid0(VALU_DEP_2) | instskip(NEXT) | instid1(VALU_DEP_2)
	v_sub_f32_e32 v1, v1, v2
	v_fmac_f32_e32 v3, 0x32a5705f, v0
	v_cvt_i32_f32_e32 v2, v2
	s_delay_alu instid0(VALU_DEP_2) | instskip(NEXT) | instid1(VALU_DEP_1)
	v_add_f32_e32 v1, v1, v3
	v_exp_f32_e32 v1, v1
	s_waitcnt_depctr 0xfff
	v_ldexp_f32 v1, v1, v2
	s_delay_alu instid0(VALU_DEP_1) | instskip(SKIP_1) | instid1(VALU_DEP_2)
	v_cndmask_b32_e32 v1, 0, v1, vcc_lo
	v_cmp_nlt_f32_e32 vcc_lo, 0x42b17218, v0
	v_cndmask_b32_e32 v0, 0x7f800000, v1, vcc_lo
	s_delay_alu instid0(VALU_DEP_1) | instskip(NEXT) | instid1(VALU_DEP_1)
	v_add_f32_e32 v0, 1.0, v0
	v_rcp_f32_e32 v0, v0
	s_waitcnt_depctr 0xfff
	v_fma_f32 v2, v0, -2.0, 1.0
.LBB72_11:                              ;   in Loop: Header=BB72_9 Depth=1
	s_and_not1_saveexec_b32 s19, s19
; %bb.12:                               ;   in Loop: Header=BB72_9 Depth=1
	v_mul_f32_e32 v0, v65, v65
	s_delay_alu instid0(VALU_DEP_1) | instskip(NEXT) | instid1(VALU_DEP_1)
	v_fmaak_f32 v1, s18, v0, 0x3ca908c9
	v_fmaak_f32 v1, v0, v1, 0xbd5c1c4e
	s_delay_alu instid0(VALU_DEP_1) | instskip(NEXT) | instid1(VALU_DEP_1)
	v_fmaak_f32 v1, v0, v1, 0x3e088382
	v_fmaak_f32 v1, v0, v1, 0xbeaaaa99
	s_delay_alu instid0(VALU_DEP_1) | instskip(NEXT) | instid1(VALU_DEP_1)
	v_mul_f32_e64 v1, |v65|, v1
	v_fma_f32 v2, v0, v1, |v65|
; %bb.13:                               ;   in Loop: Header=BB72_9 Depth=1
	s_or_b32 exec_lo, exec_lo, s19
	v_add_nc_u32_e32 v0, s3, v14
	v_cmp_ngt_f32_e64 s19, 0x3f200000, |v66|
                                        ; implicit-def: $vgpr3
	s_delay_alu instid0(VALU_DEP_2) | instskip(NEXT) | instid1(VALU_DEP_1)
	v_ashrrev_i32_e32 v1, 31, v0
	v_lshlrev_b64 v[0:1], 1, v[0:1]
	s_delay_alu instid0(VALU_DEP_1) | instskip(NEXT) | instid1(VALU_DEP_2)
	v_add_co_u32 v0, vcc_lo, s34, v0
	v_add_co_ci_u32_e32 v1, vcc_lo, s35, v1, vcc_lo
	flat_load_u16 v4, v[0:1]
	s_and_saveexec_b32 s20, s19
	s_delay_alu instid0(SALU_CYCLE_1)
	s_xor_b32 s19, exec_lo, s20
	s_cbranch_execz .LBB72_15
; %bb.14:                               ;   in Loop: Header=BB72_9 Depth=1
	v_add_f32_e64 v3, |v66|, |v66|
	s_delay_alu instid0(VALU_DEP_1) | instskip(SKIP_1) | instid1(VALU_DEP_2)
	v_mul_f32_e32 v5, 0x3fb8aa3b, v3
	v_cmp_ngt_f32_e32 vcc_lo, 0xc2ce8ed0, v3
	v_rndne_f32_e32 v6, v5
	v_fma_f32 v7, 0x3fb8aa3b, v3, -v5
	s_delay_alu instid0(VALU_DEP_2) | instskip(NEXT) | instid1(VALU_DEP_2)
	v_sub_f32_e32 v5, v5, v6
	v_fmac_f32_e32 v7, 0x32a5705f, v3
	v_cvt_i32_f32_e32 v6, v6
	s_delay_alu instid0(VALU_DEP_2) | instskip(NEXT) | instid1(VALU_DEP_1)
	v_add_f32_e32 v5, v5, v7
	v_exp_f32_e32 v5, v5
	s_waitcnt_depctr 0xfff
	v_ldexp_f32 v5, v5, v6
	s_delay_alu instid0(VALU_DEP_1) | instskip(SKIP_1) | instid1(VALU_DEP_2)
	v_cndmask_b32_e32 v5, 0, v5, vcc_lo
	v_cmp_nlt_f32_e32 vcc_lo, 0x42b17218, v3
	v_cndmask_b32_e32 v3, 0x7f800000, v5, vcc_lo
	s_delay_alu instid0(VALU_DEP_1) | instskip(NEXT) | instid1(VALU_DEP_1)
	v_add_f32_e32 v3, 1.0, v3
	v_rcp_f32_e32 v3, v3
	s_waitcnt_depctr 0xfff
	v_fma_f32 v3, v3, -2.0, 1.0
.LBB72_15:                              ;   in Loop: Header=BB72_9 Depth=1
	s_and_not1_saveexec_b32 s19, s19
; %bb.16:                               ;   in Loop: Header=BB72_9 Depth=1
	v_mul_f32_e32 v3, v66, v66
	s_delay_alu instid0(VALU_DEP_1) | instskip(NEXT) | instid1(VALU_DEP_1)
	v_fmaak_f32 v5, s18, v3, 0x3ca908c9
	v_fmaak_f32 v5, v3, v5, 0xbd5c1c4e
	s_delay_alu instid0(VALU_DEP_1) | instskip(NEXT) | instid1(VALU_DEP_1)
	v_fmaak_f32 v5, v3, v5, 0x3e088382
	v_fmaak_f32 v5, v3, v5, 0xbeaaaa99
	s_delay_alu instid0(VALU_DEP_1) | instskip(NEXT) | instid1(VALU_DEP_1)
	v_mul_f32_e64 v5, |v66|, v5
	v_fma_f32 v3, v3, v5, |v66|
; %bb.17:                               ;   in Loop: Header=BB72_9 Depth=1
	s_or_b32 exec_lo, exec_lo, s19
	flat_load_u16 v5, v[0:1] offset:64
	v_cmp_ngt_f32_e64 s19, 0x3f200000, |v67|
                                        ; implicit-def: $vgpr6
	s_delay_alu instid0(VALU_DEP_1) | instskip(NEXT) | instid1(SALU_CYCLE_1)
	s_and_saveexec_b32 s20, s19
	s_xor_b32 s19, exec_lo, s20
	s_cbranch_execz .LBB72_19
; %bb.18:                               ;   in Loop: Header=BB72_9 Depth=1
	v_add_f32_e64 v6, |v67|, |v67|
	s_delay_alu instid0(VALU_DEP_1) | instskip(SKIP_1) | instid1(VALU_DEP_2)
	v_mul_f32_e32 v7, 0x3fb8aa3b, v6
	v_cmp_ngt_f32_e32 vcc_lo, 0xc2ce8ed0, v6
	v_rndne_f32_e32 v69, v7
	v_fma_f32 v78, 0x3fb8aa3b, v6, -v7
	s_delay_alu instid0(VALU_DEP_1) | instskip(SKIP_1) | instid1(VALU_DEP_2)
	v_dual_sub_f32 v7, v7, v69 :: v_dual_fmac_f32 v78, 0x32a5705f, v6
	v_cvt_i32_f32_e32 v69, v69
	v_add_f32_e32 v7, v7, v78
	s_delay_alu instid0(VALU_DEP_1) | instskip(SKIP_2) | instid1(VALU_DEP_1)
	v_exp_f32_e32 v7, v7
	s_waitcnt_depctr 0xfff
	v_ldexp_f32 v7, v7, v69
	v_cndmask_b32_e32 v7, 0, v7, vcc_lo
	v_cmp_nlt_f32_e32 vcc_lo, 0x42b17218, v6
	s_delay_alu instid0(VALU_DEP_2) | instskip(NEXT) | instid1(VALU_DEP_1)
	v_cndmask_b32_e32 v6, 0x7f800000, v7, vcc_lo
	v_add_f32_e32 v6, 1.0, v6
	s_delay_alu instid0(VALU_DEP_1)
	v_rcp_f32_e32 v6, v6
	s_waitcnt_depctr 0xfff
	v_fma_f32 v6, v6, -2.0, 1.0
.LBB72_19:                              ;   in Loop: Header=BB72_9 Depth=1
	s_and_not1_saveexec_b32 s19, s19
; %bb.20:                               ;   in Loop: Header=BB72_9 Depth=1
	v_mul_f32_e32 v6, v67, v67
	s_delay_alu instid0(VALU_DEP_1) | instskip(NEXT) | instid1(VALU_DEP_1)
	v_fmaak_f32 v7, s18, v6, 0x3ca908c9
	v_fmaak_f32 v7, v6, v7, 0xbd5c1c4e
	s_delay_alu instid0(VALU_DEP_1) | instskip(NEXT) | instid1(VALU_DEP_1)
	v_fmaak_f32 v7, v6, v7, 0x3e088382
	v_fmaak_f32 v7, v6, v7, 0xbeaaaa99
	s_delay_alu instid0(VALU_DEP_1) | instskip(NEXT) | instid1(VALU_DEP_1)
	v_mul_f32_e64 v7, |v67|, v7
	v_fma_f32 v6, v6, v7, |v67|
; %bb.21:                               ;   in Loop: Header=BB72_9 Depth=1
	s_or_b32 exec_lo, exec_lo, s19
	flat_load_u16 v84, v[0:1] offset:128
	v_cmp_ngt_f32_e64 s19, 0x3f200000, |v68|
                                        ; implicit-def: $vgpr7
	s_delay_alu instid0(VALU_DEP_1) | instskip(NEXT) | instid1(SALU_CYCLE_1)
	s_and_saveexec_b32 s20, s19
	s_xor_b32 s19, exec_lo, s20
	s_cbranch_execz .LBB72_23
; %bb.22:                               ;   in Loop: Header=BB72_9 Depth=1
	v_add_f32_e64 v7, |v68|, |v68|
	s_delay_alu instid0(VALU_DEP_1) | instskip(SKIP_1) | instid1(VALU_DEP_2)
	v_mul_f32_e32 v69, 0x3fb8aa3b, v7
	v_cmp_ngt_f32_e32 vcc_lo, 0xc2ce8ed0, v7
	v_rndne_f32_e32 v78, v69
	v_fma_f32 v79, 0x3fb8aa3b, v7, -v69
	s_delay_alu instid0(VALU_DEP_2) | instskip(NEXT) | instid1(VALU_DEP_2)
	v_sub_f32_e32 v69, v69, v78
	v_fmac_f32_e32 v79, 0x32a5705f, v7
	v_cvt_i32_f32_e32 v78, v78
	s_delay_alu instid0(VALU_DEP_2) | instskip(NEXT) | instid1(VALU_DEP_1)
	v_add_f32_e32 v69, v69, v79
	v_exp_f32_e32 v69, v69
	s_waitcnt_depctr 0xfff
	v_ldexp_f32 v69, v69, v78
	s_delay_alu instid0(VALU_DEP_1) | instskip(SKIP_1) | instid1(VALU_DEP_2)
	v_cndmask_b32_e32 v69, 0, v69, vcc_lo
	v_cmp_nlt_f32_e32 vcc_lo, 0x42b17218, v7
	v_cndmask_b32_e32 v7, 0x7f800000, v69, vcc_lo
	s_delay_alu instid0(VALU_DEP_1) | instskip(NEXT) | instid1(VALU_DEP_1)
	v_add_f32_e32 v7, 1.0, v7
	v_rcp_f32_e32 v7, v7
	s_waitcnt_depctr 0xfff
	v_fma_f32 v7, v7, -2.0, 1.0
.LBB72_23:                              ;   in Loop: Header=BB72_9 Depth=1
	s_and_not1_saveexec_b32 s19, s19
; %bb.24:                               ;   in Loop: Header=BB72_9 Depth=1
	v_mul_f32_e32 v7, v68, v68
	s_delay_alu instid0(VALU_DEP_1) | instskip(NEXT) | instid1(VALU_DEP_1)
	v_fmaak_f32 v69, s18, v7, 0x3ca908c9
	v_fmaak_f32 v69, v7, v69, 0xbd5c1c4e
	s_delay_alu instid0(VALU_DEP_1) | instskip(NEXT) | instid1(VALU_DEP_1)
	v_fmaak_f32 v69, v7, v69, 0x3e088382
	v_fmaak_f32 v69, v7, v69, 0xbeaaaa99
	s_delay_alu instid0(VALU_DEP_1) | instskip(NEXT) | instid1(VALU_DEP_1)
	v_mul_f32_e64 v69, |v68|, v69
	v_fma_f32 v7, v7, v69, |v68|
; %bb.25:                               ;   in Loop: Header=BB72_9 Depth=1
	s_or_b32 exec_lo, exec_lo, s19
	flat_load_u16 v85, v[0:1] offset:192
	v_bfi_b32 v0, 0x7fffffff, v2, v65
	v_bfi_b32 v1, 0x7fffffff, v3, v66
	;; [unrolled: 1-line block ×3, first 2 shown]
	v_xor_b32_e32 v69, 16, v33
	v_xor_b32_e32 v68, 8, v33
	s_waitcnt vmcnt(3) lgkmcnt(3)
	v_fma_mix_f32 v78, v0, s17, v4 op_sel_hi:[0,0,1]
	s_waitcnt vmcnt(2) lgkmcnt(2)
	v_fma_mix_f32 v79, v1, s17, v5 op_sel_hi:[0,0,1]
	v_bfi_b32 v0, 0x7fffffff, v6, v67
	v_cmp_gt_i32_e32 vcc_lo, 32, v69
	v_xor_b32_e32 v67, 4, v33
	v_xor_b32_e32 v66, 2, v33
	v_add_f32_e32 v3, 0x40051340, v79
	s_waitcnt vmcnt(1) lgkmcnt(1)
	v_fma_mix_f32 v80, v0, s17, v84 op_sel_hi:[0,0,1]
	v_dual_cndmask_b32 v0, v33, v69 :: v_dual_add_f32 v1, 0x40051340, v78
	v_cmp_gt_i32_e32 vcc_lo, 32, v68
	v_xor_b32_e32 v65, 1, v33
	v_cmp_ngt_f32_e64 s19, 0x3f200000, |v74|
	s_delay_alu instid0(VALU_DEP_4) | instskip(SKIP_4) | instid1(VALU_DEP_3)
	v_lshlrev_b32_e32 v0, 2, v0
	s_waitcnt vmcnt(0) lgkmcnt(0)
	v_fma_mix_f32 v81, v2, s17, v85 op_sel_hi:[0,0,1]
	v_add_f32_e32 v2, 0x40051340, v80
	v_max3_f32 v1, v60, v1, v3
	v_add_f32_e32 v3, 0x40051340, v81
	s_delay_alu instid0(VALU_DEP_1)
	v_max3_f32 v1, v1, v2, v3
	ds_bpermute_b32 v2, v0, v1
	v_cndmask_b32_e32 v3, v33, v68, vcc_lo
	v_cmp_gt_i32_e32 vcc_lo, 32, v67
	s_waitcnt lgkmcnt(0)
	v_max_f32_e32 v2, v2, v2
	s_delay_alu instid0(VALU_DEP_1) | instskip(SKIP_4) | instid1(VALU_DEP_2)
	v_dual_max_f32 v1, v1, v2 :: v_dual_lshlrev_b32 v82, 2, v3
	ds_bpermute_b32 v2, v82, v1
	v_cndmask_b32_e32 v3, v33, v67, vcc_lo
	v_cmp_gt_i32_e32 vcc_lo, 32, v66
	s_waitcnt lgkmcnt(0)
	v_dual_max_f32 v2, v2, v2 :: v_dual_lshlrev_b32 v7, 2, v3
	v_cndmask_b32_e32 v3, v33, v66, vcc_lo
	v_cmp_gt_i32_e32 vcc_lo, 32, v65
	s_delay_alu instid0(VALU_DEP_3) | instskip(NEXT) | instid1(VALU_DEP_3)
	v_max_f32_e32 v1, v1, v2
	v_dual_cndmask_b32 v6, v33, v65 :: v_dual_lshlrev_b32 v3, 2, v3
	ds_bpermute_b32 v2, v7, v1
	s_waitcnt lgkmcnt(0)
	v_max_f32_e32 v2, v2, v2
	s_delay_alu instid0(VALU_DEP_1) | instskip(SKIP_4) | instid1(VALU_DEP_2)
	v_max_f32_e32 v1, v1, v2
	ds_bpermute_b32 v2, v3, v1
	s_waitcnt lgkmcnt(0)
	v_max_f32_e32 v83, v2, v2
	v_lshlrev_b32_e32 v2, 2, v6
                                        ; implicit-def: $vgpr6
	v_max_f32_e32 v1, v1, v83
	ds_bpermute_b32 v86, v2, v1
	s_and_saveexec_b32 s20, s19
	s_delay_alu instid0(SALU_CYCLE_1)
	s_xor_b32 s19, exec_lo, s20
	s_cbranch_execz .LBB72_27
; %bb.26:                               ;   in Loop: Header=BB72_9 Depth=1
	v_add_f32_e64 v6, |v74|, |v74|
	s_delay_alu instid0(VALU_DEP_1) | instskip(SKIP_1) | instid1(VALU_DEP_2)
	v_mul_f32_e32 v83, 0x3fb8aa3b, v6
	v_cmp_ngt_f32_e32 vcc_lo, 0xc2ce8ed0, v6
	v_rndne_f32_e32 v87, v83
	v_fma_f32 v88, 0x3fb8aa3b, v6, -v83
	s_delay_alu instid0(VALU_DEP_1) | instskip(SKIP_1) | instid1(VALU_DEP_2)
	v_dual_sub_f32 v83, v83, v87 :: v_dual_fmac_f32 v88, 0x32a5705f, v6
	v_cvt_i32_f32_e32 v87, v87
	v_add_f32_e32 v83, v83, v88
	s_delay_alu instid0(VALU_DEP_1) | instskip(SKIP_2) | instid1(VALU_DEP_1)
	v_exp_f32_e32 v83, v83
	s_waitcnt_depctr 0xfff
	v_ldexp_f32 v83, v83, v87
	v_cndmask_b32_e32 v83, 0, v83, vcc_lo
	v_cmp_nlt_f32_e32 vcc_lo, 0x42b17218, v6
	s_delay_alu instid0(VALU_DEP_2) | instskip(NEXT) | instid1(VALU_DEP_1)
	v_cndmask_b32_e32 v6, 0x7f800000, v83, vcc_lo
	v_add_f32_e32 v6, 1.0, v6
	s_delay_alu instid0(VALU_DEP_1)
	v_rcp_f32_e32 v6, v6
	s_waitcnt_depctr 0xfff
	v_fma_f32 v6, v6, -2.0, 1.0
.LBB72_27:                              ;   in Loop: Header=BB72_9 Depth=1
	s_and_not1_saveexec_b32 s19, s19
; %bb.28:                               ;   in Loop: Header=BB72_9 Depth=1
	v_mul_f32_e32 v6, v74, v74
	s_delay_alu instid0(VALU_DEP_1) | instskip(NEXT) | instid1(VALU_DEP_1)
	v_fmaak_f32 v83, s18, v6, 0x3ca908c9
	v_fmaak_f32 v83, v6, v83, 0xbd5c1c4e
	s_delay_alu instid0(VALU_DEP_1) | instskip(NEXT) | instid1(VALU_DEP_1)
	v_fmaak_f32 v83, v6, v83, 0x3e088382
	v_fmaak_f32 v83, v6, v83, 0xbeaaaa99
	s_delay_alu instid0(VALU_DEP_1) | instskip(NEXT) | instid1(VALU_DEP_1)
	v_mul_f32_e64 v83, |v74|, v83
	v_fma_f32 v6, v6, v83, |v74|
; %bb.29:                               ;   in Loop: Header=BB72_9 Depth=1
	s_or_b32 exec_lo, exec_lo, s19
	v_cmp_ngt_f32_e64 s19, 0x3f200000, |v75|
                                        ; implicit-def: $vgpr87
	s_delay_alu instid0(VALU_DEP_1) | instskip(NEXT) | instid1(SALU_CYCLE_1)
	s_and_saveexec_b32 s20, s19
	s_xor_b32 s19, exec_lo, s20
	s_cbranch_execz .LBB72_31
; %bb.30:                               ;   in Loop: Header=BB72_9 Depth=1
	v_add_f32_e64 v83, |v75|, |v75|
	s_delay_alu instid0(VALU_DEP_1) | instskip(SKIP_1) | instid1(VALU_DEP_2)
	v_mul_f32_e32 v87, 0x3fb8aa3b, v83
	v_cmp_ngt_f32_e32 vcc_lo, 0xc2ce8ed0, v83
	v_rndne_f32_e32 v88, v87
	v_fma_f32 v89, 0x3fb8aa3b, v83, -v87
	s_delay_alu instid0(VALU_DEP_2) | instskip(NEXT) | instid1(VALU_DEP_2)
	v_sub_f32_e32 v87, v87, v88
	v_fmac_f32_e32 v89, 0x32a5705f, v83
	v_cvt_i32_f32_e32 v88, v88
	s_delay_alu instid0(VALU_DEP_2) | instskip(NEXT) | instid1(VALU_DEP_1)
	v_add_f32_e32 v87, v87, v89
	v_exp_f32_e32 v87, v87
	s_waitcnt_depctr 0xfff
	v_ldexp_f32 v87, v87, v88
	s_delay_alu instid0(VALU_DEP_1) | instskip(SKIP_1) | instid1(VALU_DEP_2)
	v_cndmask_b32_e32 v87, 0, v87, vcc_lo
	v_cmp_nlt_f32_e32 vcc_lo, 0x42b17218, v83
	v_cndmask_b32_e32 v83, 0x7f800000, v87, vcc_lo
	s_delay_alu instid0(VALU_DEP_1) | instskip(NEXT) | instid1(VALU_DEP_1)
	v_add_f32_e32 v83, 1.0, v83
	v_rcp_f32_e32 v83, v83
	s_waitcnt_depctr 0xfff
	v_fma_f32 v87, v83, -2.0, 1.0
.LBB72_31:                              ;   in Loop: Header=BB72_9 Depth=1
	s_and_not1_saveexec_b32 s19, s19
; %bb.32:                               ;   in Loop: Header=BB72_9 Depth=1
	v_mul_f32_e32 v83, v75, v75
	s_delay_alu instid0(VALU_DEP_1) | instskip(NEXT) | instid1(VALU_DEP_1)
	v_fmaak_f32 v87, s18, v83, 0x3ca908c9
	v_fmaak_f32 v87, v83, v87, 0xbd5c1c4e
	s_delay_alu instid0(VALU_DEP_1) | instskip(NEXT) | instid1(VALU_DEP_1)
	v_fmaak_f32 v87, v83, v87, 0x3e088382
	v_fmaak_f32 v87, v83, v87, 0xbeaaaa99
	s_delay_alu instid0(VALU_DEP_1) | instskip(NEXT) | instid1(VALU_DEP_1)
	v_mul_f32_e64 v87, |v75|, v87
	v_fma_f32 v87, v83, v87, |v75|
; %bb.33:                               ;   in Loop: Header=BB72_9 Depth=1
	s_or_b32 exec_lo, exec_lo, s19
	v_cmp_ngt_f32_e64 s19, 0x3f200000, |v76|
                                        ; implicit-def: $vgpr88
	s_delay_alu instid0(VALU_DEP_1) | instskip(NEXT) | instid1(SALU_CYCLE_1)
	s_and_saveexec_b32 s20, s19
	s_xor_b32 s19, exec_lo, s20
	s_cbranch_execz .LBB72_35
; %bb.34:                               ;   in Loop: Header=BB72_9 Depth=1
	v_add_f32_e64 v83, |v76|, |v76|
	s_delay_alu instid0(VALU_DEP_1) | instskip(SKIP_1) | instid1(VALU_DEP_2)
	v_mul_f32_e32 v88, 0x3fb8aa3b, v83
	v_cmp_ngt_f32_e32 vcc_lo, 0xc2ce8ed0, v83
	v_rndne_f32_e32 v89, v88
	v_fma_f32 v90, 0x3fb8aa3b, v83, -v88
	s_delay_alu instid0(VALU_DEP_2) | instskip(NEXT) | instid1(VALU_DEP_2)
	v_sub_f32_e32 v88, v88, v89
	v_fmac_f32_e32 v90, 0x32a5705f, v83
	v_cvt_i32_f32_e32 v89, v89
	s_delay_alu instid0(VALU_DEP_2) | instskip(NEXT) | instid1(VALU_DEP_1)
	v_add_f32_e32 v88, v88, v90
	v_exp_f32_e32 v88, v88
	s_waitcnt_depctr 0xfff
	v_ldexp_f32 v88, v88, v89
	s_delay_alu instid0(VALU_DEP_1) | instskip(SKIP_1) | instid1(VALU_DEP_2)
	v_cndmask_b32_e32 v88, 0, v88, vcc_lo
	v_cmp_nlt_f32_e32 vcc_lo, 0x42b17218, v83
	v_cndmask_b32_e32 v83, 0x7f800000, v88, vcc_lo
	s_delay_alu instid0(VALU_DEP_1) | instskip(NEXT) | instid1(VALU_DEP_1)
	v_add_f32_e32 v83, 1.0, v83
	v_rcp_f32_e32 v83, v83
	s_waitcnt_depctr 0xfff
	v_fma_f32 v88, v83, -2.0, 1.0
.LBB72_35:                              ;   in Loop: Header=BB72_9 Depth=1
	s_and_not1_saveexec_b32 s19, s19
; %bb.36:                               ;   in Loop: Header=BB72_9 Depth=1
	v_mul_f32_e32 v83, v76, v76
	s_delay_alu instid0(VALU_DEP_1) | instskip(NEXT) | instid1(VALU_DEP_1)
	v_fmaak_f32 v88, s18, v83, 0x3ca908c9
	v_fmaak_f32 v88, v83, v88, 0xbd5c1c4e
	s_delay_alu instid0(VALU_DEP_1) | instskip(NEXT) | instid1(VALU_DEP_1)
	v_fmaak_f32 v88, v83, v88, 0x3e088382
	v_fmaak_f32 v88, v83, v88, 0xbeaaaa99
	s_delay_alu instid0(VALU_DEP_1) | instskip(NEXT) | instid1(VALU_DEP_1)
	v_mul_f32_e64 v88, |v76|, v88
	v_fma_f32 v88, v83, v88, |v76|
; %bb.37:                               ;   in Loop: Header=BB72_9 Depth=1
	s_or_b32 exec_lo, exec_lo, s19
	v_cmp_ngt_f32_e64 s19, 0x3f200000, |v77|
                                        ; implicit-def: $vgpr89
	s_delay_alu instid0(VALU_DEP_1) | instskip(NEXT) | instid1(SALU_CYCLE_1)
	s_and_saveexec_b32 s20, s19
	s_xor_b32 s19, exec_lo, s20
	s_cbranch_execz .LBB72_39
; %bb.38:                               ;   in Loop: Header=BB72_9 Depth=1
	v_add_f32_e64 v83, |v77|, |v77|
	s_delay_alu instid0(VALU_DEP_1) | instskip(SKIP_1) | instid1(VALU_DEP_2)
	v_mul_f32_e32 v89, 0x3fb8aa3b, v83
	v_cmp_ngt_f32_e32 vcc_lo, 0xc2ce8ed0, v83
	v_rndne_f32_e32 v90, v89
	v_fma_f32 v91, 0x3fb8aa3b, v83, -v89
	s_delay_alu instid0(VALU_DEP_2) | instskip(NEXT) | instid1(VALU_DEP_2)
	v_sub_f32_e32 v89, v89, v90
	v_fmac_f32_e32 v91, 0x32a5705f, v83
	v_cvt_i32_f32_e32 v90, v90
	s_delay_alu instid0(VALU_DEP_2) | instskip(NEXT) | instid1(VALU_DEP_1)
	v_add_f32_e32 v89, v89, v91
	v_exp_f32_e32 v89, v89
	s_waitcnt_depctr 0xfff
	v_ldexp_f32 v89, v89, v90
	s_delay_alu instid0(VALU_DEP_1) | instskip(SKIP_1) | instid1(VALU_DEP_2)
	v_cndmask_b32_e32 v89, 0, v89, vcc_lo
	v_cmp_nlt_f32_e32 vcc_lo, 0x42b17218, v83
	v_cndmask_b32_e32 v83, 0x7f800000, v89, vcc_lo
	s_delay_alu instid0(VALU_DEP_1) | instskip(NEXT) | instid1(VALU_DEP_1)
	v_add_f32_e32 v83, 1.0, v83
	v_rcp_f32_e32 v83, v83
	s_waitcnt_depctr 0xfff
	v_fma_f32 v89, v83, -2.0, 1.0
.LBB72_39:                              ;   in Loop: Header=BB72_9 Depth=1
	s_and_not1_saveexec_b32 s19, s19
; %bb.40:                               ;   in Loop: Header=BB72_9 Depth=1
	v_mul_f32_e32 v83, v77, v77
	s_delay_alu instid0(VALU_DEP_1) | instskip(NEXT) | instid1(VALU_DEP_1)
	v_fmaak_f32 v89, s18, v83, 0x3ca908c9
	v_fmaak_f32 v89, v83, v89, 0xbd5c1c4e
	s_delay_alu instid0(VALU_DEP_1) | instskip(NEXT) | instid1(VALU_DEP_1)
	v_fmaak_f32 v89, v83, v89, 0x3e088382
	v_fmaak_f32 v89, v83, v89, 0xbeaaaa99
	s_delay_alu instid0(VALU_DEP_1) | instskip(NEXT) | instid1(VALU_DEP_1)
	v_mul_f32_e64 v89, |v77|, v89
	v_fma_f32 v89, v83, v89, |v77|
; %bb.41:                               ;   in Loop: Header=BB72_9 Depth=1
	s_or_b32 exec_lo, exec_lo, s19
	v_cvt_f32_f16_e32 v83, v4
	v_bfi_b32 v74, 0x7fffffff, v6, v74
	v_cvt_f32_f16_e32 v6, v5
	v_bfi_b32 v75, 0x7fffffff, v87, v75
	v_cvt_f32_f16_e32 v5, v84
	v_cvt_f32_f16_e32 v4, v85
	v_fma_f32 v84, s17, v74, v83
	v_bfi_b32 v74, 0x7fffffff, v88, v76
	v_fma_f32 v76, s17, v75, v6
	v_bfi_b32 v77, 0x7fffffff, v89, v77
	v_cmp_ngt_f32_e64 s19, 0x3f200000, |v70|
	v_add_f32_e32 v85, 0x40051340, v84
	v_fma_f32 v75, s17, v74, v5
	v_add_f32_e32 v87, 0x40051340, v76
	v_fma_f32 v74, s17, v77, v4
	s_delay_alu instid0(VALU_DEP_3) | instskip(NEXT) | instid1(VALU_DEP_3)
	v_add_f32_e32 v77, 0x40051340, v75
	v_max3_f32 v85, v58, v85, v87
	s_delay_alu instid0(VALU_DEP_3) | instskip(NEXT) | instid1(VALU_DEP_1)
	v_add_f32_e32 v87, 0x40051340, v74
	v_max3_f32 v77, v85, v77, v87
	ds_bpermute_b32 v85, v0, v77
	s_waitcnt lgkmcnt(0)
	v_max_f32_e32 v85, v85, v85
	s_delay_alu instid0(VALU_DEP_1) | instskip(SKIP_3) | instid1(VALU_DEP_1)
	v_max_f32_e32 v77, v77, v85
	ds_bpermute_b32 v85, v82, v77
	s_waitcnt lgkmcnt(0)
	v_max_f32_e32 v85, v85, v85
	v_max_f32_e32 v77, v77, v85
	ds_bpermute_b32 v85, v7, v77
	s_waitcnt lgkmcnt(0)
	v_max_f32_e32 v85, v85, v85
	s_delay_alu instid0(VALU_DEP_1) | instskip(SKIP_3) | instid1(VALU_DEP_1)
	v_max_f32_e32 v77, v77, v85
	ds_bpermute_b32 v85, v3, v77
	s_waitcnt lgkmcnt(0)
	v_max_f32_e32 v85, v85, v85
	v_max_f32_e32 v87, v77, v85
                                        ; implicit-def: $vgpr77
	ds_bpermute_b32 v88, v2, v87
	s_and_saveexec_b32 s20, s19
	s_delay_alu instid0(SALU_CYCLE_1)
	s_xor_b32 s19, exec_lo, s20
	s_cbranch_execz .LBB72_43
; %bb.42:                               ;   in Loop: Header=BB72_9 Depth=1
	v_add_f32_e64 v77, |v70|, |v70|
	s_delay_alu instid0(VALU_DEP_1) | instskip(SKIP_1) | instid1(VALU_DEP_2)
	v_mul_f32_e32 v85, 0x3fb8aa3b, v77
	v_cmp_ngt_f32_e32 vcc_lo, 0xc2ce8ed0, v77
	v_rndne_f32_e32 v89, v85
	v_fma_f32 v90, 0x3fb8aa3b, v77, -v85
	s_delay_alu instid0(VALU_DEP_2) | instskip(NEXT) | instid1(VALU_DEP_2)
	v_sub_f32_e32 v85, v85, v89
	v_fmac_f32_e32 v90, 0x32a5705f, v77
	v_cvt_i32_f32_e32 v89, v89
	s_delay_alu instid0(VALU_DEP_2) | instskip(NEXT) | instid1(VALU_DEP_1)
	v_add_f32_e32 v85, v85, v90
	v_exp_f32_e32 v85, v85
	s_waitcnt_depctr 0xfff
	v_ldexp_f32 v85, v85, v89
	s_delay_alu instid0(VALU_DEP_1) | instskip(SKIP_1) | instid1(VALU_DEP_2)
	v_cndmask_b32_e32 v85, 0, v85, vcc_lo
	v_cmp_nlt_f32_e32 vcc_lo, 0x42b17218, v77
	v_cndmask_b32_e32 v77, 0x7f800000, v85, vcc_lo
	s_delay_alu instid0(VALU_DEP_1) | instskip(NEXT) | instid1(VALU_DEP_1)
	v_add_f32_e32 v77, 1.0, v77
	v_rcp_f32_e32 v77, v77
	s_waitcnt_depctr 0xfff
	v_fma_f32 v77, v77, -2.0, 1.0
.LBB72_43:                              ;   in Loop: Header=BB72_9 Depth=1
	s_and_not1_saveexec_b32 s19, s19
; %bb.44:                               ;   in Loop: Header=BB72_9 Depth=1
	v_mul_f32_e32 v77, v70, v70
	s_delay_alu instid0(VALU_DEP_1) | instskip(NEXT) | instid1(VALU_DEP_1)
	v_fmaak_f32 v85, s18, v77, 0x3ca908c9
	v_fmaak_f32 v85, v77, v85, 0xbd5c1c4e
	s_delay_alu instid0(VALU_DEP_1) | instskip(NEXT) | instid1(VALU_DEP_1)
	v_fmaak_f32 v85, v77, v85, 0x3e088382
	v_fmaak_f32 v85, v77, v85, 0xbeaaaa99
	s_delay_alu instid0(VALU_DEP_1) | instskip(NEXT) | instid1(VALU_DEP_1)
	v_mul_f32_e64 v85, |v70|, v85
	v_fma_f32 v77, v77, v85, |v70|
; %bb.45:                               ;   in Loop: Header=BB72_9 Depth=1
	s_or_b32 exec_lo, exec_lo, s19
	v_cmp_ngt_f32_e64 s19, 0x3f200000, |v71|
                                        ; implicit-def: $vgpr85
	s_delay_alu instid0(VALU_DEP_1) | instskip(NEXT) | instid1(SALU_CYCLE_1)
	s_and_saveexec_b32 s20, s19
	s_xor_b32 s19, exec_lo, s20
	s_cbranch_execz .LBB72_47
; %bb.46:                               ;   in Loop: Header=BB72_9 Depth=1
	v_add_f32_e64 v85, |v71|, |v71|
	s_delay_alu instid0(VALU_DEP_1) | instskip(SKIP_1) | instid1(VALU_DEP_2)
	v_mul_f32_e32 v89, 0x3fb8aa3b, v85
	v_cmp_ngt_f32_e32 vcc_lo, 0xc2ce8ed0, v85
	v_rndne_f32_e32 v90, v89
	v_fma_f32 v91, 0x3fb8aa3b, v85, -v89
	s_delay_alu instid0(VALU_DEP_2) | instskip(NEXT) | instid1(VALU_DEP_2)
	v_sub_f32_e32 v89, v89, v90
	v_fmac_f32_e32 v91, 0x32a5705f, v85
	v_cvt_i32_f32_e32 v90, v90
	s_delay_alu instid0(VALU_DEP_2) | instskip(NEXT) | instid1(VALU_DEP_1)
	v_add_f32_e32 v89, v89, v91
	v_exp_f32_e32 v89, v89
	s_waitcnt_depctr 0xfff
	v_ldexp_f32 v89, v89, v90
	s_delay_alu instid0(VALU_DEP_1) | instskip(SKIP_1) | instid1(VALU_DEP_2)
	v_cndmask_b32_e32 v89, 0, v89, vcc_lo
	v_cmp_nlt_f32_e32 vcc_lo, 0x42b17218, v85
	v_cndmask_b32_e32 v85, 0x7f800000, v89, vcc_lo
	s_delay_alu instid0(VALU_DEP_1) | instskip(NEXT) | instid1(VALU_DEP_1)
	v_add_f32_e32 v85, 1.0, v85
	v_rcp_f32_e32 v85, v85
	s_waitcnt_depctr 0xfff
	v_fma_f32 v85, v85, -2.0, 1.0
.LBB72_47:                              ;   in Loop: Header=BB72_9 Depth=1
	s_and_not1_saveexec_b32 s19, s19
; %bb.48:                               ;   in Loop: Header=BB72_9 Depth=1
	v_mul_f32_e32 v85, v71, v71
	s_delay_alu instid0(VALU_DEP_1) | instskip(NEXT) | instid1(VALU_DEP_1)
	v_fmaak_f32 v89, s18, v85, 0x3ca908c9
	v_fmaak_f32 v89, v85, v89, 0xbd5c1c4e
	s_delay_alu instid0(VALU_DEP_1) | instskip(NEXT) | instid1(VALU_DEP_1)
	v_fmaak_f32 v89, v85, v89, 0x3e088382
	v_fmaak_f32 v89, v85, v89, 0xbeaaaa99
	s_delay_alu instid0(VALU_DEP_1) | instskip(NEXT) | instid1(VALU_DEP_1)
	v_mul_f32_e64 v89, |v71|, v89
	v_fma_f32 v85, v85, v89, |v71|
; %bb.49:                               ;   in Loop: Header=BB72_9 Depth=1
	s_or_b32 exec_lo, exec_lo, s19
	v_cmp_ngt_f32_e64 s19, 0x3f200000, |v72|
                                        ; implicit-def: $vgpr89
	s_delay_alu instid0(VALU_DEP_1) | instskip(NEXT) | instid1(SALU_CYCLE_1)
	s_and_saveexec_b32 s20, s19
	s_xor_b32 s19, exec_lo, s20
	s_cbranch_execz .LBB72_51
; %bb.50:                               ;   in Loop: Header=BB72_9 Depth=1
	v_add_f32_e64 v89, |v72|, |v72|
	s_delay_alu instid0(VALU_DEP_1) | instskip(SKIP_1) | instid1(VALU_DEP_2)
	v_mul_f32_e32 v90, 0x3fb8aa3b, v89
	v_cmp_ngt_f32_e32 vcc_lo, 0xc2ce8ed0, v89
	v_rndne_f32_e32 v91, v90
	v_fma_f32 v92, 0x3fb8aa3b, v89, -v90
	s_delay_alu instid0(VALU_DEP_2) | instskip(NEXT) | instid1(VALU_DEP_2)
	v_sub_f32_e32 v90, v90, v91
	v_fmac_f32_e32 v92, 0x32a5705f, v89
	v_cvt_i32_f32_e32 v91, v91
	s_delay_alu instid0(VALU_DEP_2) | instskip(NEXT) | instid1(VALU_DEP_1)
	v_add_f32_e32 v90, v90, v92
	v_exp_f32_e32 v90, v90
	s_waitcnt_depctr 0xfff
	v_ldexp_f32 v90, v90, v91
	s_delay_alu instid0(VALU_DEP_1) | instskip(SKIP_1) | instid1(VALU_DEP_2)
	v_cndmask_b32_e32 v90, 0, v90, vcc_lo
	v_cmp_nlt_f32_e32 vcc_lo, 0x42b17218, v89
	v_cndmask_b32_e32 v89, 0x7f800000, v90, vcc_lo
	s_delay_alu instid0(VALU_DEP_1) | instskip(NEXT) | instid1(VALU_DEP_1)
	v_add_f32_e32 v89, 1.0, v89
	v_rcp_f32_e32 v89, v89
	s_waitcnt_depctr 0xfff
	v_fma_f32 v89, v89, -2.0, 1.0
.LBB72_51:                              ;   in Loop: Header=BB72_9 Depth=1
	s_and_not1_saveexec_b32 s19, s19
; %bb.52:                               ;   in Loop: Header=BB72_9 Depth=1
	v_mul_f32_e32 v89, v72, v72
	s_delay_alu instid0(VALU_DEP_1) | instskip(NEXT) | instid1(VALU_DEP_1)
	v_fmaak_f32 v90, s18, v89, 0x3ca908c9
	v_fmaak_f32 v90, v89, v90, 0xbd5c1c4e
	s_delay_alu instid0(VALU_DEP_1) | instskip(NEXT) | instid1(VALU_DEP_1)
	v_fmaak_f32 v90, v89, v90, 0x3e088382
	v_fmaak_f32 v90, v89, v90, 0xbeaaaa99
	s_delay_alu instid0(VALU_DEP_1) | instskip(NEXT) | instid1(VALU_DEP_1)
	v_mul_f32_e64 v90, |v72|, v90
	v_fma_f32 v89, v89, v90, |v72|
; %bb.53:                               ;   in Loop: Header=BB72_9 Depth=1
	s_or_b32 exec_lo, exec_lo, s19
	v_cmp_ngt_f32_e64 s19, 0x3f200000, |v73|
                                        ; implicit-def: $vgpr90
	s_delay_alu instid0(VALU_DEP_1) | instskip(NEXT) | instid1(SALU_CYCLE_1)
	s_and_saveexec_b32 s20, s19
	s_xor_b32 s19, exec_lo, s20
	s_cbranch_execz .LBB72_55
; %bb.54:                               ;   in Loop: Header=BB72_9 Depth=1
	v_add_f32_e64 v90, |v73|, |v73|
	s_delay_alu instid0(VALU_DEP_1) | instskip(SKIP_1) | instid1(VALU_DEP_2)
	v_mul_f32_e32 v91, 0x3fb8aa3b, v90
	v_cmp_ngt_f32_e32 vcc_lo, 0xc2ce8ed0, v90
	v_rndne_f32_e32 v92, v91
	v_fma_f32 v93, 0x3fb8aa3b, v90, -v91
	s_delay_alu instid0(VALU_DEP_2) | instskip(NEXT) | instid1(VALU_DEP_2)
	v_sub_f32_e32 v91, v91, v92
	v_fmac_f32_e32 v93, 0x32a5705f, v90
	v_cvt_i32_f32_e32 v92, v92
	s_delay_alu instid0(VALU_DEP_2) | instskip(NEXT) | instid1(VALU_DEP_1)
	v_add_f32_e32 v91, v91, v93
	v_exp_f32_e32 v91, v91
	s_waitcnt_depctr 0xfff
	v_ldexp_f32 v91, v91, v92
	s_delay_alu instid0(VALU_DEP_1) | instskip(SKIP_1) | instid1(VALU_DEP_2)
	v_cndmask_b32_e32 v91, 0, v91, vcc_lo
	v_cmp_nlt_f32_e32 vcc_lo, 0x42b17218, v90
	v_cndmask_b32_e32 v90, 0x7f800000, v91, vcc_lo
	s_delay_alu instid0(VALU_DEP_1) | instskip(NEXT) | instid1(VALU_DEP_1)
	v_add_f32_e32 v90, 1.0, v90
	v_rcp_f32_e32 v90, v90
	s_waitcnt_depctr 0xfff
	v_fma_f32 v90, v90, -2.0, 1.0
.LBB72_55:                              ;   in Loop: Header=BB72_9 Depth=1
	s_and_not1_saveexec_b32 s19, s19
; %bb.56:                               ;   in Loop: Header=BB72_9 Depth=1
	v_mul_f32_e32 v90, v73, v73
	s_delay_alu instid0(VALU_DEP_1) | instskip(NEXT) | instid1(VALU_DEP_1)
	v_fmaak_f32 v91, s18, v90, 0x3ca908c9
	v_fmaak_f32 v91, v90, v91, 0xbd5c1c4e
	s_delay_alu instid0(VALU_DEP_1) | instskip(NEXT) | instid1(VALU_DEP_1)
	v_fmaak_f32 v91, v90, v91, 0x3e088382
	v_fmaak_f32 v91, v90, v91, 0xbeaaaa99
	s_delay_alu instid0(VALU_DEP_1) | instskip(NEXT) | instid1(VALU_DEP_1)
	v_mul_f32_e64 v91, |v73|, v91
	v_fma_f32 v90, v90, v91, |v73|
; %bb.57:                               ;   in Loop: Header=BB72_9 Depth=1
	s_or_b32 exec_lo, exec_lo, s19
	v_bfi_b32 v70, 0x7fffffff, v77, v70
	v_bfi_b32 v71, 0x7fffffff, v85, v71
	;; [unrolled: 1-line block ×3, first 2 shown]
	v_cmp_ngt_f32_e64 s19, 0x3f200000, |v61|
	s_delay_alu instid0(VALU_DEP_4) | instskip(NEXT) | instid1(VALU_DEP_4)
	v_fma_f32 v72, s17, v70, v83
	v_fma_f32 v77, s17, v71, v6
	v_bfi_b32 v70, 0x7fffffff, v90, v73
	v_fma_f32 v71, s17, v85, v5
	s_delay_alu instid0(VALU_DEP_4) | instskip(NEXT) | instid1(VALU_DEP_4)
	v_add_f32_e32 v73, 0x40051340, v72
	v_add_f32_e32 v85, 0x40051340, v77
	s_delay_alu instid0(VALU_DEP_4) | instskip(NEXT) | instid1(VALU_DEP_4)
	v_fma_f32 v70, s17, v70, v4
	v_add_f32_e32 v89, 0x40051340, v71
	s_delay_alu instid0(VALU_DEP_3) | instskip(NEXT) | instid1(VALU_DEP_3)
	v_max3_f32 v73, v11, v73, v85
	v_add_f32_e32 v85, 0x40051340, v70
	s_delay_alu instid0(VALU_DEP_1) | instskip(SKIP_3) | instid1(VALU_DEP_1)
	v_max3_f32 v73, v73, v89, v85
                                        ; implicit-def: $vgpr89
	ds_bpermute_b32 v85, v0, v73
	s_waitcnt lgkmcnt(0)
	v_max_f32_e32 v85, v85, v85
	v_max_f32_e32 v73, v73, v85
	ds_bpermute_b32 v85, v82, v73
	s_waitcnt lgkmcnt(0)
	v_max_f32_e32 v85, v85, v85
	s_delay_alu instid0(VALU_DEP_1) | instskip(SKIP_3) | instid1(VALU_DEP_1)
	v_max_f32_e32 v73, v73, v85
	ds_bpermute_b32 v85, v7, v73
	s_waitcnt lgkmcnt(0)
	v_max_f32_e32 v85, v85, v85
	v_max_f32_e32 v73, v73, v85
	ds_bpermute_b32 v85, v3, v73
	s_waitcnt lgkmcnt(0)
	v_max_f32_e32 v85, v85, v85
	s_delay_alu instid0(VALU_DEP_1) | instskip(SKIP_2) | instid1(SALU_CYCLE_1)
	v_max_f32_e32 v73, v73, v85
	ds_bpermute_b32 v85, v2, v73
	s_and_saveexec_b32 s20, s19
	s_xor_b32 s19, exec_lo, s20
	s_cbranch_execz .LBB72_59
; %bb.58:                               ;   in Loop: Header=BB72_9 Depth=1
	v_add_f32_e64 v89, |v61|, |v61|
	s_delay_alu instid0(VALU_DEP_1) | instskip(SKIP_1) | instid1(VALU_DEP_2)
	v_mul_f32_e32 v90, 0x3fb8aa3b, v89
	v_cmp_ngt_f32_e32 vcc_lo, 0xc2ce8ed0, v89
	v_rndne_f32_e32 v91, v90
	v_fma_f32 v92, 0x3fb8aa3b, v89, -v90
	s_delay_alu instid0(VALU_DEP_2) | instskip(NEXT) | instid1(VALU_DEP_2)
	v_sub_f32_e32 v90, v90, v91
	v_fmac_f32_e32 v92, 0x32a5705f, v89
	v_cvt_i32_f32_e32 v91, v91
	s_delay_alu instid0(VALU_DEP_2) | instskip(NEXT) | instid1(VALU_DEP_1)
	v_add_f32_e32 v90, v90, v92
	v_exp_f32_e32 v90, v90
	s_waitcnt_depctr 0xfff
	v_ldexp_f32 v90, v90, v91
	s_delay_alu instid0(VALU_DEP_1) | instskip(SKIP_1) | instid1(VALU_DEP_2)
	v_cndmask_b32_e32 v90, 0, v90, vcc_lo
	v_cmp_nlt_f32_e32 vcc_lo, 0x42b17218, v89
	v_cndmask_b32_e32 v89, 0x7f800000, v90, vcc_lo
	s_delay_alu instid0(VALU_DEP_1) | instskip(NEXT) | instid1(VALU_DEP_1)
	v_add_f32_e32 v89, 1.0, v89
	v_rcp_f32_e32 v89, v89
	s_waitcnt_depctr 0xfff
	v_fma_f32 v89, v89, -2.0, 1.0
.LBB72_59:                              ;   in Loop: Header=BB72_9 Depth=1
	s_and_not1_saveexec_b32 s19, s19
; %bb.60:                               ;   in Loop: Header=BB72_9 Depth=1
	v_mul_f32_e32 v89, v61, v61
	s_delay_alu instid0(VALU_DEP_1) | instskip(NEXT) | instid1(VALU_DEP_1)
	v_fmaak_f32 v90, s18, v89, 0x3ca908c9
	v_fmaak_f32 v90, v89, v90, 0xbd5c1c4e
	s_delay_alu instid0(VALU_DEP_1) | instskip(NEXT) | instid1(VALU_DEP_1)
	v_fmaak_f32 v90, v89, v90, 0x3e088382
	v_fmaak_f32 v90, v89, v90, 0xbeaaaa99
	s_delay_alu instid0(VALU_DEP_1) | instskip(NEXT) | instid1(VALU_DEP_1)
	v_mul_f32_e64 v90, |v61|, v90
	v_fma_f32 v89, v89, v90, |v61|
; %bb.61:                               ;   in Loop: Header=BB72_9 Depth=1
	s_or_b32 exec_lo, exec_lo, s19
	v_cmp_ngt_f32_e64 s19, 0x3f200000, |v62|
                                        ; implicit-def: $vgpr90
	s_delay_alu instid0(VALU_DEP_1) | instskip(NEXT) | instid1(SALU_CYCLE_1)
	s_and_saveexec_b32 s20, s19
	s_xor_b32 s19, exec_lo, s20
	s_cbranch_execz .LBB72_63
; %bb.62:                               ;   in Loop: Header=BB72_9 Depth=1
	v_add_f32_e64 v90, |v62|, |v62|
	s_delay_alu instid0(VALU_DEP_1) | instskip(SKIP_1) | instid1(VALU_DEP_2)
	v_mul_f32_e32 v91, 0x3fb8aa3b, v90
	v_cmp_ngt_f32_e32 vcc_lo, 0xc2ce8ed0, v90
	v_rndne_f32_e32 v92, v91
	v_fma_f32 v93, 0x3fb8aa3b, v90, -v91
	s_delay_alu instid0(VALU_DEP_2) | instskip(NEXT) | instid1(VALU_DEP_2)
	v_sub_f32_e32 v91, v91, v92
	v_fmac_f32_e32 v93, 0x32a5705f, v90
	v_cvt_i32_f32_e32 v92, v92
	s_delay_alu instid0(VALU_DEP_2) | instskip(NEXT) | instid1(VALU_DEP_1)
	v_add_f32_e32 v91, v91, v93
	v_exp_f32_e32 v91, v91
	s_waitcnt_depctr 0xfff
	v_ldexp_f32 v91, v91, v92
	s_delay_alu instid0(VALU_DEP_1) | instskip(SKIP_1) | instid1(VALU_DEP_2)
	v_cndmask_b32_e32 v91, 0, v91, vcc_lo
	v_cmp_nlt_f32_e32 vcc_lo, 0x42b17218, v90
	v_cndmask_b32_e32 v90, 0x7f800000, v91, vcc_lo
	s_delay_alu instid0(VALU_DEP_1) | instskip(NEXT) | instid1(VALU_DEP_1)
	v_add_f32_e32 v90, 1.0, v90
	v_rcp_f32_e32 v90, v90
	s_waitcnt_depctr 0xfff
	v_fma_f32 v90, v90, -2.0, 1.0
.LBB72_63:                              ;   in Loop: Header=BB72_9 Depth=1
	s_and_not1_saveexec_b32 s19, s19
; %bb.64:                               ;   in Loop: Header=BB72_9 Depth=1
	v_mul_f32_e32 v90, v62, v62
	s_delay_alu instid0(VALU_DEP_1) | instskip(NEXT) | instid1(VALU_DEP_1)
	v_fmaak_f32 v91, s18, v90, 0x3ca908c9
	v_fmaak_f32 v91, v90, v91, 0xbd5c1c4e
	s_delay_alu instid0(VALU_DEP_1) | instskip(NEXT) | instid1(VALU_DEP_1)
	v_fmaak_f32 v91, v90, v91, 0x3e088382
	v_fmaak_f32 v91, v90, v91, 0xbeaaaa99
	s_delay_alu instid0(VALU_DEP_1) | instskip(NEXT) | instid1(VALU_DEP_1)
	v_mul_f32_e64 v91, |v62|, v91
	v_fma_f32 v90, v90, v91, |v62|
; %bb.65:                               ;   in Loop: Header=BB72_9 Depth=1
	s_or_b32 exec_lo, exec_lo, s19
	v_cmp_ngt_f32_e64 s19, 0x3f200000, |v63|
                                        ; implicit-def: $vgpr91
	s_delay_alu instid0(VALU_DEP_1) | instskip(NEXT) | instid1(SALU_CYCLE_1)
	s_and_saveexec_b32 s20, s19
	s_xor_b32 s19, exec_lo, s20
	s_cbranch_execz .LBB72_67
; %bb.66:                               ;   in Loop: Header=BB72_9 Depth=1
	v_add_f32_e64 v91, |v63|, |v63|
	s_delay_alu instid0(VALU_DEP_1) | instskip(SKIP_1) | instid1(VALU_DEP_2)
	v_mul_f32_e32 v92, 0x3fb8aa3b, v91
	v_cmp_ngt_f32_e32 vcc_lo, 0xc2ce8ed0, v91
	v_rndne_f32_e32 v93, v92
	v_fma_f32 v94, 0x3fb8aa3b, v91, -v92
	s_delay_alu instid0(VALU_DEP_2) | instskip(NEXT) | instid1(VALU_DEP_2)
	v_sub_f32_e32 v92, v92, v93
	v_fmac_f32_e32 v94, 0x32a5705f, v91
	v_cvt_i32_f32_e32 v93, v93
	s_delay_alu instid0(VALU_DEP_2) | instskip(NEXT) | instid1(VALU_DEP_1)
	v_add_f32_e32 v92, v92, v94
	v_exp_f32_e32 v92, v92
	s_waitcnt_depctr 0xfff
	v_ldexp_f32 v92, v92, v93
	s_delay_alu instid0(VALU_DEP_1) | instskip(SKIP_1) | instid1(VALU_DEP_2)
	v_cndmask_b32_e32 v92, 0, v92, vcc_lo
	v_cmp_nlt_f32_e32 vcc_lo, 0x42b17218, v91
	v_cndmask_b32_e32 v91, 0x7f800000, v92, vcc_lo
	s_delay_alu instid0(VALU_DEP_1) | instskip(NEXT) | instid1(VALU_DEP_1)
	v_add_f32_e32 v91, 1.0, v91
	v_rcp_f32_e32 v91, v91
	s_waitcnt_depctr 0xfff
	v_fma_f32 v91, v91, -2.0, 1.0
.LBB72_67:                              ;   in Loop: Header=BB72_9 Depth=1
	s_and_not1_saveexec_b32 s19, s19
; %bb.68:                               ;   in Loop: Header=BB72_9 Depth=1
	v_mul_f32_e32 v91, v63, v63
	s_delay_alu instid0(VALU_DEP_1) | instskip(NEXT) | instid1(VALU_DEP_1)
	v_fmaak_f32 v92, s18, v91, 0x3ca908c9
	v_fmaak_f32 v92, v91, v92, 0xbd5c1c4e
	s_delay_alu instid0(VALU_DEP_1) | instskip(NEXT) | instid1(VALU_DEP_1)
	v_fmaak_f32 v92, v91, v92, 0x3e088382
	v_fmaak_f32 v92, v91, v92, 0xbeaaaa99
	s_delay_alu instid0(VALU_DEP_1) | instskip(NEXT) | instid1(VALU_DEP_1)
	v_mul_f32_e64 v92, |v63|, v92
	v_fma_f32 v91, v91, v92, |v63|
; %bb.69:                               ;   in Loop: Header=BB72_9 Depth=1
	s_or_b32 exec_lo, exec_lo, s19
	v_cmp_ngt_f32_e64 s19, 0x3f200000, |v64|
                                        ; implicit-def: $vgpr92
	s_delay_alu instid0(VALU_DEP_1) | instskip(NEXT) | instid1(SALU_CYCLE_1)
	s_and_saveexec_b32 s20, s19
	s_xor_b32 s19, exec_lo, s20
	s_cbranch_execz .LBB72_71
; %bb.70:                               ;   in Loop: Header=BB72_9 Depth=1
	v_add_f32_e64 v92, |v64|, |v64|
	s_delay_alu instid0(VALU_DEP_1) | instskip(SKIP_1) | instid1(VALU_DEP_2)
	v_mul_f32_e32 v93, 0x3fb8aa3b, v92
	v_cmp_ngt_f32_e32 vcc_lo, 0xc2ce8ed0, v92
	v_rndne_f32_e32 v94, v93
	v_fma_f32 v95, 0x3fb8aa3b, v92, -v93
	s_delay_alu instid0(VALU_DEP_2) | instskip(NEXT) | instid1(VALU_DEP_2)
	v_sub_f32_e32 v93, v93, v94
	v_fmac_f32_e32 v95, 0x32a5705f, v92
	v_cvt_i32_f32_e32 v94, v94
	s_delay_alu instid0(VALU_DEP_2) | instskip(NEXT) | instid1(VALU_DEP_1)
	v_add_f32_e32 v93, v93, v95
	v_exp_f32_e32 v93, v93
	s_waitcnt_depctr 0xfff
	v_ldexp_f32 v93, v93, v94
	s_delay_alu instid0(VALU_DEP_1) | instskip(SKIP_1) | instid1(VALU_DEP_2)
	v_cndmask_b32_e32 v93, 0, v93, vcc_lo
	v_cmp_nlt_f32_e32 vcc_lo, 0x42b17218, v92
	v_cndmask_b32_e32 v92, 0x7f800000, v93, vcc_lo
	s_delay_alu instid0(VALU_DEP_1) | instskip(NEXT) | instid1(VALU_DEP_1)
	v_add_f32_e32 v92, 1.0, v92
	v_rcp_f32_e32 v92, v92
	s_waitcnt_depctr 0xfff
	v_fma_f32 v92, v92, -2.0, 1.0
.LBB72_71:                              ;   in Loop: Header=BB72_9 Depth=1
	s_and_not1_saveexec_b32 s19, s19
; %bb.72:                               ;   in Loop: Header=BB72_9 Depth=1
	v_mul_f32_e32 v92, v64, v64
	s_delay_alu instid0(VALU_DEP_1) | instskip(NEXT) | instid1(VALU_DEP_1)
	v_fmaak_f32 v93, s18, v92, 0x3ca908c9
	v_fmaak_f32 v93, v92, v93, 0xbd5c1c4e
	s_delay_alu instid0(VALU_DEP_1) | instskip(NEXT) | instid1(VALU_DEP_1)
	v_fmaak_f32 v93, v92, v93, 0x3e088382
	v_fmaak_f32 v93, v92, v93, 0xbeaaaa99
	s_delay_alu instid0(VALU_DEP_1) | instskip(NEXT) | instid1(VALU_DEP_1)
	v_mul_f32_e64 v93, |v64|, v93
	v_fma_f32 v92, v92, v93, |v64|
; %bb.73:                               ;   in Loop: Header=BB72_9 Depth=1
	s_or_b32 exec_lo, exec_lo, s19
	v_bfi_b32 v61, 0x7fffffff, v89, v61
	v_bfi_b32 v62, 0x7fffffff, v90, v62
	;; [unrolled: 1-line block ×4, first 2 shown]
	s_mul_hi_i32 s21, s3, s10
	s_delay_alu instid0(VALU_DEP_3) | instskip(NEXT) | instid1(VALU_DEP_2)
	v_dual_fmac_f32 v83, s17, v61 :: v_dual_fmac_f32 v6, s17, v62
	v_dual_fmac_f32 v5, s17, v63 :: v_dual_fmac_f32 v4, s17, v64
	s_mul_i32 s20, s3, s10
	s_delay_alu instid0(VALU_DEP_2) | instskip(NEXT) | instid1(VALU_DEP_2)
	v_dual_add_f32 v61, 0x40051340, v83 :: v_dual_add_f32 v62, 0x40051340, v6
	v_dual_add_f32 v63, 0x40051340, v5 :: v_dual_add_f32 v64, 0x40051340, v4
	s_lshl_b64 s[20:21], s[20:21], 2
	s_waitcnt lgkmcnt(0)
	s_delay_alu instid0(VALU_DEP_2)
	v_max3_f32 v61, v10, v61, v62
	v_max_f32_e32 v62, v88, v88
	s_add_u32 s19, s11, s20
	s_addc_u32 s20, s16, s21
	s_barrier
	v_max3_f32 v61, v61, v63, v64
	v_dual_max_f32 v63, v87, v87 :: v_dual_max_f32 v64, v86, v86
	buffer_gl0_inv
	v_max_f32_e32 v73, v73, v73
	ds_bpermute_b32 v86, v0, v61
	v_dual_max_f32 v0, v1, v1 :: v_dual_max_f32 v1, v63, v62
	v_add_co_u32 v62, vcc_lo, s19, v23
	v_add_co_ci_u32_e32 v63, vcc_lo, s20, v24, vcc_lo
	s_delay_alu instid0(VALU_DEP_3) | instskip(SKIP_2) | instid1(VALU_DEP_3)
	v_max_f32_e32 v0, v0, v64
	v_add_co_u32 v64, vcc_lo, s19, v25
	v_add_co_ci_u32_e32 v87, vcc_lo, s20, v26, vcc_lo
	v_sub_f32_e32 v102, v80, v0
	v_add_co_u32 v88, vcc_lo, s19, v27
	v_add_co_ci_u32_e32 v89, vcc_lo, s20, v28, vcc_lo
	s_delay_alu instid0(VALU_DEP_3)
	v_mul_f32_e32 v105, 0x3fb8aa3b, v102
	v_sub_f32_e32 v103, v81, v0
	v_sub_f32_e32 v101, v78, v0
	s_waitcnt lgkmcnt(0)
	v_max_f32_e32 v86, v86, v86
	v_add_co_u32 v92, vcc_lo, s19, v29
	v_add_co_ci_u32_e32 v93, vcc_lo, s20, v30, vcc_lo
	s_delay_alu instid0(VALU_DEP_3)
	v_dual_max_f32 v100, v61, v86 :: v_dual_sub_f32 v99, v79, v0
	v_sub_f32_e32 v58, v58, v1
	v_fma_f32 v110, 0x3fb8aa3b, v102, -v105
	v_rndne_f32_e32 v111, v105
	ds_bpermute_b32 v78, v82, v100
	v_sub_f32_e32 v98, v60, v0
	v_add_co_u32 v60, vcc_lo, v62, v48
	v_add_co_ci_u32_e32 v61, vcc_lo, 0, v63, vcc_lo
	v_add_co_u32 v62, vcc_lo, v64, v48
	v_add_co_ci_u32_e32 v63, vcc_lo, 0, v87, vcc_lo
	;; [unrolled: 2-line block ×4, first 2 shown]
	v_sub_f32_e32 v105, v105, v111
	v_cmp_ngt_f32_e32 vcc_lo, 0xc2ce8ed0, v99
	s_waitcnt lgkmcnt(0)
	v_max_f32_e32 v107, v78, v78
	s_clause 0x3
	global_load_b128 v[78:81], v[60:61], off
	global_load_b128 v[86:89], v[62:63], off
	;; [unrolled: 1-line block ×4, first 2 shown]
	v_dual_sub_f32 v84, v84, v1 :: v_dual_mul_f32 v61, 0x3fb8aa3b, v98
	v_dual_sub_f32 v75, v75, v1 :: v_dual_max_f32 v60, v100, v107
	v_mul_f32_e32 v106, 0x3fb8aa3b, v103
	v_sub_f32_e32 v76, v76, v1
	s_delay_alu instid0(VALU_DEP_4)
	v_fma_f32 v114, 0x3fb8aa3b, v98, -v61
	v_rndne_f32_e32 v115, v61
	ds_bpermute_b32 v7, v7, v60
	v_mul_f32_e32 v82, 0x3fb8aa3b, v84
	v_mul_f32_e32 v104, 0x3fb8aa3b, v101
	v_dual_fmac_f32 v114, 0x32a5705f, v98 :: v_dual_sub_f32 v61, v61, v115
	v_mul_f32_e32 v64, 0x3fb8aa3b, v99
	v_fma_f32 v112, 0x3fb8aa3b, v103, -v106
	s_delay_alu instid0(VALU_DEP_4)
	v_fma_f32 v108, 0x3fb8aa3b, v101, -v104
	v_rndne_f32_e32 v109, v104
	v_add_f32_e32 v61, v61, v114
	v_fma_f32 v62, 0x3fb8aa3b, v99, -v64
	v_rndne_f32_e32 v63, v64
	v_fmac_f32_e32 v108, 0x32a5705f, v101
	v_rndne_f32_e32 v113, v106
	v_fmac_f32_e32 v112, 0x32a5705f, v103
	v_fmac_f32_e32 v62, 0x32a5705f, v99
	v_sub_f32_e32 v64, v64, v63
	v_cvt_i32_f32_e32 v63, v63
	s_or_b32 s19, s3, 64
	s_waitcnt lgkmcnt(0)
	v_max_f32_e32 v7, v7, v7
	v_fma_f32 v100, 0x3fb8aa3b, v84, -v82
	v_rndne_f32_e32 v107, v82
	v_add_f32_e32 v62, v64, v62
	s_mul_hi_i32 s21, s19, s10
	s_delay_alu instid0(VALU_DEP_3) | instskip(NEXT) | instid1(VALU_DEP_3)
	v_dual_max_f32 v7, v60, v7 :: v_dual_fmac_f32 v100, 0x32a5705f, v84
	v_sub_f32_e32 v82, v82, v107
	s_delay_alu instid0(VALU_DEP_3)
	v_exp_f32_e32 v62, v62
	s_mul_i32 s20, s19, s10
	ds_bpermute_b32 v3, v3, v7
	v_sub_f32_e32 v104, v104, v109
	v_add_f32_e32 v60, v82, v100
	s_lshl_b64 s[20:21], s[20:21], 2
	s_delay_alu instid0(SALU_CYCLE_1) | instskip(SKIP_1) | instid1(VALU_DEP_1)
	s_add_u32 s19, s11, s20
	s_addc_u32 s20, s16, s21
	v_exp_f32_e32 v60, v60
	v_ldexp_f32 v62, v62, v63
	s_delay_alu instid0(VALU_DEP_1)
	v_cndmask_b32_e32 v62, 0, v62, vcc_lo
	v_cmp_ngt_f32_e32 vcc_lo, 0xc2ce8ed0, v84
	s_waitcnt lgkmcnt(0)
	v_dual_max_f32 v3, v3, v3 :: v_dual_add_f32 v64, v104, v108
	v_fmac_f32_e32 v110, 0x32a5705f, v102
	v_cvt_i32_f32_e32 v104, v107
	s_delay_alu instid0(VALU_DEP_3) | instskip(NEXT) | instid1(VALU_DEP_4)
	v_max_f32_e32 v3, v7, v3
	v_exp_f32_e32 v64, v64
	s_delay_alu instid0(VALU_DEP_3) | instskip(SKIP_2) | instid1(VALU_DEP_3)
	v_add_f32_e32 v82, v105, v110
	v_cvt_i32_f32_e32 v105, v109
	v_ldexp_f32 v60, v60, v104
	v_exp_f32_e32 v82, v82
	s_delay_alu instid0(VALU_DEP_1) | instskip(SKIP_1) | instid1(TRANS32_DEP_2)
	v_cndmask_b32_e32 v60, 0, v60, vcc_lo
	v_cmp_ngt_f32_e32 vcc_lo, 0xc2ce8ed0, v101
	v_ldexp_f32 v63, v64, v105
	s_delay_alu instid0(VALU_DEP_1) | instskip(SKIP_1) | instid1(VALU_DEP_2)
	v_dual_cndmask_b32 v63, 0, v63 :: v_dual_sub_f32 v106, v106, v113
	v_cmp_ngt_f32_e32 vcc_lo, 0xc2ce8ed0, v102
	v_add_f32_e32 v100, v106, v112
	v_cvt_i32_f32_e32 v106, v111
	s_delay_alu instid0(TRANS32_DEP_1) | instid1(VALU_DEP_1)
	v_ldexp_f32 v64, v82, v106
	v_cvt_i32_f32_e32 v82, v113
	s_delay_alu instid0(VALU_DEP_2) | instskip(SKIP_3) | instid1(VALU_DEP_2)
	v_cndmask_b32_e32 v64, 0, v64, vcc_lo
	v_cmp_nlt_f32_e32 vcc_lo, 0x42b17218, v99
	v_cndmask_b32_e32 v62, 0x7f800000, v62, vcc_lo
	v_cmp_nlt_f32_e32 vcc_lo, 0x42b17218, v101
	v_cvt_f16_f32_e32 v99, v62
	v_cndmask_b32_e32 v7, 0x7f800000, v63, vcc_lo
	ds_bpermute_b32 v63, v2, v3
	v_cmp_nlt_f32_e32 vcc_lo, 0x42b17218, v84
	v_exp_f32_e32 v2, v61
	v_cvt_i32_f32_e32 v84, v115
	v_add_f32_e32 v61, v7, v62
	v_cvt_f16_f32_e32 v7, v7
	v_cndmask_b32_e32 v60, 0x7f800000, v60, vcc_lo
	v_cmp_nlt_f32_e32 vcc_lo, 0x42b17218, v102
	v_cndmask_b32_e32 v64, 0x7f800000, v64, vcc_lo
	v_cmp_ngt_f32_e32 vcc_lo, 0xc2ce8ed0, v103
	s_delay_alu instid0(TRANS32_DEP_1) | instskip(NEXT) | instid1(VALU_DEP_3)
	v_ldexp_f32 v2, v2, v84
	v_add_f32_e32 v61, v64, v61
	s_waitcnt lgkmcnt(0)
	v_max_f32_e32 v63, v63, v63
	s_delay_alu instid0(VALU_DEP_1) | instskip(SKIP_1) | instid1(VALU_DEP_1)
	v_max_f32_e32 v3, v3, v63
	v_exp_f32_e32 v100, v100
	v_sub_f32_e32 v6, v6, v3
	v_sub_f32_e32 v4, v4, v3
	;; [unrolled: 1-line block ×3, first 2 shown]
	s_waitcnt_depctr 0xfff
	v_ldexp_f32 v62, v100, v82
	v_mul_f32_e32 v82, 0x3fb8aa3b, v76
	s_delay_alu instid0(VALU_DEP_2) | instskip(SKIP_1) | instid1(VALU_DEP_3)
	v_cndmask_b32_e32 v62, 0, v62, vcc_lo
	v_cmp_ngt_f32_e32 vcc_lo, 0xc2ce8ed0, v98
	v_fma_f32 v84, 0x3fb8aa3b, v76, -v82
	v_rndne_f32_e32 v100, v82
	v_cndmask_b32_e32 v2, 0, v2, vcc_lo
	v_cmp_nlt_f32_e32 vcc_lo, 0x42b17218, v103
	s_delay_alu instid0(VALU_DEP_4) | instskip(NEXT) | instid1(VALU_DEP_4)
	v_fmac_f32_e32 v84, 0x32a5705f, v76
	v_dual_sub_f32 v82, v82, v100 :: v_dual_mul_f32 v103, 0x3fb8aa3b, v58
	v_cndmask_b32_e32 v62, 0x7f800000, v62, vcc_lo
	v_cmp_nlt_f32_e32 vcc_lo, 0x42b17218, v98
	s_delay_alu instid0(VALU_DEP_3) | instskip(NEXT) | instid1(VALU_DEP_3)
	v_add_f32_e32 v82, v82, v84
	v_dual_mul_f32 v84, 0x3fb8aa3b, v75 :: v_dual_add_f32 v61, v62, v61
	v_cndmask_b32_e32 v2, 0x7f800000, v2, vcc_lo
	v_cvt_f16_f32_e32 v101, v62
	v_sub_f32_e32 v62, v74, v1
	v_cvt_i32_f32_e32 v74, v100
	v_cmp_ngt_f32_e32 vcc_lo, 0xc2ce8ed0, v76
	v_cvt_f16_f32_e32 v98, v2
	v_fmac_f32_e32 v61, v59, v2
	v_exp_f32_e32 v2, v82
	v_rndne_f32_e32 v59, v84
	v_cvt_f16_f32_e32 v100, v60
	v_pk_mul_f16 v102, v98, v56 op_sel_hi:[0,1]
	v_fma_f32 v56, 0x3fb8aa3b, v75, -v84
	s_delay_alu instid0(VALU_DEP_4) | instskip(SKIP_2) | instid1(VALU_DEP_4)
	v_sub_f32_e32 v82, v84, v59
	v_mul_f32_e32 v84, 0x3fb8aa3b, v62
	v_cvt_i32_f32_e32 v59, v59
	v_fmac_f32_e32 v56, 0x32a5705f, v75
	s_delay_alu instid0(TRANS32_DEP_1) | instskip(NEXT) | instid1(VALU_DEP_4)
	v_ldexp_f32 v2, v2, v74
	v_fma_f32 v74, 0x3fb8aa3b, v62, -v84
	s_delay_alu instid0(VALU_DEP_3) | instskip(SKIP_1) | instid1(VALU_DEP_4)
	v_add_f32_e32 v56, v82, v56
	v_rndne_f32_e32 v82, v84
	v_cndmask_b32_e32 v2, 0, v2, vcc_lo
	s_delay_alu instid0(VALU_DEP_4)
	v_fmac_f32_e32 v74, 0x32a5705f, v62
	v_cmp_nlt_f32_e32 vcc_lo, 0x42b17218, v76
	v_exp_f32_e32 v56, v56
	v_sub_f32_e32 v84, v84, v82
	v_fma_f32 v76, 0x3fb8aa3b, v58, -v103
	v_cndmask_b32_e32 v2, 0x7f800000, v2, vcc_lo
	v_cmp_ngt_f32_e32 vcc_lo, 0xc2ce8ed0, v75
	s_delay_alu instid0(VALU_DEP_4) | instskip(SKIP_3) | instid1(TRANS32_DEP_1)
	v_add_f32_e32 v74, v84, v74
	v_rndne_f32_e32 v84, v103
	v_fmac_f32_e32 v76, 0x32a5705f, v58
	v_add_f32_e32 v60, v60, v2
	v_ldexp_f32 v56, v56, v59
	v_exp_f32_e32 v59, v74
	v_sub_f32_e32 v74, v103, v84
	v_cvt_f16_f32_e32 v103, v2
	v_cvt_i32_f32_e32 v2, v82
	v_cndmask_b32_e32 v56, 0, v56, vcc_lo
	v_cmp_nlt_f32_e32 vcc_lo, 0x42b17218, v75
	v_add_f32_e32 v74, v74, v76
	v_max_f32_e32 v76, v85, v85
	s_delay_alu instid0(TRANS32_DEP_1) | instskip(SKIP_1) | instid1(VALU_DEP_4)
	v_ldexp_f32 v59, v59, v2
	v_cndmask_b32_e32 v56, 0x7f800000, v56, vcc_lo
	v_exp_f32_e32 v74, v74
	v_cmp_ngt_f32_e32 vcc_lo, 0xc2ce8ed0, v62
	v_max_f32_e32 v2, v73, v76
	v_cvt_i32_f32_e32 v73, v84
	v_dual_add_f32 v60, v56, v60 :: v_dual_cndmask_b32 v59, 0, v59
	v_cmp_nlt_f32_e32 vcc_lo, 0x42b17218, v62
	s_delay_alu instid0(VALU_DEP_4) | instskip(SKIP_1) | instid1(TRANS32_DEP_1)
	v_sub_f32_e32 v75, v77, v2
	v_sub_f32_e32 v72, v72, v2
	v_ldexp_f32 v73, v74, v73
	v_sub_f32_e32 v71, v71, v2
	v_cndmask_b32_e32 v59, 0x7f800000, v59, vcc_lo
	v_cmp_ngt_f32_e32 vcc_lo, 0xc2ce8ed0, v58
	v_mul_f32_e32 v74, 0x3fb8aa3b, v75
	s_delay_alu instid0(VALU_DEP_4) | instskip(NEXT) | instid1(VALU_DEP_4)
	v_dual_mul_f32 v82, 0x3fb8aa3b, v72 :: v_dual_mul_f32 v85, 0x3fb8aa3b, v71
	v_add_f32_e32 v62, v59, v60
	v_cndmask_b32_e32 v60, 0, v73, vcc_lo
	v_cmp_nlt_f32_e32 vcc_lo, 0x42b17218, v58
	v_fma_f32 v63, 0x3fb8aa3b, v75, -v74
	v_rndne_f32_e32 v73, v74
	v_sub_f32_e32 v58, v83, v3
	v_fma_f32 v83, 0x3fb8aa3b, v72, -v82
	v_cndmask_b32_e32 v60, 0x7f800000, v60, vcc_lo
	s_delay_alu instid0(VALU_DEP_4) | instskip(SKIP_2) | instid1(VALU_DEP_4)
	v_dual_fmac_f32 v63, 0x32a5705f, v75 :: v_dual_sub_f32 v74, v74, v73
	v_rndne_f32_e32 v84, v82
	v_cvt_i32_f32_e32 v73, v73
	v_dual_fmac_f32 v62, v57, v60 :: v_dual_mul_f32 v57, 0x3fb8aa3b, v58
	s_delay_alu instid0(VALU_DEP_4) | instskip(SKIP_2) | instid1(VALU_DEP_4)
	v_dual_add_f32 v63, v74, v63 :: v_dual_sub_f32 v74, v11, v2
	v_fmac_f32_e32 v83, 0x32a5705f, v72
	v_rndne_f32_e32 v104, v85
	v_fma_f32 v11, 0x3fb8aa3b, v58, -v57
	v_rndne_f32_e32 v77, v57
	v_exp_f32_e32 v63, v63
	v_cmp_ngt_f32_e32 vcc_lo, 0xc2ce8ed0, v75
	v_sub_f32_e32 v70, v70, v2
	v_fmac_f32_e32 v11, 0x32a5705f, v58
	v_sub_f32_e32 v57, v57, v77
	v_cvt_i32_f32_e32 v77, v77
	v_cvt_f16_f32_e32 v59, v59
	s_delay_alu instid0(VALU_DEP_3)
	v_add_f32_e32 v11, v57, v11
	v_sub_f32_e32 v57, v82, v84
	v_fma_f32 v82, 0x3fb8aa3b, v71, -v85
	v_ldexp_f32 v63, v63, v73
	v_sub_f32_e32 v73, v85, v104
	v_exp_f32_e32 v11, v11
	v_add_f32_e32 v57, v57, v83
	v_fmac_f32_e32 v82, 0x32a5705f, v71
	v_cndmask_b32_e32 v63, 0, v63, vcc_lo
	v_cmp_nlt_f32_e32 vcc_lo, 0x42b17218, v75
	v_cvt_i32_f32_e32 v75, v84
	v_exp_f32_e32 v57, v57
	v_add_f32_e32 v73, v73, v82
	v_cvt_f16_f32_e32 v64, v64
	v_cndmask_b32_e32 v63, 0x7f800000, v63, vcc_lo
	v_ldexp_f32 v11, v11, v77
	v_cmp_ngt_f32_e32 vcc_lo, 0xc2ce8ed0, v58
	v_exp_f32_e32 v73, v73
	v_mul_f32_e32 v77, 0x3fb8aa3b, v70
	s_delay_alu instid0(VALU_DEP_3) | instskip(NEXT) | instid1(TRANS32_DEP_2)
	v_cndmask_b32_e32 v11, 0, v11, vcc_lo
	v_ldexp_f32 v57, v57, v75
	v_cmp_ngt_f32_e32 vcc_lo, 0xc2ce8ed0, v72
	v_cvt_i32_f32_e32 v75, v104
	v_fma_f32 v82, 0x3fb8aa3b, v70, -v77
	v_rndne_f32_e32 v83, v77
	v_cndmask_b32_e32 v57, 0, v57, vcc_lo
	v_cmp_nlt_f32_e32 vcc_lo, 0x42b17218, v72
	v_ldexp_f32 v73, v73, v75
	s_delay_alu instid0(VALU_DEP_4) | instskip(NEXT) | instid1(VALU_DEP_4)
	v_dual_fmac_f32 v82, 0x32a5705f, v70 :: v_dual_sub_f32 v75, v77, v83
	v_cndmask_b32_e32 v57, 0x7f800000, v57, vcc_lo
	v_cmp_ngt_f32_e32 vcc_lo, 0xc2ce8ed0, v71
	s_delay_alu instid0(VALU_DEP_4)
	v_cndmask_b32_e32 v72, 0, v73, vcc_lo
	v_cmp_nlt_f32_e32 vcc_lo, 0x42b17218, v58
	v_dual_add_f32 v73, v75, v82 :: v_dual_cndmask_b32 v58, 0x7f800000, v11
	v_cmp_nlt_f32_e32 vcc_lo, 0x42b17218, v71
	v_add_f32_e32 v11, v57, v63
	v_cvt_f16_f32_e32 v63, v63
	v_cndmask_b32_e32 v71, 0x7f800000, v72, vcc_lo
	v_exp_f32_e32 v72, v73
	v_mul_f32_e32 v73, 0x3fb8aa3b, v74
	v_cmp_ngt_f32_e32 vcc_lo, 0xc2ce8ed0, v70
	s_delay_alu instid0(VALU_DEP_3) | instskip(SKIP_1) | instid1(VALU_DEP_4)
	v_add_f32_e32 v75, v71, v11
	v_cvt_i32_f32_e32 v11, v83
	v_fma_f32 v77, 0x3fb8aa3b, v74, -v73
	v_rndne_f32_e32 v82, v73
	v_mul_f32_e32 v83, 0x3fb8aa3b, v6
	v_cvt_f16_f32_e32 v71, v71
	s_delay_alu instid0(TRANS32_DEP_1)
	v_ldexp_f32 v11, v72, v11
	v_fmac_f32_e32 v77, 0x32a5705f, v74
	v_sub_f32_e32 v72, v73, v82
	v_fma_f32 v73, 0x3fb8aa3b, v6, -v83
	v_rndne_f32_e32 v84, v83
	v_cndmask_b32_e32 v11, 0, v11, vcc_lo
	v_cmp_nlt_f32_e32 vcc_lo, 0x42b17218, v70
	s_delay_alu instid0(VALU_DEP_4) | instskip(NEXT) | instid1(VALU_DEP_4)
	v_dual_add_f32 v72, v72, v77 :: v_dual_fmac_f32 v73, 0x32a5705f, v6
	v_sub_f32_e32 v77, v83, v84
	v_mul_f32_e32 v83, 0x3fb8aa3b, v5
	v_cndmask_b32_e32 v70, 0x7f800000, v11, vcc_lo
	v_mul_f32_e32 v11, 0x3fb8aa3b, v4
	v_exp_f32_e32 v72, v72
	v_add_f32_e32 v73, v77, v73
	v_fma_f32 v77, 0x3fb8aa3b, v5, -v83
	v_rndne_f32_e32 v85, v83
	v_fma_f32 v104, 0x3fb8aa3b, v4, -v11
	v_rndne_f32_e32 v105, v11
	v_exp_f32_e32 v73, v73
	v_fmac_f32_e32 v77, 0x32a5705f, v5
	s_delay_alu instid0(VALU_DEP_3) | instskip(NEXT) | instid1(VALU_DEP_3)
	v_dual_sub_f32 v83, v83, v85 :: v_dual_fmac_f32 v104, 0x32a5705f, v4
	v_sub_f32_e32 v11, v11, v105
	v_cvt_i32_f32_e32 v82, v82
	v_cvt_i32_f32_e32 v84, v84
	s_delay_alu instid0(VALU_DEP_4)
	v_add_f32_e32 v77, v83, v77
	v_cmp_ngt_f32_e32 vcc_lo, 0xc2ce8ed0, v6
	v_add_f32_e32 v11, v11, v104
	v_ldexp_f32 v72, v72, v82
	v_sub_f32_e32 v82, v10, v3
	v_ldexp_f32 v10, v73, v84
	v_exp_f32_e32 v73, v77
	v_exp_f32_e32 v11, v11
	v_cvt_i32_f32_e32 v83, v85
	v_cvt_i32_f32_e32 v84, v105
	v_cndmask_b32_e32 v10, 0, v10, vcc_lo
	v_cmp_nlt_f32_e32 vcc_lo, 0x42b17218, v6
	v_mul_f32_e32 v85, 0x3fb8aa3b, v82
	v_cvt_f16_f32_e32 v77, v58
	v_cvt_f16_f32_e32 v56, v56
	;; [unrolled: 1-line block ×3, first 2 shown]
	v_cndmask_b32_e32 v104, 0x7f800000, v10, vcc_lo
	v_ldexp_f32 v6, v73, v83
	v_cmp_ngt_f32_e32 vcc_lo, 0xc2ce8ed0, v5
	v_ldexp_f32 v10, v11, v84
	v_fma_f32 v11, 0x3fb8aa3b, v82, -v85
	v_rndne_f32_e32 v73, v85
	v_add_nc_u32_e32 v76, v42, v43
	v_cndmask_b32_e32 v6, 0, v6, vcc_lo
	v_cmp_ngt_f32_e32 vcc_lo, 0xc2ce8ed0, v4
	v_fmac_f32_e32 v11, 0x32a5705f, v82
	v_sub_f32_e32 v83, v85, v73
	v_cvt_i32_f32_e32 v73, v73
	v_cvt_f16_f32_e32 v60, v60
	v_cndmask_b32_e32 v10, 0, v10, vcc_lo
	v_cmp_nlt_f32_e32 vcc_lo, 0x42b17218, v5
	v_cvt_f16_f32_e32 v5, v57
	s_delay_alu instid0(VALU_DEP_4)
	v_pk_mul_f16 v54, v60, v54 op_sel_hi:[0,1]
	v_cndmask_b32_e32 v84, 0x7f800000, v6, vcc_lo
	v_cmp_nlt_f32_e32 vcc_lo, 0x42b17218, v4
	v_add_f32_e32 v4, v83, v11
	v_cvt_f16_f32_e32 v6, v104
	v_pack_b32_f16 v5, v5, v77
	v_cndmask_b32_e32 v85, 0x7f800000, v10, vcc_lo
	s_delay_alu instid0(VALU_DEP_4)
	v_exp_f32_e32 v83, v4
	v_cvt_f16_f32_e32 v10, v84
	v_cmp_ngt_f32_e32 vcc_lo, 0xc2ce8ed0, v74
	v_pack_b32_f16 v4, v7, v100
	v_cvt_f16_f32_e32 v57, v85
	v_pack_b32_f16 v7, v63, v6
	v_pack_b32_f16 v6, v99, v103
	;; [unrolled: 1-line block ×3, first 2 shown]
	v_cndmask_b32_e32 v63, 0, v72, vcc_lo
	v_cmp_ngt_f32_e32 vcc_lo, 0xc2ce8ed0, v82
	v_ldexp_f32 v71, v83, v73
	v_pack_b32_f16 v10, v64, v56
	v_pack_b32_f16 v57, v106, v57
	;; [unrolled: 1-line block ×3, first 2 shown]
	v_add_f32_e32 v64, v58, v104
	ds_store_2addr_b64 v76, v[4:5], v[6:7] offset1:32
	ds_store_2addr_b64 v76, v[10:11], v[56:57] offset0:64 offset1:96
	s_waitcnt vmcnt(3)
	ds_store_b128 v41, v[78:81]
	s_waitcnt vmcnt(2)
	ds_store_b128 v44, v[86:89]
	;; [unrolled: 2-line block ×4, first 2 shown]
	s_waitcnt lgkmcnt(0)
	s_barrier
	buffer_gl0_inv
	ds_load_2addr_b64 v[4:7], v43 offset1:32
	ds_load_b128 v[56:59], v42
	v_cndmask_b32_e32 v10, 0, v71, vcc_lo
	v_cmp_nlt_f32_e32 vcc_lo, 0x42b17218, v74
	v_cndmask_b32_e32 v11, 0x7f800000, v63, vcc_lo
	v_cmp_nlt_f32_e32 vcc_lo, 0x42b17218, v82
	v_dual_add_f32 v63, v84, v64 :: v_dual_add_f32 v64, v70, v75
	s_delay_alu instid0(VALU_DEP_3) | instskip(NEXT) | instid1(VALU_DEP_2)
	v_cvt_f16_f32_e32 v82, v11
	v_dual_cndmask_b32 v10, 0x7f800000, v10 :: v_dual_add_f32 v63, v85, v63
	s_delay_alu instid0(VALU_DEP_3) | instskip(NEXT) | instid1(VALU_DEP_3)
	v_fmac_f32_e32 v64, v8, v11
	v_pk_mul_f16 v52, v82, v52 op_sel_hi:[0,1]
	s_delay_alu instid0(VALU_DEP_3) | instskip(NEXT) | instid1(VALU_DEP_4)
	v_cvt_f16_f32_e32 v70, v10
	v_fmac_f32_e32 v63, v9, v10
	ds_load_b128 v[8:11], v42 offset:16
	s_waitcnt lgkmcnt(1)
	v_pk_mul_f16 v83, v4, v56 op_sel_hi:[1,0]
	v_pk_mul_f16 v84, v4, v56 op_sel:[0,1]
	v_pk_mul_f16 v50, v70, v50 op_sel_hi:[0,1]
	v_pk_mul_f16 v85, v4, v57 op_sel_hi:[1,0]
	;; [unrolled: 1-line block ×3, first 2 shown]
	ds_load_2addr_b64 v[70:73], v43 offset0:64 offset1:96
	ds_load_b128 v[74:77], v42 offset:32
	ds_load_b128 v[78:81], v42 offset:48
	v_pk_fma_f16 v55, v98, v55, v83 op_sel_hi:[0,1,1]
	v_pk_fma_f16 v53, v60, v53, v84 op_sel_hi:[0,1,1]
	;; [unrolled: 1-line block ×3, first 2 shown]
	v_pk_fma_f16 v4, v4, v57, v50 op_sel:[0,1,0]
	v_pk_fma_f16 v50, v5, v56, v102 op_sel_hi:[1,0,1]
	v_pk_fma_f16 v54, v5, v56, v54 op_sel:[0,1,0]
	v_pk_fma_f16 v56, v5, v57, v52 op_sel_hi:[1,0,1]
	;; [unrolled: 2-line block ×5, first 2 shown]
	v_pk_fma_f16 v50, v7, v58, v54 op_sel:[0,1,0]
	ds_load_2addr_b64 v[51:54], v43 offset0:128 offset1:160
	v_pk_fma_f16 v56, v7, v59, v56 op_sel_hi:[1,0,1]
	v_pk_fma_f16 v5, v7, v59, v5 op_sel:[0,1,0]
	s_waitcnt lgkmcnt(3)
	v_pk_fma_f16 v7, v70, v8, v49 op_sel_hi:[1,0,1]
	v_pk_fma_f16 v49, v70, v8, v55 op_sel:[0,1,0]
	v_pk_fma_f16 v55, v70, v9, v57 op_sel_hi:[1,0,1]
	v_pk_fma_f16 v4, v70, v9, v4 op_sel:[0,1,0]
	;; [unrolled: 2-line block ×8, first 2 shown]
	ds_load_2addr_b64 v[4:7], v43 offset0:192 offset1:224
	s_waitcnt lgkmcnt(1)
	v_pk_fma_f16 v9, v51, v74, v9 op_sel_hi:[1,0,1]
	v_pk_fma_f16 v49, v51, v74, v49 op_sel:[0,1,0]
	v_pk_fma_f16 v50, v51, v75, v55 op_sel_hi:[1,0,1]
	v_pk_fma_f16 v51, v51, v75, v56 op_sel:[0,1,0]
	;; [unrolled: 2-line block ×4, first 2 shown]
	v_add_nc_u32_e32 v52, 0x800, v43
	v_pk_fma_f16 v60, v53, v76, v9 op_sel_hi:[1,0,1]
	v_pk_fma_f16 v49, v53, v76, v49 op_sel:[0,1,0]
	v_pk_fma_f16 v50, v53, v77, v50 op_sel_hi:[1,0,1]
	v_pk_fma_f16 v51, v53, v77, v51 op_sel:[0,1,0]
	;; [unrolled: 2-line block ×3, first 2 shown]
	v_pk_fma_f16 v71, v54, v77, v10 op_sel_hi:[1,0,1]
	ds_load_2addr_b64 v[8:11], v52 offset1:32
	ds_load_b128 v[55:58], v42 offset:64
	v_pk_fma_f16 v54, v54, v77, v59 op_sel:[0,1,0]
	s_waitcnt lgkmcnt(2)
	v_pk_fma_f16 v59, v4, v78, v60 op_sel_hi:[1,0,1]
	v_pk_fma_f16 v49, v4, v78, v49 op_sel:[0,1,0]
	v_pk_fma_f16 v50, v4, v79, v50 op_sel_hi:[1,0,1]
	v_pk_fma_f16 v4, v4, v79, v51 op_sel:[0,1,0]
	;; [unrolled: 2-line block ×6, first 2 shown]
	v_pk_fma_f16 v6, v7, v80, v51 op_sel_hi:[1,0,1]
	ds_load_2addr_b64 v[70:73], v52 offset0:64 offset1:96
	ds_load_b128 v[74:77], v42 offset:80
	v_pk_fma_f16 v51, v7, v80, v53 op_sel:[0,1,0]
	v_pk_fma_f16 v53, v7, v81, v60 op_sel_hi:[1,0,1]
	v_pk_fma_f16 v5, v7, v81, v5 op_sel:[0,1,0]
	s_waitcnt lgkmcnt(2)
	v_pk_fma_f16 v7, v8, v55, v54 op_sel_hi:[1,0,1]
	v_pk_fma_f16 v49, v8, v55, v49 op_sel:[0,1,0]
	v_pk_fma_f16 v50, v8, v56, v50 op_sel_hi:[1,0,1]
	v_pk_fma_f16 v4, v8, v56, v4 op_sel:[0,1,0]
	;; [unrolled: 2-line block ×6, first 2 shown]
	v_pk_fma_f16 v60, v11, v57, v6 op_sel_hi:[1,0,1]
	ds_load_2addr_b64 v[4:7], v52 offset0:128 offset1:160
	ds_load_b128 v[53:56], v42 offset:96
	v_pk_fma_f16 v8, v11, v57, v8 op_sel:[0,1,0]
	v_pk_fma_f16 v51, v11, v58, v51 op_sel_hi:[1,0,1]
	v_pk_fma_f16 v9, v11, v58, v9 op_sel:[0,1,0]
	s_waitcnt lgkmcnt(2)
	v_pk_fma_f16 v11, v70, v74, v59 op_sel_hi:[1,0,1]
	v_pk_fma_f16 v49, v70, v74, v49 op_sel:[0,1,0]
	v_pk_fma_f16 v50, v70, v75, v50 op_sel_hi:[1,0,1]
	v_pk_fma_f16 v10, v70, v75, v10 op_sel:[0,1,0]
	;; [unrolled: 2-line block ×8, first 2 shown]
	ds_load_2addr_b64 v[8:11], v52 offset0:192 offset1:224
	ds_load_b128 v[57:60], v42 offset:112
	s_waitcnt lgkmcnt(2)
	v_pk_fma_f16 v70, v4, v53, v70 op_sel_hi:[1,0,1]
	v_pk_fma_f16 v49, v4, v53, v49 op_sel:[0,1,0]
	v_pk_fma_f16 v50, v4, v54, v50 op_sel_hi:[1,0,1]
	v_pk_fma_f16 v4, v4, v54, v71 op_sel:[0,1,0]
	;; [unrolled: 2-line block ×3, first 2 shown]
	v_add_nc_u32_e32 v53, 0x1000, v43
	v_pk_fma_f16 v51, v5, v54, v51 op_sel_hi:[1,0,1]
	v_pk_fma_f16 v5, v5, v54, v73 op_sel:[0,1,0]
	v_pk_fma_f16 v54, v6, v55, v70 op_sel_hi:[1,0,1]
	v_pk_fma_f16 v49, v6, v55, v49 op_sel:[0,1,0]
	;; [unrolled: 2-line block ×4, first 2 shown]
	ds_load_2addr_b64 v[70:73], v53 offset1:32
	ds_load_b128 v[74:77], v42 offset:128
	v_pk_fma_f16 v51, v7, v56, v51 op_sel_hi:[1,0,1]
	v_pk_fma_f16 v5, v7, v56, v5 op_sel:[0,1,0]
	s_waitcnt lgkmcnt(2)
	v_pk_fma_f16 v7, v8, v57, v54 op_sel_hi:[1,0,1]
	v_pk_fma_f16 v49, v8, v57, v49 op_sel:[0,1,0]
	v_pk_fma_f16 v50, v8, v58, v50 op_sel_hi:[1,0,1]
	v_pk_fma_f16 v4, v8, v58, v4 op_sel:[0,1,0]
	;; [unrolled: 2-line block ×3, first 2 shown]
	ds_load_2addr_b64 v[54:57], v53 offset0:64 offset1:96
	ds_load_b128 v[78:81], v42 offset:144
	v_pk_fma_f16 v51, v9, v58, v51 op_sel_hi:[1,0,1]
	v_pk_fma_f16 v5, v9, v58, v5 op_sel:[0,1,0]
	v_pk_fma_f16 v9, v10, v59, v49 op_sel:[0,1,0]
	v_pk_fma_f16 v49, v10, v60, v50 op_sel_hi:[1,0,1]
	v_pk_fma_f16 v6, v11, v59, v6 op_sel_hi:[1,0,1]
	;; [unrolled: 1-line block ×3, first 2 shown]
	v_pk_fma_f16 v4, v10, v60, v4 op_sel:[0,1,0]
	v_pk_fma_f16 v8, v11, v59, v8 op_sel:[0,1,0]
	v_pk_fma_f16 v10, v11, v60, v51 op_sel_hi:[1,0,1]
	v_pk_fma_f16 v5, v11, v60, v5 op_sel:[0,1,0]
	s_waitcnt lgkmcnt(2)
	v_pk_fma_f16 v11, v70, v75, v49 op_sel_hi:[1,0,1]
	v_pk_fma_f16 v6, v71, v74, v6 op_sel_hi:[1,0,1]
	ds_load_2addr_b64 v[82:85], v53 offset0:128 offset1:160
	ds_load_b128 v[86:89], v42 offset:160
	v_pk_fma_f16 v7, v70, v74, v7 op_sel_hi:[1,0,1]
	v_pk_fma_f16 v9, v70, v74, v9 op_sel:[0,1,0]
	v_pk_fma_f16 v4, v70, v75, v4 op_sel:[0,1,0]
	;; [unrolled: 1-line block ×3, first 2 shown]
	v_pk_fma_f16 v10, v71, v75, v10 op_sel_hi:[1,0,1]
	v_pk_fma_f16 v5, v71, v75, v5 op_sel:[0,1,0]
	v_pk_fma_f16 v11, v72, v77, v11 op_sel_hi:[1,0,1]
	v_pk_fma_f16 v6, v73, v76, v6 op_sel_hi:[1,0,1]
	;; [unrolled: 1-line block ×3, first 2 shown]
	v_pk_fma_f16 v9, v72, v76, v9 op_sel:[0,1,0]
	v_pk_fma_f16 v4, v72, v77, v4 op_sel:[0,1,0]
	;; [unrolled: 1-line block ×3, first 2 shown]
	v_pk_fma_f16 v10, v73, v77, v10 op_sel_hi:[1,0,1]
	v_pk_fma_f16 v5, v73, v77, v5 op_sel:[0,1,0]
	s_waitcnt lgkmcnt(2)
	v_pk_fma_f16 v11, v54, v79, v11 op_sel_hi:[1,0,1]
	v_pk_fma_f16 v6, v55, v78, v6 op_sel_hi:[1,0,1]
	;; [unrolled: 1-line block ×3, first 2 shown]
	v_pk_fma_f16 v9, v54, v78, v9 op_sel:[0,1,0]
	v_pk_fma_f16 v4, v54, v79, v4 op_sel:[0,1,0]
	;; [unrolled: 1-line block ×3, first 2 shown]
	v_pk_fma_f16 v50, v55, v79, v10 op_sel_hi:[1,0,1]
	v_pk_fma_f16 v51, v55, v79, v5 op_sel:[0,1,0]
	v_pk_fma_f16 v58, v56, v81, v11 op_sel_hi:[1,0,1]
	v_pk_fma_f16 v59, v57, v80, v6 op_sel_hi:[1,0,1]
	;; [unrolled: 1-line block ×3, first 2 shown]
	v_pk_fma_f16 v55, v56, v80, v9 op_sel:[0,1,0]
	v_pk_fma_f16 v56, v56, v81, v4 op_sel:[0,1,0]
	ds_load_2addr_b64 v[4:7], v53 offset0:192 offset1:224
	ds_load_b128 v[8:11], v42 offset:176
	v_pk_fma_f16 v49, v57, v80, v49 op_sel:[0,1,0]
	v_pk_fma_f16 v50, v57, v81, v50 op_sel_hi:[1,0,1]
	v_pk_fma_f16 v51, v57, v81, v51 op_sel:[0,1,0]
	s_waitcnt lgkmcnt(2)
	v_pk_fma_f16 v57, v82, v87, v58 op_sel_hi:[1,0,1]
	v_pk_fma_f16 v58, v83, v86, v59 op_sel_hi:[1,0,1]
	v_add_co_u32 v59, vcc_lo, s19, v23
	v_add_co_ci_u32_e32 v60, vcc_lo, s20, v24, vcc_lo
	v_add_co_u32 v226, vcc_lo, s19, v25
	v_add_co_ci_u32_e32 v227, vcc_lo, s20, v26, vcc_lo
	s_delay_alu instid0(VALU_DEP_4) | instskip(NEXT) | instid1(VALU_DEP_4)
	v_add_co_u32 v59, vcc_lo, v59, v48
	v_add_co_ci_u32_e32 v60, vcc_lo, 0, v60, vcc_lo
	s_delay_alu instid0(VALU_DEP_4)
	v_add_co_u32 v230, vcc_lo, v226, v48
	v_pk_fma_f16 v54, v82, v86, v54 op_sel_hi:[1,0,1]
	v_add_co_ci_u32_e32 v231, vcc_lo, 0, v227, vcc_lo
	v_add_co_u32 v226, vcc_lo, s19, v27
	v_pk_fma_f16 v55, v82, v86, v55 op_sel:[0,1,0]
	v_pk_fma_f16 v56, v82, v87, v56 op_sel:[0,1,0]
	v_add_co_ci_u32_e32 v227, vcc_lo, s20, v28, vcc_lo
	v_pk_fma_f16 v49, v83, v86, v49 op_sel:[0,1,0]
	v_pk_fma_f16 v50, v83, v87, v50 op_sel_hi:[1,0,1]
	v_pk_fma_f16 v51, v83, v87, v51 op_sel:[0,1,0]
	v_pk_fma_f16 v54, v84, v88, v54 op_sel_hi:[1,0,1]
	v_add_co_u32 v228, vcc_lo, s19, v29
	v_add_co_ci_u32_e32 v229, vcc_lo, s20, v30, vcc_lo
	v_add_co_u32 v234, vcc_lo, v226, v48
	v_pk_fma_f16 v55, v84, v88, v55 op_sel:[0,1,0]
	v_pk_fma_f16 v57, v84, v89, v57 op_sel_hi:[1,0,1]
	v_pk_fma_f16 v56, v84, v89, v56 op_sel:[0,1,0]
	v_pk_fma_f16 v58, v85, v88, v58 op_sel_hi:[1,0,1]
	;; [unrolled: 2-line block ×3, first 2 shown]
	v_pk_fma_f16 v244, v85, v89, v51 op_sel:[0,1,0]
	s_waitcnt lgkmcnt(0)
	v_pk_fma_f16 v245, v4, v8, v54 op_sel_hi:[1,0,1]
	v_add_nc_u32_e32 v54, 0x1800, v43
	v_add_nc_u32_e32 v51, 0x2000, v43
	;; [unrolled: 1-line block ×4, first 2 shown]
	v_add_co_ci_u32_e32 v235, vcc_lo, 0, v227, vcc_lo
	v_add_co_u32 v238, vcc_lo, v228, v48
	v_add_co_ci_u32_e32 v239, vcc_lo, 0, v229, vcc_lo
	v_pk_fma_f16 v246, v4, v8, v55 op_sel:[0,1,0]
	v_pk_fma_f16 v247, v4, v9, v57 op_sel_hi:[1,0,1]
	v_pk_fma_f16 v248, v4, v9, v56 op_sel:[0,1,0]
	v_add_nc_u32_e32 v4, 0x3800, v43
	v_pk_fma_f16 v249, v5, v8, v58 op_sel_hi:[1,0,1]
	ds_load_2addr_b64 v[55:58], v54 offset1:32
	ds_load_2addr_b64 v[70:73], v54 offset0:64 offset1:96
	ds_load_b128 v[74:77], v42 offset:192
	ds_load_b128 v[78:81], v42 offset:208
	ds_load_2addr_b64 v[82:85], v54 offset0:128 offset1:160
	ds_load_2addr_b64 v[86:89], v54 offset0:192 offset1:224
	ds_load_b128 v[90:93], v42 offset:224
	ds_load_b128 v[94:97], v42 offset:240
	ds_load_2addr_b64 v[98:101], v51 offset1:32
	ds_load_2addr_b64 v[102:105], v51 offset0:64 offset1:96
	ds_load_b128 v[106:109], v42 offset:256
	ds_load_b128 v[110:113], v42 offset:272
	ds_load_2addr_b64 v[114:117], v51 offset0:128 offset1:160
	ds_load_2addr_b64 v[118:121], v51 offset0:192 offset1:224
	ds_load_b128 v[122:125], v42 offset:288
	ds_load_b128 v[126:129], v42 offset:304
	;; [unrolled: 8-line block ×5, first 2 shown]
	s_waitcnt lgkmcnt(0)
	s_barrier
	buffer_gl0_inv
	s_clause 0x3
	global_load_b128 v[226:229], v[59:60], off
	global_load_b128 v[230:233], v[230:231], off
	global_load_b128 v[234:237], v[234:235], off
	global_load_b128 v[238:241], v[238:239], off
	v_pk_fma_f16 v8, v5, v8, v242 op_sel:[0,1,0]
	v_pk_fma_f16 v59, v5, v9, v243 op_sel_hi:[1,0,1]
	v_pk_fma_f16 v5, v5, v9, v244 op_sel:[0,1,0]
	v_pk_fma_f16 v9, v6, v10, v245 op_sel_hi:[1,0,1]
	;; [unrolled: 2-line block ×8, first 2 shown]
	v_pk_fma_f16 v8, v56, v74, v8 op_sel:[0,1,0]
	v_pk_fma_f16 v5, v56, v75, v5 op_sel:[0,1,0]
	v_pk_fma_f16 v7, v57, v76, v7 op_sel_hi:[1,0,1]
	v_pk_fma_f16 v6, v57, v77, v6 op_sel:[0,1,0]
	v_pk_fma_f16 v55, v58, v76, v55 op_sel_hi:[1,0,1]
	v_pk_fma_f16 v8, v58, v76, v8 op_sel:[0,1,0]
	v_pk_fma_f16 v5, v58, v77, v5 op_sel:[0,1,0]
	v_pk_fma_f16 v7, v70, v78, v7 op_sel_hi:[1,0,1]
	v_pk_fma_f16 v10, v56, v75, v10 op_sel_hi:[1,0,1]
	v_pk_fma_f16 v9, v57, v76, v9 op_sel:[0,1,0]
	v_pk_fma_f16 v11, v57, v77, v11 op_sel_hi:[1,0,1]
	v_pk_fma_f16 v6, v70, v79, v6 op_sel:[0,1,0]
	v_pk_fma_f16 v55, v71, v78, v55 op_sel_hi:[1,0,1]
	v_pk_fma_f16 v8, v71, v78, v8 op_sel:[0,1,0]
	v_pk_fma_f16 v5, v71, v79, v5 op_sel:[0,1,0]
	v_pk_fma_f16 v7, v72, v80, v7 op_sel_hi:[1,0,1]
	v_pk_fma_f16 v10, v58, v77, v10 op_sel_hi:[1,0,1]
	;; [unrolled: 8-line block ×36, first 2 shown]
	v_pk_fma_f16 v9, v210, v218, v9 op_sel:[0,1,0]
	v_pk_fma_f16 v11, v210, v219, v11 op_sel_hi:[1,0,1]
	v_pk_fma_f16 v59, v212, v221, v6 op_sel:[0,1,0]
	v_pk_fma_f16 v60, v213, v220, v55 op_sel_hi:[1,0,1]
	v_pk_fma_f16 v70, v213, v220, v8 op_sel:[0,1,0]
	v_pk_fma_f16 v71, v213, v221, v5 op_sel:[0,1,0]
	v_pk_fma_f16 v72, v214, v222, v7 op_sel_hi:[1,0,1]
	s_waitcnt vmcnt(3)
	ds_store_b128 v41, v[226:229]
	s_waitcnt vmcnt(2)
	ds_store_b128 v44, v[230:233]
	;; [unrolled: 2-line block ×4, first 2 shown]
	s_waitcnt lgkmcnt(0)
	s_barrier
	buffer_gl0_inv
	ds_load_2addr_b64 v[5:8], v43 offset1:32
	ds_load_b128 v[55:58], v42 offset:512
	v_pk_fma_f16 v10, v211, v219, v10 op_sel_hi:[1,0,1]
	v_pk_fma_f16 v9, v212, v220, v9 op_sel:[0,1,0]
	v_pk_fma_f16 v11, v212, v221, v11 op_sel_hi:[1,0,1]
	v_pk_fma_f16 v70, v215, v222, v70 op_sel:[0,1,0]
	v_pk_fma_f16 v71, v215, v223, v71 op_sel:[0,1,0]
	v_pk_fma_f16 v10, v213, v221, v10 op_sel_hi:[1,0,1]
	v_pk_fma_f16 v9, v214, v222, v9 op_sel:[0,1,0]
	v_pk_fma_f16 v11, v214, v223, v11 op_sel_hi:[1,0,1]
	;; [unrolled: 2-line block ×3, first 2 shown]
	v_pk_fma_f16 v86, v216, v224, v72 op_sel_hi:[1,0,1]
	v_pk_fma_f16 v87, v217, v224, v70 op_sel:[0,1,0]
	v_pk_fma_f16 v88, v217, v225, v71 op_sel:[0,1,0]
	ds_load_b128 v[70:73], v42 offset:528
	ds_load_2addr_b64 v[74:77], v43 offset0:64 offset1:96
	ds_load_b128 v[78:81], v42 offset:544
	ds_load_b128 v[82:85], v42 offset:560
	v_pk_fma_f16 v10, v215, v223, v10 op_sel_hi:[1,0,1]
	v_pk_fma_f16 v9, v216, v224, v9 op_sel:[0,1,0]
	v_pk_fma_f16 v11, v216, v225, v11 op_sel_hi:[1,0,1]
	v_pk_fma_f16 v59, v216, v225, v59 op_sel:[0,1,0]
	v_pk_fma_f16 v60, v217, v224, v60 op_sel_hi:[1,0,1]
	v_pk_fma_f16 v10, v217, v225, v10 op_sel_hi:[1,0,1]
	s_waitcnt lgkmcnt(4)
	v_pk_fma_f16 v86, v5, v55, v86 op_sel_hi:[1,0,1]
	v_pk_fma_f16 v9, v5, v55, v9 op_sel:[0,1,0]
	v_pk_fma_f16 v11, v5, v56, v11 op_sel_hi:[1,0,1]
	v_pk_fma_f16 v5, v5, v56, v59 op_sel:[0,1,0]
	;; [unrolled: 2-line block ×6, first 2 shown]
	v_pk_fma_f16 v7, v8, v57, v59 op_sel_hi:[1,0,1]
	ds_load_2addr_b64 v[86:89], v43 offset0:128 offset1:160
	v_pk_fma_f16 v55, v8, v57, v55 op_sel:[0,1,0]
	v_pk_fma_f16 v10, v8, v58, v10 op_sel_hi:[1,0,1]
	v_pk_fma_f16 v6, v8, v58, v6 op_sel:[0,1,0]
	s_waitcnt lgkmcnt(3)
	v_pk_fma_f16 v8, v74, v70, v56 op_sel_hi:[1,0,1]
	v_pk_fma_f16 v5, v74, v71, v5 op_sel:[0,1,0]
	v_pk_fma_f16 v7, v75, v70, v7 op_sel_hi:[1,0,1]
	v_pk_fma_f16 v9, v74, v70, v9 op_sel:[0,1,0]
	;; [unrolled: 2-line block ×3, first 2 shown]
	v_pk_fma_f16 v56, v75, v71, v6 op_sel:[0,1,0]
	v_pk_fma_f16 v57, v76, v72, v8 op_sel_hi:[1,0,1]
	v_pk_fma_f16 v58, v76, v73, v5 op_sel:[0,1,0]
	v_pk_fma_f16 v59, v77, v72, v7 op_sel_hi:[1,0,1]
	ds_load_2addr_b64 v[5:8], v43 offset0:192 offset1:224
	v_pk_fma_f16 v10, v75, v71, v10 op_sel_hi:[1,0,1]
	v_pk_fma_f16 v9, v76, v72, v9 op_sel:[0,1,0]
	v_pk_fma_f16 v11, v76, v73, v11 op_sel_hi:[1,0,1]
	v_pk_fma_f16 v55, v77, v72, v55 op_sel:[0,1,0]
	v_pk_fma_f16 v56, v77, v73, v56 op_sel:[0,1,0]
	v_pk_fma_f16 v10, v77, v73, v10 op_sel_hi:[1,0,1]
	s_waitcnt lgkmcnt(1)
	v_pk_fma_f16 v57, v86, v78, v57 op_sel_hi:[1,0,1]
	v_pk_fma_f16 v9, v86, v78, v9 op_sel:[0,1,0]
	v_pk_fma_f16 v11, v86, v79, v11 op_sel_hi:[1,0,1]
	v_pk_fma_f16 v58, v86, v79, v58 op_sel:[0,1,0]
	;; [unrolled: 2-line block ×7, first 2 shown]
	ds_load_2addr_b64 v[55:58], v52 offset1:32
	ds_load_b128 v[70:73], v42 offset:576
	v_pk_fma_f16 v10, v89, v81, v10 op_sel_hi:[1,0,1]
	v_pk_fma_f16 v60, v89, v81, v60 op_sel:[0,1,0]
	s_waitcnt lgkmcnt(2)
	v_pk_fma_f16 v74, v5, v82, v74 op_sel_hi:[1,0,1]
	v_pk_fma_f16 v9, v5, v82, v9 op_sel:[0,1,0]
	v_pk_fma_f16 v11, v5, v83, v11 op_sel_hi:[1,0,1]
	v_pk_fma_f16 v5, v5, v83, v75 op_sel:[0,1,0]
	;; [unrolled: 2-line block ×7, first 2 shown]
	ds_load_2addr_b64 v[74:77], v52 offset0:64 offset1:96
	ds_load_b128 v[78:81], v42 offset:592
	v_pk_fma_f16 v10, v8, v85, v10 op_sel_hi:[1,0,1]
	v_pk_fma_f16 v6, v8, v85, v6 op_sel:[0,1,0]
	s_waitcnt lgkmcnt(2)
	v_pk_fma_f16 v8, v55, v70, v60 op_sel_hi:[1,0,1]
	v_pk_fma_f16 v9, v55, v70, v9 op_sel:[0,1,0]
	v_pk_fma_f16 v11, v55, v71, v11 op_sel_hi:[1,0,1]
	v_pk_fma_f16 v5, v55, v71, v5 op_sel:[0,1,0]
	;; [unrolled: 2-line block ×7, first 2 shown]
	ds_load_2addr_b64 v[5:8], v52 offset0:128 offset1:160
	ds_load_b128 v[82:85], v42 offset:608
	v_pk_fma_f16 v10, v58, v73, v10 op_sel_hi:[1,0,1]
	v_pk_fma_f16 v56, v58, v73, v56 op_sel:[0,1,0]
	s_waitcnt lgkmcnt(2)
	v_pk_fma_f16 v58, v74, v78, v59 op_sel_hi:[1,0,1]
	v_pk_fma_f16 v9, v74, v78, v9 op_sel:[0,1,0]
	v_pk_fma_f16 v11, v74, v79, v11 op_sel_hi:[1,0,1]
	v_pk_fma_f16 v57, v74, v79, v57 op_sel:[0,1,0]
	v_pk_fma_f16 v55, v75, v78, v55 op_sel:[0,1,0]
	v_pk_fma_f16 v59, v75, v78, v60 op_sel_hi:[1,0,1]
	v_pk_fma_f16 v10, v75, v79, v10 op_sel_hi:[1,0,1]
	v_pk_fma_f16 v60, v75, v79, v56 op_sel:[0,1,0]
	v_pk_fma_f16 v74, v76, v80, v58 op_sel_hi:[1,0,1]
	v_pk_fma_f16 v9, v76, v80, v9 op_sel:[0,1,0]
	;; [unrolled: 2-line block ×3, first 2 shown]
	v_pk_fma_f16 v76, v77, v80, v55 op_sel:[0,1,0]
	ds_load_2addr_b64 v[55:58], v52 offset0:192 offset1:224
	ds_load_b128 v[70:73], v42 offset:624
	v_pk_fma_f16 v59, v77, v80, v59 op_sel_hi:[1,0,1]
	v_pk_fma_f16 v10, v77, v81, v10 op_sel_hi:[1,0,1]
	v_pk_fma_f16 v52, v77, v81, v60 op_sel:[0,1,0]
	s_waitcnt lgkmcnt(2)
	v_pk_fma_f16 v60, v5, v82, v74 op_sel_hi:[1,0,1]
	v_pk_fma_f16 v9, v5, v82, v9 op_sel:[0,1,0]
	v_pk_fma_f16 v11, v5, v83, v11 op_sel_hi:[1,0,1]
	v_pk_fma_f16 v5, v5, v83, v75 op_sel:[0,1,0]
	;; [unrolled: 2-line block ×7, first 2 shown]
	ds_load_2addr_b64 v[74:77], v53 offset1:32
	ds_load_b128 v[78:81], v42 offset:640
	v_pk_fma_f16 v10, v8, v85, v10 op_sel_hi:[1,0,1]
	v_pk_fma_f16 v6, v8, v85, v6 op_sel:[0,1,0]
	s_waitcnt lgkmcnt(2)
	v_pk_fma_f16 v8, v55, v70, v52 op_sel_hi:[1,0,1]
	v_pk_fma_f16 v9, v55, v70, v9 op_sel:[0,1,0]
	v_pk_fma_f16 v11, v55, v71, v11 op_sel_hi:[1,0,1]
	v_pk_fma_f16 v5, v55, v71, v5 op_sel:[0,1,0]
	v_pk_fma_f16 v7, v56, v70, v7 op_sel_hi:[1,0,1]
	v_pk_fma_f16 v52, v56, v70, v59 op_sel:[0,1,0]
	v_pk_fma_f16 v10, v56, v71, v10 op_sel_hi:[1,0,1]
	v_pk_fma_f16 v55, v56, v71, v6 op_sel:[0,1,0]
	v_pk_fma_f16 v56, v57, v72, v8 op_sel_hi:[1,0,1]
	v_pk_fma_f16 v9, v57, v72, v9 op_sel:[0,1,0]
	v_pk_fma_f16 v11, v57, v73, v11 op_sel_hi:[1,0,1]
	v_pk_fma_f16 v57, v57, v73, v5 op_sel:[0,1,0]
	v_pk_fma_f16 v59, v58, v72, v7 op_sel_hi:[1,0,1]
	ds_load_2addr_b64 v[5:8], v53 offset0:64 offset1:96
	ds_load_b128 v[82:85], v42 offset:656
	v_pk_fma_f16 v52, v58, v72, v52 op_sel:[0,1,0]
	v_pk_fma_f16 v10, v58, v73, v10 op_sel_hi:[1,0,1]
	v_pk_fma_f16 v55, v58, v73, v55 op_sel:[0,1,0]
	s_waitcnt lgkmcnt(2)
	v_pk_fma_f16 v56, v74, v78, v56 op_sel_hi:[1,0,1]
	v_pk_fma_f16 v9, v74, v78, v9 op_sel:[0,1,0]
	v_pk_fma_f16 v11, v74, v79, v11 op_sel_hi:[1,0,1]
	v_pk_fma_f16 v57, v74, v79, v57 op_sel:[0,1,0]
	v_pk_fma_f16 v58, v75, v78, v59 op_sel_hi:[1,0,1]
	v_pk_fma_f16 v52, v75, v78, v52 op_sel:[0,1,0]
	v_pk_fma_f16 v10, v75, v79, v10 op_sel_hi:[1,0,1]
	v_pk_fma_f16 v59, v75, v79, v55 op_sel:[0,1,0]
	v_pk_fma_f16 v60, v76, v80, v56 op_sel_hi:[1,0,1]
	v_pk_fma_f16 v9, v76, v80, v9 op_sel:[0,1,0]
	v_pk_fma_f16 v11, v76, v81, v11 op_sel_hi:[1,0,1]
	v_pk_fma_f16 v74, v76, v81, v57 op_sel:[0,1,0]
	v_pk_fma_f16 v75, v77, v80, v58 op_sel_hi:[1,0,1]
	ds_load_2addr_b64 v[55:58], v53 offset0:128 offset1:160
	ds_load_b128 v[70:73], v42 offset:672
	v_pk_fma_f16 v52, v77, v80, v52 op_sel:[0,1,0]
	;; [unrolled: 19-line block ×3, first 2 shown]
	v_pk_fma_f16 v10, v8, v85, v10 op_sel_hi:[1,0,1]
	v_pk_fma_f16 v6, v8, v85, v6 op_sel:[0,1,0]
	s_waitcnt lgkmcnt(2)
	v_pk_fma_f16 v8, v55, v70, v59 op_sel_hi:[1,0,1]
	v_pk_fma_f16 v9, v55, v70, v9 op_sel:[0,1,0]
	v_pk_fma_f16 v11, v55, v71, v11 op_sel_hi:[1,0,1]
	v_pk_fma_f16 v5, v55, v71, v5 op_sel:[0,1,0]
	;; [unrolled: 2-line block ×6, first 2 shown]
	v_pk_fma_f16 v57, v58, v72, v7 op_sel_hi:[1,0,1]
	ds_load_2addr_b64 v[5:8], v54 offset1:32
	ds_load_b128 v[82:85], v42 offset:704
	v_pk_fma_f16 v52, v58, v72, v52 op_sel:[0,1,0]
	v_pk_fma_f16 v10, v58, v73, v10 op_sel_hi:[1,0,1]
	s_waitcnt lgkmcnt(2)
	v_pk_fma_f16 v55, v74, v78, v55 op_sel_hi:[1,0,1]
	v_pk_fma_f16 v56, v74, v79, v56 op_sel:[0,1,0]
	v_pk_fma_f16 v57, v75, v78, v57 op_sel_hi:[1,0,1]
	v_pk_fma_f16 v53, v58, v73, v53 op_sel:[0,1,0]
	v_pk_fma_f16 v9, v74, v78, v9 op_sel:[0,1,0]
	v_pk_fma_f16 v11, v74, v79, v11 op_sel_hi:[1,0,1]
	v_pk_fma_f16 v52, v75, v78, v52 op_sel:[0,1,0]
	v_pk_fma_f16 v59, v76, v80, v55 op_sel_hi:[1,0,1]
	;; [unrolled: 2-line block ×3, first 2 shown]
	ds_load_2addr_b64 v[55:58], v54 offset0:64 offset1:96
	ds_load_b128 v[70:73], v42 offset:720
	v_pk_fma_f16 v10, v75, v79, v10 op_sel_hi:[1,0,1]
	v_pk_fma_f16 v53, v75, v79, v53 op_sel:[0,1,0]
	v_pk_fma_f16 v9, v76, v80, v9 op_sel:[0,1,0]
	v_pk_fma_f16 v11, v76, v81, v11 op_sel_hi:[1,0,1]
	v_pk_fma_f16 v52, v77, v80, v52 op_sel:[0,1,0]
	v_pk_fma_f16 v10, v77, v81, v10 op_sel_hi:[1,0,1]
	v_pk_fma_f16 v53, v77, v81, v53 op_sel:[0,1,0]
	s_waitcnt lgkmcnt(2)
	v_pk_fma_f16 v59, v5, v82, v59 op_sel_hi:[1,0,1]
	v_pk_fma_f16 v9, v5, v82, v9 op_sel:[0,1,0]
	v_pk_fma_f16 v11, v5, v83, v11 op_sel_hi:[1,0,1]
	v_pk_fma_f16 v5, v5, v83, v60 op_sel:[0,1,0]
	;; [unrolled: 2-line block ×7, first 2 shown]
	ds_load_2addr_b64 v[74:77], v54 offset0:128 offset1:160
	ds_load_b128 v[78:81], v42 offset:736
	v_pk_fma_f16 v10, v8, v85, v10 op_sel_hi:[1,0,1]
	v_pk_fma_f16 v6, v8, v85, v6 op_sel:[0,1,0]
	s_waitcnt lgkmcnt(2)
	v_pk_fma_f16 v8, v55, v70, v53 op_sel_hi:[1,0,1]
	v_pk_fma_f16 v9, v55, v70, v9 op_sel:[0,1,0]
	v_pk_fma_f16 v11, v55, v71, v11 op_sel_hi:[1,0,1]
	v_pk_fma_f16 v5, v55, v71, v5 op_sel:[0,1,0]
	;; [unrolled: 2-line block ×7, first 2 shown]
	ds_load_2addr_b64 v[5:8], v54 offset0:192 offset1:224
	ds_load_b128 v[52:55], v42 offset:752
	v_pk_fma_f16 v10, v58, v73, v10 op_sel_hi:[1,0,1]
	v_pk_fma_f16 v56, v58, v73, v56 op_sel:[0,1,0]
	s_waitcnt lgkmcnt(2)
	v_pk_fma_f16 v58, v74, v78, v59 op_sel_hi:[1,0,1]
	v_pk_fma_f16 v9, v74, v78, v9 op_sel:[0,1,0]
	v_pk_fma_f16 v11, v74, v79, v11 op_sel_hi:[1,0,1]
	v_pk_fma_f16 v57, v74, v79, v57 op_sel:[0,1,0]
	;; [unrolled: 2-line block ×6, first 2 shown]
	v_pk_fma_f16 v78, v77, v80, v59 op_sel_hi:[1,0,1]
	ds_load_2addr_b64 v[56:59], v51 offset1:32
	ds_load_b128 v[70:73], v42 offset:768
	v_pk_fma_f16 v60, v77, v80, v60 op_sel:[0,1,0]
	v_pk_fma_f16 v10, v77, v81, v10 op_sel_hi:[1,0,1]
	v_pk_fma_f16 v74, v77, v81, v74 op_sel:[0,1,0]
	s_waitcnt lgkmcnt(2)
	v_pk_fma_f16 v75, v5, v52, v75 op_sel_hi:[1,0,1]
	v_pk_fma_f16 v9, v5, v52, v9 op_sel:[0,1,0]
	v_pk_fma_f16 v11, v5, v53, v11 op_sel_hi:[1,0,1]
	v_pk_fma_f16 v5, v5, v53, v76 op_sel:[0,1,0]
	;; [unrolled: 2-line block ×6, first 2 shown]
	v_pk_fma_f16 v7, v8, v54, v76 op_sel_hi:[1,0,1]
	ds_load_2addr_b64 v[74:77], v51 offset0:64 offset1:96
	ds_load_b128 v[78:81], v42 offset:784
	v_pk_fma_f16 v52, v8, v54, v52 op_sel:[0,1,0]
	v_pk_fma_f16 v10, v8, v55, v10 op_sel_hi:[1,0,1]
	v_pk_fma_f16 v6, v8, v55, v6 op_sel:[0,1,0]
	s_waitcnt lgkmcnt(2)
	v_pk_fma_f16 v8, v56, v70, v53 op_sel_hi:[1,0,1]
	v_pk_fma_f16 v9, v56, v70, v9 op_sel:[0,1,0]
	v_pk_fma_f16 v11, v56, v71, v11 op_sel_hi:[1,0,1]
	v_pk_fma_f16 v5, v56, v71, v5 op_sel:[0,1,0]
	;; [unrolled: 2-line block ×7, first 2 shown]
	ds_load_2addr_b64 v[5:8], v51 offset0:128 offset1:160
	ds_load_b128 v[52:55], v42 offset:800
	v_pk_fma_f16 v10, v59, v73, v10 op_sel_hi:[1,0,1]
	v_pk_fma_f16 v56, v59, v73, v56 op_sel:[0,1,0]
	s_waitcnt lgkmcnt(2)
	v_pk_fma_f16 v57, v74, v78, v57 op_sel_hi:[1,0,1]
	v_pk_fma_f16 v9, v74, v78, v9 op_sel:[0,1,0]
	v_pk_fma_f16 v11, v74, v79, v11 op_sel_hi:[1,0,1]
	v_pk_fma_f16 v58, v74, v79, v58 op_sel:[0,1,0]
	v_pk_fma_f16 v59, v75, v78, v60 op_sel_hi:[1,0,1]
	v_pk_fma_f16 v60, v75, v78, v70 op_sel:[0,1,0]
	v_pk_fma_f16 v10, v75, v79, v10 op_sel_hi:[1,0,1]
	v_pk_fma_f16 v74, v75, v79, v56 op_sel:[0,1,0]
	v_pk_fma_f16 v75, v76, v80, v57 op_sel_hi:[1,0,1]
	v_pk_fma_f16 v9, v76, v80, v9 op_sel:[0,1,0]
	v_pk_fma_f16 v11, v76, v81, v11 op_sel_hi:[1,0,1]
	v_pk_fma_f16 v76, v76, v81, v58 op_sel:[0,1,0]
	v_pk_fma_f16 v78, v77, v80, v59 op_sel_hi:[1,0,1]
	ds_load_2addr_b64 v[56:59], v51 offset0:192 offset1:224
	ds_load_b128 v[70:73], v42 offset:816
	v_pk_fma_f16 v60, v77, v80, v60 op_sel:[0,1,0]
	v_pk_fma_f16 v10, v77, v81, v10 op_sel_hi:[1,0,1]
	v_pk_fma_f16 v51, v77, v81, v74 op_sel:[0,1,0]
	s_waitcnt lgkmcnt(2)
	v_pk_fma_f16 v74, v5, v52, v75 op_sel_hi:[1,0,1]
	v_pk_fma_f16 v9, v5, v52, v9 op_sel:[0,1,0]
	v_pk_fma_f16 v11, v5, v53, v11 op_sel_hi:[1,0,1]
	v_pk_fma_f16 v5, v5, v53, v76 op_sel:[0,1,0]
	;; [unrolled: 2-line block ×7, first 2 shown]
	ds_load_2addr_b64 v[51:54], v50 offset1:32
	ds_load_b128 v[74:77], v42 offset:832
	v_pk_fma_f16 v10, v8, v55, v10 op_sel_hi:[1,0,1]
	v_pk_fma_f16 v6, v8, v55, v6 op_sel:[0,1,0]
	s_waitcnt lgkmcnt(2)
	v_pk_fma_f16 v8, v56, v70, v60 op_sel_hi:[1,0,1]
	v_pk_fma_f16 v9, v56, v70, v9 op_sel:[0,1,0]
	v_pk_fma_f16 v11, v56, v71, v11 op_sel_hi:[1,0,1]
	v_pk_fma_f16 v5, v56, v71, v5 op_sel:[0,1,0]
	v_pk_fma_f16 v7, v57, v70, v7 op_sel_hi:[1,0,1]
	v_pk_fma_f16 v55, v57, v70, v78 op_sel:[0,1,0]
	v_pk_fma_f16 v10, v57, v71, v10 op_sel_hi:[1,0,1]
	v_pk_fma_f16 v60, v57, v71, v6 op_sel:[0,1,0]
	v_pk_fma_f16 v70, v58, v72, v8 op_sel_hi:[1,0,1]
	v_pk_fma_f16 v9, v58, v72, v9 op_sel:[0,1,0]
	v_pk_fma_f16 v11, v58, v73, v11 op_sel_hi:[1,0,1]
	v_pk_fma_f16 v71, v58, v73, v5 op_sel:[0,1,0]
	v_pk_fma_f16 v78, v59, v72, v7 op_sel_hi:[1,0,1]
	v_pk_fma_f16 v72, v59, v72, v55 op_sel:[0,1,0]
	ds_load_2addr_b64 v[5:8], v50 offset0:64 offset1:96
	ds_load_b128 v[55:58], v42 offset:848
	v_pk_fma_f16 v10, v59, v73, v10 op_sel_hi:[1,0,1]
	v_pk_fma_f16 v59, v59, v73, v60 op_sel:[0,1,0]
	s_waitcnt lgkmcnt(2)
	v_pk_fma_f16 v60, v51, v74, v70 op_sel_hi:[1,0,1]
	v_pk_fma_f16 v9, v51, v74, v9 op_sel:[0,1,0]
	v_pk_fma_f16 v11, v51, v75, v11 op_sel_hi:[1,0,1]
	v_pk_fma_f16 v51, v51, v75, v71 op_sel:[0,1,0]
	v_pk_fma_f16 v70, v52, v74, v78 op_sel_hi:[1,0,1]
	v_pk_fma_f16 v71, v52, v74, v72 op_sel:[0,1,0]
	v_pk_fma_f16 v10, v52, v75, v10 op_sel_hi:[1,0,1]
	v_pk_fma_f16 v52, v52, v75, v59 op_sel:[0,1,0]
	v_pk_fma_f16 v59, v53, v76, v60 op_sel_hi:[1,0,1]
	v_pk_fma_f16 v9, v53, v76, v9 op_sel:[0,1,0]
	v_pk_fma_f16 v11, v53, v77, v11 op_sel_hi:[1,0,1]
	v_pk_fma_f16 v51, v53, v77, v51 op_sel:[0,1,0]
	v_pk_fma_f16 v53, v54, v76, v70 op_sel_hi:[1,0,1]
	v_pk_fma_f16 v60, v54, v76, v71 op_sel:[0,1,0]
	ds_load_2addr_b64 v[70:73], v50 offset0:128 offset1:160
	;; [unrolled: 19-line block ×3, first 2 shown]
	ds_load_b128 v[54:57], v42 offset:880
	v_pk_fma_f16 v10, v8, v58, v10 op_sel_hi:[1,0,1]
	v_pk_fma_f16 v6, v8, v58, v6 op_sel:[0,1,0]
	s_waitcnt lgkmcnt(2)
	v_pk_fma_f16 v8, v70, v78, v59 op_sel_hi:[1,0,1]
	v_pk_fma_f16 v9, v70, v78, v9 op_sel:[0,1,0]
	v_pk_fma_f16 v11, v70, v79, v11 op_sel_hi:[1,0,1]
	v_pk_fma_f16 v5, v70, v79, v5 op_sel:[0,1,0]
	;; [unrolled: 2-line block ×6, first 2 shown]
	v_pk_fma_f16 v71, v73, v80, v7 op_sel_hi:[1,0,1]
	ds_load_2addr_b64 v[5:8], v49 offset1:32
	ds_load_b128 v[74:77], v42 offset:896
	v_pk_fma_f16 v58, v73, v80, v58 op_sel:[0,1,0]
	v_pk_fma_f16 v10, v73, v81, v10 op_sel_hi:[1,0,1]
	v_pk_fma_f16 v59, v73, v81, v59 op_sel:[0,1,0]
	s_waitcnt lgkmcnt(2)
	v_pk_fma_f16 v60, v50, v54, v60 op_sel_hi:[1,0,1]
	v_pk_fma_f16 v9, v50, v54, v9 op_sel:[0,1,0]
	v_pk_fma_f16 v11, v50, v55, v11 op_sel_hi:[1,0,1]
	v_pk_fma_f16 v50, v50, v55, v70 op_sel:[0,1,0]
	;; [unrolled: 2-line block ×6, first 2 shown]
	v_pk_fma_f16 v52, v53, v56, v70 op_sel_hi:[1,0,1]
	ds_load_2addr_b64 v[70:73], v49 offset0:64 offset1:96
	ds_load_b128 v[78:81], v42 offset:912
	v_pk_fma_f16 v54, v53, v56, v54 op_sel:[0,1,0]
	v_pk_fma_f16 v10, v53, v57, v10 op_sel_hi:[1,0,1]
	v_pk_fma_f16 v51, v53, v57, v51 op_sel:[0,1,0]
	s_waitcnt lgkmcnt(2)
	v_pk_fma_f16 v53, v5, v74, v55 op_sel_hi:[1,0,1]
	v_pk_fma_f16 v9, v5, v74, v9 op_sel:[0,1,0]
	v_pk_fma_f16 v11, v5, v75, v11 op_sel_hi:[1,0,1]
	v_pk_fma_f16 v5, v5, v75, v50 op_sel:[0,1,0]
	;; [unrolled: 2-line block ×7, first 2 shown]
	ds_load_2addr_b64 v[50:53], v49 offset0:128 offset1:160
	ds_load_b128 v[54:57], v42 offset:928
	v_pk_fma_f16 v10, v8, v77, v10 op_sel_hi:[1,0,1]
	v_pk_fma_f16 v6, v8, v77, v6 op_sel:[0,1,0]
	s_waitcnt lgkmcnt(2)
	v_pk_fma_f16 v8, v70, v78, v58 op_sel_hi:[1,0,1]
	v_pk_fma_f16 v5, v70, v79, v5 op_sel:[0,1,0]
	v_pk_fma_f16 v7, v71, v78, v7 op_sel_hi:[1,0,1]
	v_pk_fma_f16 v9, v70, v78, v9 op_sel:[0,1,0]
	;; [unrolled: 2-line block ×5, first 2 shown]
	v_pk_fma_f16 v71, v73, v80, v7 op_sel_hi:[1,0,1]
	ds_load_2addr_b64 v[5:8], v49 offset0:192 offset1:224
	ds_load_b128 v[74:77], v42 offset:944
	v_pk_fma_f16 v9, v72, v80, v9 op_sel:[0,1,0]
	v_pk_fma_f16 v11, v72, v81, v11 op_sel_hi:[1,0,1]
	v_pk_fma_f16 v58, v73, v80, v58 op_sel:[0,1,0]
	v_pk_fma_f16 v10, v73, v81, v10 op_sel_hi:[1,0,1]
	v_pk_fma_f16 v49, v73, v81, v59 op_sel:[0,1,0]
	s_waitcnt lgkmcnt(2)
	v_pk_fma_f16 v59, v50, v54, v60 op_sel_hi:[1,0,1]
	v_pk_fma_f16 v9, v50, v54, v9 op_sel:[0,1,0]
	v_pk_fma_f16 v11, v50, v55, v11 op_sel_hi:[1,0,1]
	v_pk_fma_f16 v50, v50, v55, v70 op_sel:[0,1,0]
	v_pk_fma_f16 v60, v51, v54, v71 op_sel_hi:[1,0,1]
	v_pk_fma_f16 v54, v51, v54, v58 op_sel:[0,1,0]
	v_pk_fma_f16 v10, v51, v55, v10 op_sel_hi:[1,0,1]
	v_pk_fma_f16 v55, v51, v55, v49 op_sel:[0,1,0]
	v_pk_fma_f16 v58, v52, v56, v59 op_sel_hi:[1,0,1]
	v_pk_fma_f16 v9, v52, v56, v9 op_sel:[0,1,0]
	v_pk_fma_f16 v11, v52, v57, v11 op_sel_hi:[1,0,1]
	v_pk_fma_f16 v59, v52, v57, v50 op_sel:[0,1,0]
	v_pk_fma_f16 v60, v53, v56, v60 op_sel_hi:[1,0,1]
	v_pk_fma_f16 v54, v53, v56, v54 op_sel:[0,1,0]
	ds_load_2addr_b64 v[49:52], v4 offset1:32
	ds_load_b128 v[70:73], v42 offset:960
	v_pk_fma_f16 v10, v53, v57, v10 op_sel_hi:[1,0,1]
	v_pk_fma_f16 v53, v53, v57, v55 op_sel:[0,1,0]
	s_waitcnt lgkmcnt(2)
	v_pk_fma_f16 v55, v5, v74, v58 op_sel_hi:[1,0,1]
	v_pk_fma_f16 v9, v5, v74, v9 op_sel:[0,1,0]
	v_pk_fma_f16 v11, v5, v75, v11 op_sel_hi:[1,0,1]
	v_pk_fma_f16 v5, v5, v75, v59 op_sel:[0,1,0]
	;; [unrolled: 2-line block ×7, first 2 shown]
	ds_load_2addr_b64 v[53:56], v4 offset0:64 offset1:96
	ds_load_b128 v[57:60], v42 offset:976
	v_pk_fma_f16 v10, v8, v77, v10 op_sel_hi:[1,0,1]
	v_pk_fma_f16 v6, v8, v77, v6 op_sel:[0,1,0]
	s_waitcnt lgkmcnt(2)
	v_pk_fma_f16 v8, v49, v70, v74 op_sel_hi:[1,0,1]
	v_pk_fma_f16 v9, v49, v70, v9 op_sel:[0,1,0]
	v_pk_fma_f16 v11, v49, v71, v11 op_sel_hi:[1,0,1]
	v_pk_fma_f16 v5, v49, v71, v5 op_sel:[0,1,0]
	v_pk_fma_f16 v7, v50, v70, v7 op_sel_hi:[1,0,1]
	v_pk_fma_f16 v49, v50, v70, v75 op_sel:[0,1,0]
	v_pk_fma_f16 v10, v50, v71, v10 op_sel_hi:[1,0,1]
	v_pk_fma_f16 v50, v50, v71, v6 op_sel:[0,1,0]
	v_pk_fma_f16 v70, v51, v72, v8 op_sel_hi:[1,0,1]
	v_pk_fma_f16 v9, v51, v72, v9 op_sel:[0,1,0]
	v_pk_fma_f16 v11, v51, v73, v11 op_sel_hi:[1,0,1]
	v_pk_fma_f16 v51, v51, v73, v5 op_sel:[0,1,0]
	v_pk_fma_f16 v71, v52, v72, v7 op_sel_hi:[1,0,1]
	v_pk_fma_f16 v49, v52, v72, v49 op_sel:[0,1,0]
	ds_load_2addr_b64 v[5:8], v4 offset0:128 offset1:160
	ds_load_b128 v[74:77], v42 offset:992
	v_pk_fma_f16 v10, v52, v73, v10 op_sel_hi:[1,0,1]
	v_pk_fma_f16 v50, v52, v73, v50 op_sel:[0,1,0]
	s_waitcnt lgkmcnt(2)
	v_pk_fma_f16 v52, v53, v57, v70 op_sel_hi:[1,0,1]
	v_pk_fma_f16 v9, v53, v57, v9 op_sel:[0,1,0]
	v_pk_fma_f16 v11, v53, v58, v11 op_sel_hi:[1,0,1]
	v_pk_fma_f16 v51, v53, v58, v51 op_sel:[0,1,0]
	;; [unrolled: 2-line block ×8, first 2 shown]
	ds_load_b128 v[55:58], v42 offset:1008
	ds_load_2addr_b64 v[70:73], v4 offset0:192 offset1:224
	s_waitcnt lgkmcnt(0)
	s_barrier
	buffer_gl0_inv
	s_load_b32 s19, s[4:5], 0x4
	v_pk_fma_f16 v52, v5, v74, v52 op_sel_hi:[1,0,1]
	v_pk_fma_f16 v4, v5, v74, v9 op_sel:[0,1,0]
	v_pk_fma_f16 v9, v5, v75, v11 op_sel_hi:[1,0,1]
	v_pk_fma_f16 v5, v5, v75, v51 op_sel:[0,1,0]
	;; [unrolled: 2-line block ×12, first 2 shown]
	s_waitcnt lgkmcnt(0)
	s_lshl_b32 s19, s19, 7
	v_pk_fma_f16 v55, v72, v57, v8 op_sel_hi:[1,0,1]
	v_pk_fma_f16 v53, v72, v57, v4 op_sel:[0,1,0]
	v_pk_fma_f16 v51, v72, v58, v9 op_sel_hi:[1,0,1]
	v_pk_fma_f16 v50, v72, v58, v5 op_sel:[0,1,0]
	;; [unrolled: 2-line block ×4, first 2 shown]
	s_add_i32 s3, s19, s3
	s_delay_alu instid0(SALU_CYCLE_1)
	s_cmp_ge_i32 s3, s2
	s_cbranch_scc1 .LBB72_75
; %bb.74:                               ;   in Loop: Header=BB72_9 Depth=1
	v_dual_mov_b32 v60, v0 :: v_dual_mov_b32 v11, v2
	v_dual_mov_b32 v58, v1 :: v_dual_mov_b32 v57, v62
	v_dual_mov_b32 v10, v3 :: v_dual_mov_b32 v59, v61
	v_dual_mov_b32 v8, v64 :: v_dual_mov_b32 v9, v63
	s_branch .LBB72_9
.LBB72_75:
	v_mov_b32_e32 v7, v33
.LBB72_76:
	v_cmp_lt_i32_e32 vcc_lo, v69, v34
	s_cmp_lg_u64 s[24:25], 0
	s_cselect_b32 s2, -1, 0
	s_cmp_eq_u32 s14, 0
	v_cndmask_b32_e32 v4, v7, v69, vcc_lo
	v_cmp_lt_i32_e32 vcc_lo, v68, v34
	s_cselect_b32 s3, -1, 0
	s_delay_alu instid0(SALU_CYCLE_1) | instskip(SKIP_4) | instid1(VALU_DEP_2)
	s_and_b32 s2, s3, s2
	v_cndmask_b32_e32 v9, v7, v68, vcc_lo
	v_cmp_lt_i32_e32 vcc_lo, v67, v34
	v_cndmask_b32_e32 v15, v7, v67, vcc_lo
	v_cmp_lt_i32_e32 vcc_lo, v66, v34
	v_lshlrev_b32_e32 v15, 2, v15
	v_lshlrev_b32_e32 v4, 2, v4
	ds_bpermute_b32 v5, v4, v61
	s_waitcnt lgkmcnt(0)
	v_add_f32_e32 v5, v61, v5
	ds_bpermute_b32 v6, v4, v62
	ds_bpermute_b32 v8, v4, v64
	;; [unrolled: 1-line block ×3, first 2 shown]
	s_waitcnt lgkmcnt(2)
	v_dual_add_f32 v6, v62, v6 :: v_dual_lshlrev_b32 v9, 2, v9
	s_waitcnt lgkmcnt(1)
	v_add_f32_e32 v8, v64, v8
	ds_bpermute_b32 v10, v9, v5
	s_waitcnt lgkmcnt(1)
	v_add_f32_e32 v4, v63, v4
	ds_bpermute_b32 v11, v9, v6
	ds_bpermute_b32 v14, v9, v8
	s_waitcnt lgkmcnt(2)
	v_add_f32_e32 v5, v5, v10
	ds_bpermute_b32 v9, v9, v4
	s_waitcnt lgkmcnt(2)
	v_add_f32_e32 v6, v6, v11
	s_waitcnt lgkmcnt(1)
	v_add_f32_e32 v8, v8, v14
	ds_bpermute_b32 v10, v15, v6
	ds_bpermute_b32 v11, v15, v8
	s_waitcnt lgkmcnt(2)
	v_add_f32_e32 v4, v4, v9
	ds_bpermute_b32 v9, v15, v5
	ds_bpermute_b32 v14, v15, v4
	v_cndmask_b32_e32 v15, v7, v66, vcc_lo
	v_cmp_lt_i32_e32 vcc_lo, v65, v34
	s_waitcnt lgkmcnt(2)
	v_add_f32_e32 v8, v8, v11
	s_delay_alu instid0(VALU_DEP_3)
	v_dual_add_f32 v6, v6, v10 :: v_dual_lshlrev_b32 v15, 2, v15
	v_cndmask_b32_e32 v7, v7, v65, vcc_lo
	s_and_b32 vcc_lo, exec_lo, s2
	ds_bpermute_b32 v11, v15, v8
	ds_bpermute_b32 v10, v15, v6
	v_lshlrev_b32_e32 v7, 2, v7
	s_waitcnt lgkmcnt(2)
	v_dual_add_f32 v5, v5, v9 :: v_dual_add_f32 v4, v4, v14
	ds_bpermute_b32 v9, v15, v5
	ds_bpermute_b32 v14, v15, v4
	s_waitcnt lgkmcnt(2)
	v_add_f32_e32 v6, v6, v10
	ds_bpermute_b32 v10, v7, v6
	s_waitcnt lgkmcnt(2)
	v_dual_add_f32 v8, v8, v11 :: v_dual_add_f32 v5, v5, v9
	s_waitcnt lgkmcnt(1)
	v_add_f32_e32 v9, v4, v14
	ds_bpermute_b32 v4, v7, v5
	s_waitcnt lgkmcnt(0)
	v_dual_add_f32 v4, v5, v4 :: v_dual_add_f32 v5, v6, v10
	ds_bpermute_b32 v11, v7, v8
	ds_bpermute_b32 v7, v7, v9
	s_waitcnt lgkmcnt(1)
	v_add_f32_e32 v6, v8, v11
	s_waitcnt lgkmcnt(0)
	v_add_f32_e32 v7, v9, v7
	s_cbranch_vccz .LBB72_79
; %bb.77:
	v_dual_max_f32 v15, v1, v1 :: v_dual_add_nc_u32 v8, s15, v32
	s_delay_alu instid0(VALU_DEP_1) | instskip(NEXT) | instid1(VALU_DEP_1)
	v_ashrrev_i32_e32 v9, 31, v8
	v_lshlrev_b64 v[8:9], 2, v[8:9]
	s_delay_alu instid0(VALU_DEP_1) | instskip(NEXT) | instid1(VALU_DEP_2)
	v_add_co_u32 v8, vcc_lo, s24, v8
	v_add_co_ci_u32_e32 v9, vcc_lo, s25, v9, vcc_lo
	global_load_b128 v[8:11], v[8:9], off
	v_max_f32_e32 v14, v0, v0
	s_waitcnt vmcnt(0)
	v_dual_max_f32 v16, v2, v2 :: v_dual_max_f32 v17, v8, v8
	v_dual_max_f32 v19, v9, v9 :: v_dual_max_f32 v20, v10, v10
	s_delay_alu instid0(VALU_DEP_2) | instskip(NEXT) | instid1(VALU_DEP_2)
	v_dual_max_f32 v21, v11, v11 :: v_dual_max_f32 v14, v14, v17
	v_dual_max_f32 v15, v15, v19 :: v_dual_max_f32 v16, v16, v20
	v_max_f32_e32 v18, v3, v3
	s_delay_alu instid0(VALU_DEP_2) | instskip(SKIP_1) | instid1(VALU_DEP_3)
	v_dual_sub_f32 v8, v8, v14 :: v_dual_sub_f32 v9, v9, v15
	v_sub_f32_e32 v19, v1, v15
	v_dual_max_f32 v17, v18, v21 :: v_dual_sub_f32 v18, v0, v14
	v_sub_f32_e32 v10, v10, v16
	s_delay_alu instid0(VALU_DEP_2)
	v_dual_sub_f32 v20, v2, v16 :: v_dual_sub_f32 v21, v3, v17
	v_dual_mov_b32 v0, v14 :: v_dual_mov_b32 v1, v15
	v_dual_sub_f32 v11, v11, v17 :: v_dual_mov_b32 v2, v16
	v_mov_b32_e32 v3, v17
	v_dual_mul_f32 v15, 0x3fb8aa3b, v8 :: v_dual_mul_f32 v14, 0x3fb8aa3b, v18
	v_dual_mul_f32 v17, 0x3fb8aa3b, v9 :: v_dual_mul_f32 v16, 0x3fb8aa3b, v19
	v_mul_f32_e32 v23, 0x3fb8aa3b, v10
	s_delay_alu instid0(VALU_DEP_3) | instskip(NEXT) | instid1(VALU_DEP_4)
	v_fma_f32 v28, 0x3fb8aa3b, v8, -v15
	v_fma_f32 v26, 0x3fb8aa3b, v18, -v14
	v_rndne_f32_e32 v27, v14
	v_rndne_f32_e32 v29, v15
	;; [unrolled: 1-line block ×3, first 2 shown]
	v_fma_f32 v38, 0x3fb8aa3b, v10, -v23
	v_fmac_f32_e32 v26, 0x32a5705f, v18
	s_delay_alu instid0(VALU_DEP_4) | instskip(NEXT) | instid1(VALU_DEP_4)
	v_dual_fmac_f32 v28, 0x32a5705f, v8 :: v_dual_sub_f32 v15, v15, v29
	v_sub_f32_e32 v23, v23, v39
	v_sub_f32_e32 v14, v14, v27
	v_dual_mul_f32 v22, 0x3fb8aa3b, v20 :: v_dual_mul_f32 v25, 0x3fb8aa3b, v11
	s_delay_alu instid0(VALU_DEP_4) | instskip(SKIP_1) | instid1(VALU_DEP_4)
	v_add_f32_e32 v15, v15, v28
	v_fma_f32 v30, 0x3fb8aa3b, v19, -v16
	v_add_f32_e32 v14, v14, v26
	v_rndne_f32_e32 v33, v16
	v_fma_f32 v34, 0x3fb8aa3b, v9, -v17
	v_rndne_f32_e32 v35, v17
	v_fmac_f32_e32 v38, 0x32a5705f, v10
	v_exp_f32_e32 v14, v14
	v_mul_f32_e32 v24, 0x3fb8aa3b, v21
	v_rndne_f32_e32 v43, v25
	v_sub_f32_e32 v17, v17, v35
	v_cvt_i32_f32_e32 v27, v27
	v_sub_f32_e32 v16, v16, v33
	v_dual_fmac_f32 v34, 0x32a5705f, v9 :: v_dual_add_f32 v23, v23, v38
	v_fmac_f32_e32 v30, 0x32a5705f, v19
	v_exp_f32_e32 v15, v15
	v_fma_f32 v36, 0x3fb8aa3b, v20, -v22
	s_delay_alu instid0(VALU_DEP_3)
	v_add_f32_e32 v17, v17, v34
	v_rndne_f32_e32 v37, v22
	v_fma_f32 v42, 0x3fb8aa3b, v11, -v25
	v_cvt_i32_f32_e32 v29, v29
	v_dual_sub_f32 v25, v25, v43 :: v_dual_add_f32 v16, v16, v30
	v_ldexp_f32 v14, v14, v27
	v_cmp_ngt_f32_e32 vcc_lo, 0xc2ce8ed0, v18
	v_fmac_f32_e32 v42, 0x32a5705f, v11
	v_fmac_f32_e32 v36, 0x32a5705f, v20
	v_exp_f32_e32 v16, v16
	v_ldexp_f32 v15, v15, v29
	v_cndmask_b32_e32 v14, 0, v14, vcc_lo
	v_cmp_ngt_f32_e32 vcc_lo, 0xc2ce8ed0, v8
	v_sub_f32_e32 v22, v22, v37
	v_cvt_i32_f32_e32 v33, v33
	v_add_f32_e32 v25, v25, v42
	v_exp_f32_e32 v17, v17
	s_delay_alu instid0(VALU_DEP_3)
	v_dual_cndmask_b32 v15, 0, v15 :: v_dual_add_f32 v22, v22, v36
	v_cvt_i32_f32_e32 v35, v35
	v_ldexp_f32 v16, v16, v33
	v_cmp_ngt_f32_e32 vcc_lo, 0xc2ce8ed0, v19
	v_cvt_i32_f32_e32 v37, v37
	v_exp_f32_e32 v22, v22
	v_exp_f32_e32 v23, v23
	v_fma_f32 v40, 0x3fb8aa3b, v21, -v24
	s_delay_alu instid0(TRANS32_DEP_3)
	v_ldexp_f32 v17, v17, v35
	v_cndmask_b32_e32 v16, 0, v16, vcc_lo
	v_cmp_ngt_f32_e32 vcc_lo, 0xc2ce8ed0, v9
	v_rndne_f32_e32 v41, v24
	v_cvt_i32_f32_e32 v39, v39
	v_exp_f32_e32 v25, v25
	v_cvt_i32_f32_e32 v28, v43
	v_ldexp_f32 v22, v22, v37
	v_cndmask_b32_e32 v17, 0, v17, vcc_lo
	v_cmp_ngt_f32_e32 vcc_lo, 0xc2ce8ed0, v20
	v_sub_f32_e32 v24, v24, v41
	v_ldexp_f32 v23, v23, v39
	v_cvt_i32_f32_e32 v26, v41
	v_cndmask_b32_e32 v22, 0, v22, vcc_lo
	v_cmp_ngt_f32_e32 vcc_lo, 0xc2ce8ed0, v10
	v_fmac_f32_e32 v40, 0x32a5705f, v21
	v_ldexp_f32 v25, v25, v28
	s_delay_alu instid0(VALU_DEP_2) | instskip(SKIP_1) | instid1(VALU_DEP_2)
	v_dual_cndmask_b32 v23, 0, v23 :: v_dual_add_f32 v24, v24, v40
	v_cmp_ngt_f32_e32 vcc_lo, 0xc2ce8ed0, v21
	v_exp_f32_e32 v24, v24
	s_waitcnt_depctr 0xfff
	v_ldexp_f32 v24, v24, v26
	s_delay_alu instid0(VALU_DEP_1)
	v_cndmask_b32_e32 v24, 0, v24, vcc_lo
	v_cmp_ngt_f32_e32 vcc_lo, 0xc2ce8ed0, v11
	v_cndmask_b32_e32 v25, 0, v25, vcc_lo
	v_cmp_nlt_f32_e32 vcc_lo, 0x42b17218, v18
	v_cndmask_b32_e32 v14, 0x7f800000, v14, vcc_lo
	v_cmp_nlt_f32_e32 vcc_lo, 0x42b17218, v8
	;; [unrolled: 2-line block ×3, first 2 shown]
	s_delay_alu instid0(VALU_DEP_2) | instskip(SKIP_4) | instid1(VALU_DEP_3)
	v_dual_fmac_f32 v8, v4, v14 :: v_dual_cndmask_b32 v15, 0x7f800000, v16
	v_cmp_nlt_f32_e32 vcc_lo, 0x42b17218, v9
	v_cvt_f16_f32_e32 v4, v14
	v_cndmask_b32_e32 v9, 0x7f800000, v17, vcc_lo
	v_cmp_nlt_f32_e32 vcc_lo, 0x42b17218, v20
	v_pk_mul_f16 v55, v4, v55 op_sel_hi:[0,1]
	v_pk_mul_f16 v56, v4, v56 op_sel_hi:[0,1]
	s_delay_alu instid0(VALU_DEP_4)
	v_dual_mov_b32 v4, v8 :: v_dual_fmac_f32 v9, v5, v15
	v_cndmask_b32_e32 v16, 0x7f800000, v22, vcc_lo
	v_cmp_nlt_f32_e32 vcc_lo, 0x42b17218, v10
	v_cvt_f16_f32_e32 v5, v15
	v_cndmask_b32_e32 v10, 0x7f800000, v23, vcc_lo
	v_cmp_nlt_f32_e32 vcc_lo, 0x42b17218, v21
	s_delay_alu instid0(VALU_DEP_3) | instskip(SKIP_1) | instid1(VALU_DEP_4)
	v_pk_mul_f16 v53, v5, v53 op_sel_hi:[0,1]
	v_pk_mul_f16 v54, v5, v54 op_sel_hi:[0,1]
	v_dual_mov_b32 v5, v9 :: v_dual_fmac_f32 v10, v6, v16
	v_cndmask_b32_e32 v17, 0x7f800000, v24, vcc_lo
	v_cmp_nlt_f32_e32 vcc_lo, 0x42b17218, v11
	v_cvt_f16_f32_e32 v6, v16
	v_cndmask_b32_e32 v11, 0x7f800000, v25, vcc_lo
	s_delay_alu instid0(VALU_DEP_2) | instskip(SKIP_1) | instid1(VALU_DEP_3)
	v_pk_mul_f16 v51, v6, v51 op_sel_hi:[0,1]
	v_pk_mul_f16 v52, v6, v52 op_sel_hi:[0,1]
	v_dual_mov_b32 v6, v10 :: v_dual_fmac_f32 v11, v7, v17
	v_cvt_f16_f32_e32 v7, v17
	s_delay_alu instid0(VALU_DEP_1) | instskip(SKIP_1) | instid1(VALU_DEP_4)
	v_pk_mul_f16 v50, v7, v50 op_sel_hi:[0,1]
	v_pk_mul_f16 v49, v7, v49 op_sel_hi:[0,1]
	v_mov_b32_e32 v7, v11
	s_mov_b32 s2, exec_lo
	v_cmpx_gt_i32_e64 s6, v13
	s_cbranch_execnz .LBB72_80
.LBB72_78:
	s_nop 0
	s_sendmsg sendmsg(MSG_DEALLOC_VGPRS)
	s_endpgm
.LBB72_79:
	s_delay_alu instid0(VALU_DEP_1)
	v_dual_mov_b32 v11, v7 :: v_dual_mov_b32 v10, v6
	v_dual_mov_b32 v9, v5 :: v_dual_mov_b32 v8, v4
	s_mov_b32 s2, exec_lo
	v_cmpx_gt_i32_e64 s6, v13
	s_cbranch_execz .LBB72_78
.LBB72_80:
	s_load_b32 s1, s[0:1], 0xd4
	v_mov_b32_e32 v15, 1.0
	s_waitcnt lgkmcnt(0)
	s_cmp_lg_u32 s1, 1
	s_cselect_b32 s3, -1, 0
	s_cmp_eq_u32 s1, 1
	s_cselect_b32 s2, -1, 0
	s_and_b32 vcc_lo, exec_lo, s3
	s_cbranch_vccnz .LBB72_82
; %bb.81:
	v_div_scale_f32 v14, null, v4, v4, 1.0
	s_delay_alu instid0(VALU_DEP_1) | instskip(SKIP_2) | instid1(VALU_DEP_1)
	v_rcp_f32_e32 v15, v14
	s_waitcnt_depctr 0xfff
	v_fma_f32 v16, -v14, v15, 1.0
	v_fmac_f32_e32 v15, v16, v15
	v_div_scale_f32 v16, vcc_lo, 1.0, v4, 1.0
	s_delay_alu instid0(VALU_DEP_1) | instskip(NEXT) | instid1(VALU_DEP_1)
	v_mul_f32_e32 v17, v16, v15
	v_fma_f32 v18, -v14, v17, v16
	s_delay_alu instid0(VALU_DEP_1) | instskip(NEXT) | instid1(VALU_DEP_1)
	v_fmac_f32_e32 v17, v18, v15
	v_fma_f32 v14, -v14, v17, v16
	s_delay_alu instid0(VALU_DEP_1) | instskip(NEXT) | instid1(VALU_DEP_1)
	v_div_fmas_f32 v14, v14, v15, v17
	v_div_fixup_f32 v15, v14, v4, 1.0
.LBB72_82:
	v_mad_u64_u32 v[16:17], null, s12, s6, v[13:14]
	v_cmp_eq_u32_e32 vcc_lo, 0, v12
	v_lshrrev_b32_e32 v12, 16, v56
	v_cvt_f32_f16_e32 v18, v56
	s_delay_alu instid0(VALU_DEP_2) | instskip(SKIP_1) | instid1(VALU_DEP_3)
	v_cvt_f32_f16_e32 v12, v12
	v_mul_lo_u32 v4, v16, s7
	v_mul_f32_e32 v18, v15, v18
	s_delay_alu instid0(VALU_DEP_3) | instskip(NEXT) | instid1(VALU_DEP_3)
	v_mul_f32_e32 v19, v15, v12
	v_add3_u32 v4, s15, v32, v4
	s_delay_alu instid0(VALU_DEP_1) | instskip(SKIP_3) | instid1(VALU_DEP_4)
	v_mad_u64_u32 v[13:14], null, s1, v4, s[14:15]
	v_cvt_f32_f16_e32 v14, v55
	v_mov_b32_e32 v17, 0
	v_lshrrev_b32_e32 v4, 16, v55
	v_lshl_add_u32 v16, v13, 7, v31
	s_delay_alu instid0(VALU_DEP_2) | instskip(NEXT) | instid1(VALU_DEP_2)
	v_cvt_f32_f16_e32 v4, v4
	v_lshlrev_b64 v[20:21], 2, v[16:17]
	v_mul_f32_e32 v16, v15, v14
	s_delay_alu instid0(VALU_DEP_3) | instskip(NEXT) | instid1(VALU_DEP_3)
	v_mul_f32_e32 v17, v15, v4
	v_add_co_u32 v14, s0, s28, v20
	s_delay_alu instid0(VALU_DEP_1)
	v_add_co_ci_u32_e64 v15, s0, s29, v21, s0
	s_and_b32 s0, vcc_lo, s3
	global_store_b128 v[14:15], v[16:19], off
	s_and_saveexec_b32 s3, s0
	s_cbranch_execz .LBB72_84
; %bb.83:
	v_ashrrev_i32_e32 v14, 31, v13
	v_mov_b32_e32 v16, v0
	v_mov_b32_e32 v17, v8
	s_delay_alu instid0(VALU_DEP_3) | instskip(NEXT) | instid1(VALU_DEP_1)
	v_lshlrev_b64 v[14:15], 3, v[13:14]
	v_add_co_u32 v14, vcc_lo, s30, v14
	s_delay_alu instid0(VALU_DEP_2)
	v_add_co_ci_u32_e32 v15, vcc_lo, s31, v15, vcc_lo
	global_store_b64 v[14:15], v[16:17], off
.LBB72_84:
	s_or_b32 exec_lo, exec_lo, s3
	v_cndmask_b32_e64 v12, 0, 1, s2
	v_mov_b32_e32 v0, 1.0
	s_and_not1_b32 vcc_lo, exec_lo, s2
	s_cbranch_vccnz .LBB72_86
; %bb.85:
	v_div_scale_f32 v0, null, v5, v5, 1.0
	s_delay_alu instid0(VALU_DEP_1) | instskip(SKIP_2) | instid1(VALU_DEP_1)
	v_rcp_f32_e32 v4, v0
	s_waitcnt_depctr 0xfff
	v_fma_f32 v8, -v0, v4, 1.0
	v_fmac_f32_e32 v4, v8, v4
	v_div_scale_f32 v8, vcc_lo, 1.0, v5, 1.0
	s_delay_alu instid0(VALU_DEP_1) | instskip(NEXT) | instid1(VALU_DEP_1)
	v_mul_f32_e32 v14, v8, v4
	v_fma_f32 v15, -v0, v14, v8
	s_delay_alu instid0(VALU_DEP_1) | instskip(NEXT) | instid1(VALU_DEP_1)
	v_fmac_f32_e32 v14, v15, v4
	v_fma_f32 v0, -v0, v14, v8
	s_delay_alu instid0(VALU_DEP_1) | instskip(NEXT) | instid1(VALU_DEP_1)
	v_div_fmas_f32 v0, v0, v4, v14
	v_div_fixup_f32 v0, v0, v5, 1.0
.LBB72_86:
	v_cvt_f32_f16_e32 v15, v53
	v_add_nc_u32_e32 v4, s1, v13
	v_cvt_f32_f16_e32 v16, v54
	v_mov_b32_e32 v14, 0
	v_lshrrev_b32_e32 v5, 16, v53
	v_lshrrev_b32_e32 v8, 16, v54
	v_lshl_add_u32 v13, v4, 7, v31
	s_delay_alu instid0(VALU_DEP_3) | instskip(NEXT) | instid1(VALU_DEP_3)
	v_cvt_f32_f16_e32 v5, v5
	v_cvt_f32_f16_e32 v8, v8
	s_delay_alu instid0(VALU_DEP_3)
	v_lshlrev_b64 v[17:18], 2, v[13:14]
	v_mul_f32_e32 v13, v0, v15
	v_mul_f32_e32 v15, v0, v16
	;; [unrolled: 1-line block ×4, first 2 shown]
	v_add_co_u32 v17, vcc_lo, s28, v17
	v_add_co_ci_u32_e32 v18, vcc_lo, s29, v18, vcc_lo
	global_store_b128 v[17:18], v[13:16], off
	s_and_saveexec_b32 s2, s0
	s_cbranch_execz .LBB72_88
; %bb.87:
	v_ashrrev_i32_e32 v5, 31, v4
	v_mov_b32_e32 v8, v1
	s_delay_alu instid0(VALU_DEP_2) | instskip(NEXT) | instid1(VALU_DEP_1)
	v_lshlrev_b64 v[13:14], 3, v[4:5]
	v_add_co_u32 v13, vcc_lo, s30, v13
	s_delay_alu instid0(VALU_DEP_2)
	v_add_co_ci_u32_e32 v14, vcc_lo, s31, v14, vcc_lo
	global_store_b64 v[13:14], v[8:9], off
.LBB72_88:
	s_or_b32 exec_lo, exec_lo, s2
	v_cmp_ne_u32_e32 vcc_lo, 1, v12
	v_mov_b32_e32 v1, 1.0
	s_cbranch_vccnz .LBB72_90
; %bb.89:
	v_div_scale_f32 v0, null, v6, v6, 1.0
	s_delay_alu instid0(VALU_DEP_1) | instskip(SKIP_2) | instid1(VALU_DEP_1)
	v_rcp_f32_e32 v1, v0
	s_waitcnt_depctr 0xfff
	v_fma_f32 v5, -v0, v1, 1.0
	v_fmac_f32_e32 v1, v5, v1
	v_div_scale_f32 v5, vcc_lo, 1.0, v6, 1.0
	s_delay_alu instid0(VALU_DEP_1) | instskip(NEXT) | instid1(VALU_DEP_1)
	v_mul_f32_e32 v8, v5, v1
	v_fma_f32 v9, -v0, v8, v5
	s_delay_alu instid0(VALU_DEP_1) | instskip(NEXT) | instid1(VALU_DEP_1)
	v_fmac_f32_e32 v8, v9, v1
	v_fma_f32 v0, -v0, v8, v5
	s_delay_alu instid0(VALU_DEP_1) | instskip(NEXT) | instid1(VALU_DEP_1)
	v_div_fmas_f32 v0, v0, v1, v8
	v_div_fixup_f32 v1, v0, v6, 1.0
.LBB72_90:
	v_dual_mov_b32 v5, 0 :: v_dual_add_nc_u32 v0, s1, v4
	v_lshrrev_b32_e32 v6, 16, v51
	v_lshrrev_b32_e32 v8, 16, v52
	v_cvt_f32_f16_e32 v9, v51
	s_delay_alu instid0(VALU_DEP_4)
	v_lshl_add_u32 v4, v0, 7, v31
	v_cvt_f32_f16_e32 v14, v52
	v_cvt_f32_f16_e32 v6, v6
	;; [unrolled: 1-line block ×3, first 2 shown]
	v_mul_f32_e32 v13, v1, v9
	v_lshlrev_b64 v[4:5], 2, v[4:5]
	v_mul_f32_e32 v15, v1, v14
	v_mul_f32_e32 v14, v1, v6
	;; [unrolled: 1-line block ×3, first 2 shown]
	s_delay_alu instid0(VALU_DEP_4)
	v_add_co_u32 v4, vcc_lo, s28, v4
	v_add_co_ci_u32_e32 v5, vcc_lo, s29, v5, vcc_lo
	global_store_b128 v[4:5], v[13:16], off
	s_and_saveexec_b32 s2, s0
	s_cbranch_execz .LBB72_92
; %bb.91:
	v_ashrrev_i32_e32 v1, 31, v0
	v_mov_b32_e32 v9, v2
	s_delay_alu instid0(VALU_DEP_2) | instskip(NEXT) | instid1(VALU_DEP_1)
	v_lshlrev_b64 v[4:5], 3, v[0:1]
	v_add_co_u32 v4, vcc_lo, s30, v4
	s_delay_alu instid0(VALU_DEP_2)
	v_add_co_ci_u32_e32 v5, vcc_lo, s31, v5, vcc_lo
	global_store_b64 v[4:5], v[9:10], off
.LBB72_92:
	s_or_b32 exec_lo, exec_lo, s2
	v_cmp_ne_u32_e32 vcc_lo, 1, v12
	v_mov_b32_e32 v1, 1.0
	s_cbranch_vccnz .LBB72_94
; %bb.93:
	v_div_scale_f32 v1, null, v7, v7, 1.0
	s_delay_alu instid0(VALU_DEP_1) | instskip(SKIP_2) | instid1(VALU_DEP_1)
	v_rcp_f32_e32 v2, v1
	s_waitcnt_depctr 0xfff
	v_fma_f32 v4, -v1, v2, 1.0
	v_fmac_f32_e32 v2, v4, v2
	v_div_scale_f32 v4, vcc_lo, 1.0, v7, 1.0
	s_delay_alu instid0(VALU_DEP_1) | instskip(NEXT) | instid1(VALU_DEP_1)
	v_mul_f32_e32 v5, v4, v2
	v_fma_f32 v6, -v1, v5, v4
	s_delay_alu instid0(VALU_DEP_1) | instskip(NEXT) | instid1(VALU_DEP_1)
	v_fmac_f32_e32 v5, v6, v2
	v_fma_f32 v1, -v1, v5, v4
	s_delay_alu instid0(VALU_DEP_1) | instskip(NEXT) | instid1(VALU_DEP_1)
	v_div_fmas_f32 v1, v1, v2, v5
	v_div_fixup_f32 v1, v1, v7, 1.0
.LBB72_94:
	v_dual_mov_b32 v5, 0 :: v_dual_add_nc_u32 v0, s1, v0
	v_lshrrev_b32_e32 v2, 16, v50
	v_lshrrev_b32_e32 v6, 16, v49
	v_cvt_f32_f16_e32 v7, v50
	s_delay_alu instid0(VALU_DEP_4) | instskip(SKIP_3) | instid1(VALU_DEP_4)
	v_lshl_add_u32 v4, v0, 7, v31
	v_cvt_f32_f16_e32 v10, v49
	v_cvt_f32_f16_e32 v2, v2
	;; [unrolled: 1-line block ×3, first 2 shown]
	v_lshlrev_b64 v[8:9], 2, v[4:5]
	v_mul_f32_e32 v4, v1, v7
	v_mul_f32_e32 v6, v1, v10
	;; [unrolled: 1-line block ×4, first 2 shown]
	v_add_co_u32 v1, vcc_lo, s28, v8
	v_add_co_ci_u32_e32 v2, vcc_lo, s29, v9, vcc_lo
	global_store_b128 v[1:2], v[4:7], off
	s_and_b32 exec_lo, exec_lo, s0
	s_cbranch_execz .LBB72_78
; %bb.95:
	v_ashrrev_i32_e32 v1, 31, v0
	v_mov_b32_e32 v10, v3
	s_delay_alu instid0(VALU_DEP_2) | instskip(NEXT) | instid1(VALU_DEP_1)
	v_lshlrev_b64 v[0:1], 3, v[0:1]
	v_add_co_u32 v0, vcc_lo, s30, v0
	s_delay_alu instid0(VALU_DEP_2)
	v_add_co_ci_u32_e32 v1, vcc_lo, s31, v1, vcc_lo
	global_store_b64 v[0:1], v[10:11], off
	s_nop 0
	s_sendmsg sendmsg(MSG_DEALLOC_VGPRS)
	s_endpgm
	.section	.rodata,"a",@progbits
	.p2align	6, 0x0
	.amdhsa_kernel _ZL15flash_attn_tileILi128ELi128ELi4ELi8ELb1EEvPKcS1_S1_S1_S1_PKiPfP15HIP_vector_typeIfLj2EEffffjfiS5_IjLj3EEiiiiiiiiiiiliiliiiiil
		.amdhsa_group_segment_fixed_size 34816
		.amdhsa_private_segment_fixed_size 0
		.amdhsa_kernarg_size 464
		.amdhsa_user_sgpr_count 13
		.amdhsa_user_sgpr_dispatch_ptr 0
		.amdhsa_user_sgpr_queue_ptr 0
		.amdhsa_user_sgpr_kernarg_segment_ptr 1
		.amdhsa_user_sgpr_dispatch_id 0
		.amdhsa_user_sgpr_private_segment_size 0
		.amdhsa_wavefront_size32 1
		.amdhsa_uses_dynamic_stack 0
		.amdhsa_enable_private_segment 0
		.amdhsa_system_sgpr_workgroup_id_x 1
		.amdhsa_system_sgpr_workgroup_id_y 1
		.amdhsa_system_sgpr_workgroup_id_z 1
		.amdhsa_system_sgpr_workgroup_info 0
		.amdhsa_system_vgpr_workitem_id 1
		.amdhsa_next_free_vgpr 250
		.amdhsa_next_free_sgpr 40
		.amdhsa_reserve_vcc 1
		.amdhsa_float_round_mode_32 0
		.amdhsa_float_round_mode_16_64 0
		.amdhsa_float_denorm_mode_32 3
		.amdhsa_float_denorm_mode_16_64 3
		.amdhsa_dx10_clamp 1
		.amdhsa_ieee_mode 1
		.amdhsa_fp16_overflow 0
		.amdhsa_workgroup_processor_mode 1
		.amdhsa_memory_ordered 1
		.amdhsa_forward_progress 0
		.amdhsa_shared_vgpr_count 0
		.amdhsa_exception_fp_ieee_invalid_op 0
		.amdhsa_exception_fp_denorm_src 0
		.amdhsa_exception_fp_ieee_div_zero 0
		.amdhsa_exception_fp_ieee_overflow 0
		.amdhsa_exception_fp_ieee_underflow 0
		.amdhsa_exception_fp_ieee_inexact 0
		.amdhsa_exception_int_div_zero 0
	.end_amdhsa_kernel
	.section	.text._ZL15flash_attn_tileILi128ELi128ELi4ELi8ELb1EEvPKcS1_S1_S1_S1_PKiPfP15HIP_vector_typeIfLj2EEffffjfiS5_IjLj3EEiiiiiiiiiiiliiliiiiil,"axG",@progbits,_ZL15flash_attn_tileILi128ELi128ELi4ELi8ELb1EEvPKcS1_S1_S1_S1_PKiPfP15HIP_vector_typeIfLj2EEffffjfiS5_IjLj3EEiiiiiiiiiiiliiliiiiil,comdat
.Lfunc_end72:
	.size	_ZL15flash_attn_tileILi128ELi128ELi4ELi8ELb1EEvPKcS1_S1_S1_S1_PKiPfP15HIP_vector_typeIfLj2EEffffjfiS5_IjLj3EEiiiiiiiiiiiliiliiiiil, .Lfunc_end72-_ZL15flash_attn_tileILi128ELi128ELi4ELi8ELb1EEvPKcS1_S1_S1_S1_PKiPfP15HIP_vector_typeIfLj2EEffffjfiS5_IjLj3EEiiiiiiiiiiiliiliiiiil
                                        ; -- End function
	.section	.AMDGPU.csdata,"",@progbits
; Kernel info:
; codeLenInByte = 44204
; NumSgprs: 42
; NumVgprs: 250
; ScratchSize: 0
; MemoryBound: 0
; FloatMode: 240
; IeeeMode: 1
; LDSByteSize: 34816 bytes/workgroup (compile time only)
; SGPRBlocks: 5
; VGPRBlocks: 31
; NumSGPRsForWavesPerEU: 42
; NumVGPRsForWavesPerEU: 250
; Occupancy: 5
; WaveLimiterHint : 1
; COMPUTE_PGM_RSRC2:SCRATCH_EN: 0
; COMPUTE_PGM_RSRC2:USER_SGPR: 13
; COMPUTE_PGM_RSRC2:TRAP_HANDLER: 0
; COMPUTE_PGM_RSRC2:TGID_X_EN: 1
; COMPUTE_PGM_RSRC2:TGID_Y_EN: 1
; COMPUTE_PGM_RSRC2:TGID_Z_EN: 1
; COMPUTE_PGM_RSRC2:TIDIG_COMP_CNT: 1
	.section	.text._ZL15flash_attn_tileILi128ELi128ELi2ELi8ELb1EEvPKcS1_S1_S1_S1_PKiPfP15HIP_vector_typeIfLj2EEffffjfiS5_IjLj3EEiiiiiiiiiiiliiliiiiil,"axG",@progbits,_ZL15flash_attn_tileILi128ELi128ELi2ELi8ELb1EEvPKcS1_S1_S1_S1_PKiPfP15HIP_vector_typeIfLj2EEffffjfiS5_IjLj3EEiiiiiiiiiiiliiliiiiil,comdat
	.globl	_ZL15flash_attn_tileILi128ELi128ELi2ELi8ELb1EEvPKcS1_S1_S1_S1_PKiPfP15HIP_vector_typeIfLj2EEffffjfiS5_IjLj3EEiiiiiiiiiiiliiliiiiil ; -- Begin function _ZL15flash_attn_tileILi128ELi128ELi2ELi8ELb1EEvPKcS1_S1_S1_S1_PKiPfP15HIP_vector_typeIfLj2EEffffjfiS5_IjLj3EEiiiiiiiiiiiliiliiiiil
	.p2align	8
	.type	_ZL15flash_attn_tileILi128ELi128ELi2ELi8ELb1EEvPKcS1_S1_S1_S1_PKiPfP15HIP_vector_typeIfLj2EEffffjfiS5_IjLj3EEiiiiiiiiiiiliiliiiiil,@function
_ZL15flash_attn_tileILi128ELi128ELi2ELi8ELb1EEvPKcS1_S1_S1_S1_PKiPfP15HIP_vector_typeIfLj2EEffffjfiS5_IjLj3EEiiiiiiiiiiiliiliiiiil: ; @_ZL15flash_attn_tileILi128ELi128ELi2ELi8ELb1EEvPKcS1_S1_S1_S1_PKiPfP15HIP_vector_typeIfLj2EEffffjfiS5_IjLj3EEiiiiiiiiiiiliiliiiiil
; %bb.0:
	s_clause 0x1
	s_load_b128 s[4:7], s[0:1], 0x5c
	s_load_b64 s[2:3], s[0:1], 0x80
	s_mov_b64 s[34:35], 0
	s_waitcnt lgkmcnt(0)
	s_ashr_i32 s8, s7, 31
	s_delay_alu instid0(SALU_CYCLE_1) | instskip(NEXT) | instid1(SALU_CYCLE_1)
	s_lshr_b32 s8, s8, 29
	s_add_i32 s8, s7, s8
	s_delay_alu instid0(SALU_CYCLE_1) | instskip(NEXT) | instid1(SALU_CYCLE_1)
	s_ashr_i32 s8, s8, 3
	v_cvt_f32_u32_e32 v1, s8
	s_sub_i32 s10, 0, s8
	s_delay_alu instid0(VALU_DEP_1) | instskip(SKIP_2) | instid1(VALU_DEP_1)
	v_rcp_iflag_f32_e32 v1, v1
	s_waitcnt_depctr 0xfff
	v_mul_f32_e32 v1, 0x4f7ffffe, v1
	v_cvt_u32_f32_e32 v1, v1
	s_delay_alu instid0(VALU_DEP_1) | instskip(NEXT) | instid1(VALU_DEP_1)
	v_readfirstlane_b32 s9, v1
	s_mul_i32 s10, s10, s9
	s_delay_alu instid0(SALU_CYCLE_1) | instskip(NEXT) | instid1(SALU_CYCLE_1)
	s_mul_hi_u32 s10, s9, s10
	s_add_i32 s9, s9, s10
	s_delay_alu instid0(SALU_CYCLE_1) | instskip(NEXT) | instid1(SALU_CYCLE_1)
	s_mul_hi_u32 s9, s15, s9
	s_mul_i32 s10, s9, s8
	s_add_i32 s11, s9, 1
	s_sub_i32 s10, s15, s10
	s_delay_alu instid0(SALU_CYCLE_1)
	s_sub_i32 s12, s10, s8
	s_cmp_ge_u32 s10, s8
	s_cselect_b32 s9, s11, s9
	s_cselect_b32 s10, s12, s10
	s_add_i32 s11, s9, 1
	s_cmp_ge_u32 s10, s8
	s_cselect_b32 s12, s11, s9
	s_abs_i32 s8, s3
	s_abs_i32 s16, s7
	v_cvt_f32_u32_e32 v1, s8
	s_sub_i32 s10, 0, s8
	s_lshl_b32 s11, s15, 3
	s_mul_i32 s15, s12, s7
	s_xor_b32 s3, s7, s3
	v_rcp_iflag_f32_e32 v1, v1
	s_sub_i32 s15, s11, s15
	s_ashr_i32 s3, s3, 31
	s_waitcnt_depctr 0xfff
	v_mul_f32_e32 v1, 0x4f7ffffe, v1
	s_delay_alu instid0(VALU_DEP_1) | instskip(NEXT) | instid1(VALU_DEP_1)
	v_cvt_u32_f32_e32 v1, v1
	v_readfirstlane_b32 s9, v1
	s_delay_alu instid0(VALU_DEP_1) | instskip(NEXT) | instid1(SALU_CYCLE_1)
	s_mul_i32 s10, s10, s9
	s_mul_hi_u32 s10, s9, s10
	s_delay_alu instid0(SALU_CYCLE_1) | instskip(NEXT) | instid1(SALU_CYCLE_1)
	s_add_i32 s9, s9, s10
	s_mul_hi_u32 s9, s16, s9
	s_delay_alu instid0(SALU_CYCLE_1) | instskip(SKIP_2) | instid1(SALU_CYCLE_1)
	s_mul_i32 s10, s9, s8
	s_add_i32 s11, s9, 1
	s_sub_i32 s10, s16, s10
	s_sub_i32 s16, s10, s8
	s_cmp_ge_u32 s10, s8
	s_cselect_b32 s9, s11, s9
	s_cselect_b32 s10, s16, s10
	s_add_i32 s11, s9, 1
	s_cmp_ge_u32 s10, s8
	s_clause 0x1
	s_load_b512 s[16:31], s[0:1], 0x0
	s_load_b64 s[36:37], s[0:1], 0xb8
	s_cselect_b32 s8, s11, s9
	s_delay_alu instid0(SALU_CYCLE_1) | instskip(NEXT) | instid1(SALU_CYCLE_1)
	s_xor_b32 s8, s8, s3
	s_sub_i32 s38, s8, s3
	s_delay_alu instid0(SALU_CYCLE_1) | instskip(NEXT) | instid1(SALU_CYCLE_1)
	s_abs_i32 s33, s38
	v_cvt_f32_u32_e32 v1, s33
	s_delay_alu instid0(VALU_DEP_1) | instskip(SKIP_4) | instid1(VALU_DEP_1)
	v_rcp_iflag_f32_e32 v1, v1
	s_waitcnt lgkmcnt(0)
	s_cmp_eq_u64 s[22:23], 0
	s_waitcnt_depctr 0xfff
	v_mul_f32_e32 v1, 0x4f7ffffe, v1
	v_cvt_u32_f32_e32 v1, v1
	s_delay_alu instid0(VALU_DEP_1)
	v_readfirstlane_b32 s39, v1
	s_cbranch_scc1 .LBB73_2
; %bb.1:
	s_abs_i32 s3, s36
	s_abs_i32 s10, s12
	v_cvt_f32_u32_e32 v1, s3
	s_sub_i32 s9, 0, s3
	s_delay_alu instid0(VALU_DEP_1) | instskip(SKIP_2) | instid1(VALU_DEP_1)
	v_rcp_iflag_f32_e32 v1, v1
	s_waitcnt_depctr 0xfff
	v_mul_f32_e32 v1, 0x4f7ffffe, v1
	v_cvt_u32_f32_e32 v1, v1
	s_delay_alu instid0(VALU_DEP_1) | instskip(NEXT) | instid1(VALU_DEP_1)
	v_readfirstlane_b32 s8, v1
	s_mul_i32 s9, s9, s8
	s_delay_alu instid0(SALU_CYCLE_1) | instskip(NEXT) | instid1(SALU_CYCLE_1)
	s_mul_hi_u32 s9, s8, s9
	s_add_i32 s11, s8, s9
	s_load_b64 s[8:9], s[0:1], 0xc8
	s_mul_hi_u32 s11, s10, s11
	s_delay_alu instid0(SALU_CYCLE_1) | instskip(NEXT) | instid1(SALU_CYCLE_1)
	s_mul_i32 s11, s11, s3
	s_sub_i32 s10, s10, s11
	s_ashr_i32 s11, s12, 31
	s_sub_i32 s34, s10, s3
	s_cmp_ge_u32 s10, s3
	s_cselect_b32 s10, s34, s10
	s_delay_alu instid0(SALU_CYCLE_1) | instskip(SKIP_2) | instid1(SALU_CYCLE_1)
	s_sub_i32 s34, s10, s3
	s_cmp_ge_u32 s10, s3
	s_cselect_b32 s3, s34, s10
	s_xor_b32 s3, s3, s11
	s_delay_alu instid0(SALU_CYCLE_1)
	s_sub_i32 s3, s3, s11
	s_waitcnt lgkmcnt(0)
	s_mul_i32 s9, s3, s9
	s_mul_hi_u32 s10, s3, s8
	s_ashr_i32 s11, s3, 31
	s_add_i32 s9, s10, s9
	s_mul_i32 s11, s11, s8
	s_mul_i32 s3, s3, s8
	s_add_i32 s9, s9, s11
	s_add_u32 s34, s22, s3
	s_addc_u32 s35, s23, s9
.LBB73_2:
	v_bfe_u32 v2, v0, 10, 10
	s_load_b128 s[8:11], s[0:1], 0x70
	v_and_b32_e32 v0, 0x3ff, v0
	s_delay_alu instid0(VALU_DEP_2) | instskip(NEXT) | instid1(VALU_DEP_2)
	v_lshrrev_b32_e32 v1, 2, v2
	v_lshlrev_b32_e32 v17, 1, v0
	s_delay_alu instid0(VALU_DEP_2) | instskip(NEXT) | instid1(VALU_DEP_1)
	v_lshl_add_u32 v1, s13, 1, v1
	v_mul_hi_u32 v3, s4, v1
	s_waitcnt lgkmcnt(0)
	s_mul_i32 s3, s12, s10
	s_mul_i32 s4, s15, s9
	s_delay_alu instid0(VALU_DEP_1) | instskip(SKIP_1) | instid1(VALU_DEP_2)
	v_add_nc_u32_e32 v4, v1, v3
	v_lshlrev_b32_e32 v3, 1, v2
	v_lshrrev_b32_e32 v4, s5, v4
	s_ashr_i32 s5, s3, 31
	s_add_u32 s3, s16, s3
	s_addc_u32 s5, s17, s5
	s_ashr_i32 s10, s4, 31
	s_add_u32 s3, s3, s4
	v_or_b32_e32 v14, 1, v3
	s_addc_u32 s4, s5, s10
	s_ashr_i32 s5, s8, 31
	v_mul_lo_u32 v4, v4, s6
	v_alignbit_b32 v7, s5, s8, 2
	s_ashr_i32 s8, s9, 31
	v_and_b32_e32 v15, 7, v14
	v_alignbit_b32 v11, s8, s9, 2
	s_lshr_b32 s5, s5, 2
	v_lshlrev_b32_e32 v19, 6, v14
	v_sub_nc_u32_e32 v4, v1, v4
	s_delay_alu instid0(VALU_DEP_3) | instskip(SKIP_1) | instid1(VALU_DEP_3)
	v_mad_u64_u32 v[9:10], null, v11, v15, 0
	v_and_b32_e32 v37, 6, v3
	v_mad_u64_u32 v[5:6], null, v7, v4, 0
	s_delay_alu instid0(VALU_DEP_2) | instskip(NEXT) | instid1(VALU_DEP_1)
	v_mad_u64_u32 v[7:8], null, v11, v37, 0
	v_mad_u64_u32 v[11:12], null, s5, v4, v[6:7]
	s_delay_alu instid0(VALU_DEP_2) | instskip(SKIP_3) | instid1(VALU_DEP_2)
	v_mov_b32_e32 v6, v8
	v_mov_b32_e32 v8, v10
	s_lshr_b32 s5, s8, 2
	s_cmp_eq_u64 s[26:27], 0
	v_mad_u64_u32 v[12:13], null, s5, v37, v[6:7]
	s_delay_alu instid0(VALU_DEP_4) | instskip(SKIP_2) | instid1(VALU_DEP_3)
	v_mov_b32_e32 v6, v11
	v_mad_u64_u32 v[10:11], null, s5, v15, v[8:9]
	v_lshlrev_b32_e32 v11, 4, v0
	v_lshlrev_b64 v[5:6], 2, v[5:6]
	v_mov_b32_e32 v8, v12
	s_delay_alu instid0(VALU_DEP_2) | instskip(NEXT) | instid1(VALU_DEP_3)
	v_add_co_u32 v12, vcc_lo, s3, v5
	v_add_co_ci_u32_e32 v13, vcc_lo, s4, v6, vcc_lo
	s_delay_alu instid0(VALU_DEP_3) | instskip(NEXT) | instid1(VALU_DEP_3)
	v_lshlrev_b64 v[5:6], 2, v[7:8]
	v_add_co_u32 v11, vcc_lo, v12, v11
	s_delay_alu instid0(VALU_DEP_3) | instskip(SKIP_1) | instid1(VALU_DEP_3)
	v_add_co_ci_u32_e32 v12, vcc_lo, 0, v13, vcc_lo
	v_lshlrev_b64 v[7:8], 2, v[9:10]
	v_add_co_u32 v5, vcc_lo, v11, v5
	s_delay_alu instid0(VALU_DEP_3) | instskip(SKIP_1) | instid1(VALU_DEP_3)
	v_add_co_ci_u32_e32 v6, vcc_lo, v12, v6, vcc_lo
	s_load_b32 s3, s[0:1], 0x40
	v_add_co_u32 v9, vcc_lo, v11, v7
	s_delay_alu instid0(VALU_DEP_4) | instskip(SKIP_4) | instid1(VALU_DEP_1)
	v_add_co_ci_u32_e32 v10, vcc_lo, v12, v8, vcc_lo
	s_clause 0x1
	global_load_b128 v[5:8], v[5:6], off
	global_load_b128 v[9:12], v[9:10], off
	v_lshlrev_b32_e32 v13, 7, v2
	v_add_lshl_u32 v18, v13, v17, 2
	s_waitcnt vmcnt(1) lgkmcnt(0)
	v_fma_mixlo_f16 v14, v7, s3, 0
	v_fma_mixlo_f16 v13, v5, s3, 0
	s_waitcnt vmcnt(0)
	v_fma_mixlo_f16 v16, v11, s3, 0
	v_fma_mixlo_f16 v15, v9, s3, 0
	v_add_lshl_u32 v5, v19, v17, 2
	v_fma_mixhi_f16 v14, v8, s3, 0
	v_fma_mixhi_f16 v13, v6, s3, 0
	;; [unrolled: 1-line block ×4, first 2 shown]
	ds_store_b64 v18, v[13:14] offset:38912
	ds_store_b64 v5, v[15:16] offset:38912
	s_waitcnt lgkmcnt(0)
	s_barrier
	buffer_gl0_inv
	s_cbranch_scc1 .LBB73_4
; %bb.3:
	s_load_b32 s2, s[0:1], 0xd0
	s_mov_b32 s3, 0
	s_waitcnt lgkmcnt(0)
	s_mul_i32 s2, s2, s12
	s_delay_alu instid0(SALU_CYCLE_1) | instskip(NEXT) | instid1(SALU_CYCLE_1)
	s_add_i32 s2, s2, s13
	s_lshl_b64 s[2:3], s[2:3], 2
	s_delay_alu instid0(SALU_CYCLE_1)
	s_add_u32 s2, s26, s2
	s_addc_u32 s3, s27, s3
	s_load_b32 s2, s[2:3], 0x0
.LBB73_4:
	v_mbcnt_lo_u32_b32 v39, -1, 0
	s_lshl_b32 s3, s14, 7
	s_waitcnt lgkmcnt(0)
	s_cmp_lt_i32 s3, s2
	s_cbranch_scc1 .LBB73_6
; %bb.5:
	v_mbcnt_lo_u32_b32 v5, -1, 0
	v_mov_b32_e32 v40, 32
	s_mov_b32 s4, 0
	s_mov_b32 s5, 0xfeffffff
	s_delay_alu instid0(VALU_DEP_2)
	v_xor_b32_e32 v78, 16, v5
	v_xor_b32_e32 v74, 8, v5
	;; [unrolled: 1-line block ×5, first 2 shown]
	s_branch .LBB73_7
.LBB73_6:
	s_mov_b32 s4, -1
                                        ; implicit-def: $sgpr5
                                        ; implicit-def: $vgpr5
                                        ; implicit-def: $vgpr40
                                        ; implicit-def: $vgpr78
                                        ; implicit-def: $vgpr74
                                        ; implicit-def: $vgpr75
                                        ; implicit-def: $vgpr76
                                        ; implicit-def: $vgpr77
.LBB73_7:
	s_delay_alu instid0(SALU_CYCLE_1) | instskip(SKIP_2) | instid1(VALU_DEP_3)
	v_cndmask_b32_e64 v6, 0, 1, s4
	v_dual_mov_b32 v36, s5 :: v_dual_mov_b32 v35, s5
	v_dual_mov_b32 v72, s4 :: v_dual_mov_b32 v71, s4
	v_cmp_ne_u32_e32 vcc_lo, 1, v6
	v_dual_mov_b32 v66, s4 :: v_dual_mov_b32 v67, s4
	v_dual_mov_b32 v65, s4 :: v_dual_lshlrev_b32 v38, 2, v0
	v_mov_b32_e32 v64, s4
	s_cbranch_vccnz .LBB73_44
; %bb.8:
	s_clause 0x1
	s_load_b128 s[8:11], s[0:1], 0x98
	s_load_b64 s[4:5], s[0:1], 0x8c
	s_sub_i32 s13, 0, s33
	s_abs_i32 s22, s15
	s_mul_i32 s13, s13, s39
	s_ashr_i32 s27, s37, 1
	s_mul_hi_u32 s13, s39, s13
	s_ashr_i32 s37, s12, 31
	s_add_i32 s39, s39, s13
	s_ashr_i32 s23, s15, 31
	s_mul_hi_u32 s36, s22, s39
	s_ashr_i32 s26, s38, 31
	s_load_b64 s[16:17], s[0:1], 0xa8
	s_mul_i32 s38, s36, s33
	v_lshrrev_b32_e32 v5, 4, v0
	v_mov_b32_e32 v64, 0
	v_dual_mov_b32 v69, 0xfeffffff :: v_dual_and_b32 v40, 60, v38
	v_dual_mov_b32 v67, 0 :: v_dual_lshlrev_b32 v22, 9, v2
	s_waitcnt lgkmcnt(0)
	s_mul_i32 s39, s37, s8
	s_ashr_i32 s13, s4, 2
	s_mul_i32 s4, s12, s9
	s_mul_hi_u32 s9, s12, s8
	s_mul_i32 s8, s12, s8
	s_add_i32 s4, s9, s4
	s_ashr_i32 s10, s10, 2
	s_add_i32 s4, s4, s39
	s_add_u32 s8, s18, s8
	s_addc_u32 s4, s19, s4
	s_sub_i32 s18, s22, s38
	s_xor_b32 s9, s23, s26
	s_add_i32 s19, s36, 1
	s_sub_i32 s22, s18, s33
	s_cmp_ge_u32 s18, s33
	v_add_nc_u32_e32 v3, v5, v3
	s_cselect_b32 s19, s19, s36
	s_cselect_b32 s18, s22, s18
	s_add_i32 s22, s19, 1
	s_cmp_ge_u32 s18, s33
	s_mul_i32 s17, s12, s17
	s_cselect_b32 s18, s22, s19
	s_mul_hi_u32 s19, s12, s16
	s_xor_b32 s18, s18, s9
	s_mul_i32 s37, s37, s16
	s_sub_i32 s18, s18, s9
	v_mul_lo_u32 v5, s13, v3
	s_mul_i32 s5, s18, s5
	v_mul_lo_u32 v19, s10, v3
	s_ashr_i32 s9, s5, 31
	s_add_u32 s8, s8, s5
	s_addc_u32 s9, s4, s9
	s_add_i32 s4, s19, s17
	s_mul_i32 s16, s12, s16
	s_mul_i32 s18, s18, s11
	s_add_i32 s4, s4, s37
	s_add_u32 s5, s20, s16
	s_addc_u32 s4, s21, s4
	s_ashr_i32 s16, s18, 31
	s_add_u32 s11, s5, s18
	s_addc_u32 s16, s4, s16
	s_lshl_b32 s4, s13, 4
	s_lshl_b32 s5, s10, 4
	v_add_nc_u32_e32 v7, s4, v5
	v_add_nc_u32_e32 v21, s5, v19
	v_dual_mov_b32 v65, 0 :: v_dual_lshlrev_b32 v20, 2, v40
	v_dual_mov_b32 v40, 32 :: v_dual_lshlrev_b32 v61, 2, v40
	s_delay_alu instid0(VALU_DEP_4) | instskip(NEXT) | instid1(VALU_DEP_4)
	v_dual_mov_b32 v66, 0 :: v_dual_add_nc_u32 v9, s4, v7
	v_dual_mov_b32 v68, 0xfeffffff :: v_dual_add_nc_u32 v23, s5, v21
	s_load_b32 s17, s[0:1], 0x54
	s_delay_alu instid0(VALU_DEP_2) | instskip(SKIP_1) | instid1(VALU_DEP_3)
	v_add_nc_u32_e32 v11, s4, v9
	v_mad_u32_u24 v41, 0x110, v3, v20
	v_add_nc_u32_e32 v25, s5, v23
	v_ashrrev_i32_e32 v6, 31, v5
	v_ashrrev_i32_e32 v8, 31, v7
	v_add_nc_u32_e32 v13, s4, v11
	v_ashrrev_i32_e32 v10, 31, v9
	v_add_nc_u32_e32 v29, s5, v25
	;; [unrolled: 2-line block ×3, first 2 shown]
	v_add_nc_u32_e32 v15, s4, v13
	v_ashrrev_i32_e32 v14, 31, v13
	v_add_nc_u32_e32 v31, s5, v29
	v_lshl_or_b32 v51, v3, 8, v20
	v_add_nc_u32_e32 v52, 0x8800, v22
	v_add_nc_u32_e32 v17, s4, v15
	v_ashrrev_i32_e32 v16, 31, v15
	v_add_nc_u32_e32 v33, s5, v31
	v_ashrrev_i32_e32 v20, 31, v19
	v_ashrrev_i32_e32 v22, 31, v21
	v_add_nc_u32_e32 v27, s4, v17
	v_ashrrev_i32_e32 v18, 31, v17
	v_add_nc_u32_e32 v35, s5, v33
	v_ashrrev_i32_e32 v24, 31, v23
	v_ashrrev_i32_e32 v26, 31, v25
	;; [unrolled: 1-line block ×7, first 2 shown]
	v_mad_u64_u32 v[2:3], null, v4, s27, v[0:1]
	v_lshlrev_b64 v[3:4], 2, v[5:6]
	v_lshlrev_b64 v[5:6], 2, v[7:8]
	;; [unrolled: 1-line block ×16, first 2 shown]
	v_mul_u32_u24_e32 v42, 0x110, v0
	v_dual_mov_b32 v62, 0 :: v_dual_add_nc_u32 v43, 0x1100, v41
	v_dual_mov_b32 v63, 0 :: v_dual_add_nc_u32 v44, 0x2200, v41
	v_add_nc_u32_e32 v45, 0x3300, v41
	v_add_nc_u32_e32 v46, 0x4400, v41
	;; [unrolled: 1-line block ×12, first 2 shown]
	v_lshlrev_b32_e32 v60, 3, v0
	s_add_u32 s4, s0, 0xd0
	s_addc_u32 s5, s1, 0
	s_mov_b32 s18, 0xbbbac73d
.LBB73_9:                               ; =>This Inner Loop Header: Depth=1
	s_mul_hi_i32 s21, s3, s13
	s_mul_i32 s20, s3, s13
	s_delay_alu instid0(SALU_CYCLE_1) | instskip(NEXT) | instid1(SALU_CYCLE_1)
	s_lshl_b64 s[20:21], s[20:21], 2
	s_add_u32 s19, s8, s20
	s_addc_u32 s20, s9, s21
	v_add_co_u32 v35, vcc_lo, s19, v3
	v_add_co_ci_u32_e32 v36, vcc_lo, s20, v4, vcc_lo
	v_add_co_u32 v70, vcc_lo, s19, v5
	v_add_co_ci_u32_e32 v71, vcc_lo, s20, v6, vcc_lo
	s_delay_alu instid0(VALU_DEP_4) | instskip(NEXT) | instid1(VALU_DEP_4)
	v_add_co_u32 v35, vcc_lo, v35, v61
	v_add_co_ci_u32_e32 v36, vcc_lo, 0, v36, vcc_lo
	s_delay_alu instid0(VALU_DEP_4) | instskip(NEXT) | instid1(VALU_DEP_4)
	v_add_co_u32 v74, vcc_lo, v70, v61
	v_add_co_ci_u32_e32 v75, vcc_lo, 0, v71, vcc_lo
	s_clause 0x1
	global_load_b128 v[70:73], v[35:36], off
	global_load_b128 v[74:77], v[74:75], off
	v_add_co_u32 v35, vcc_lo, s19, v7
	v_add_co_ci_u32_e32 v36, vcc_lo, s20, v8, vcc_lo
	v_add_co_u32 v78, vcc_lo, s19, v9
	v_add_co_ci_u32_e32 v79, vcc_lo, s20, v10, vcc_lo
	s_delay_alu instid0(VALU_DEP_4) | instskip(NEXT) | instid1(VALU_DEP_4)
	v_add_co_u32 v35, vcc_lo, v35, v61
	v_add_co_ci_u32_e32 v36, vcc_lo, 0, v36, vcc_lo
	s_delay_alu instid0(VALU_DEP_4) | instskip(NEXT) | instid1(VALU_DEP_4)
	v_add_co_u32 v82, vcc_lo, v78, v61
	v_add_co_ci_u32_e32 v83, vcc_lo, 0, v79, vcc_lo
	v_add_co_u32 v78, vcc_lo, s19, v11
	v_add_co_ci_u32_e32 v79, vcc_lo, s20, v12, vcc_lo
	v_add_co_u32 v80, vcc_lo, s19, v13
	v_add_co_ci_u32_e32 v81, vcc_lo, s20, v14, vcc_lo
	s_delay_alu instid0(VALU_DEP_4) | instskip(NEXT) | instid1(VALU_DEP_4)
	v_add_co_u32 v86, vcc_lo, v78, v61
	v_add_co_ci_u32_e32 v87, vcc_lo, 0, v79, vcc_lo
	s_delay_alu instid0(VALU_DEP_4) | instskip(NEXT) | instid1(VALU_DEP_4)
	v_add_co_u32 v90, vcc_lo, v80, v61
	v_add_co_ci_u32_e32 v91, vcc_lo, 0, v81, vcc_lo
	;; [unrolled: 10-line block ×3, first 2 shown]
	s_clause 0x5
	global_load_b128 v[78:81], v[35:36], off
	global_load_b128 v[82:85], v[82:83], off
	;; [unrolled: 1-line block ×6, first 2 shown]
	s_waitcnt vmcnt(7)
	ds_store_b128 v41, v[70:73]
	s_waitcnt vmcnt(6)
	ds_store_b128 v43, v[74:77]
	;; [unrolled: 2-line block ×8, first 2 shown]
	s_waitcnt lgkmcnt(0)
	s_barrier
	buffer_gl0_inv
	ds_load_b128 v[78:81], v42
	ds_load_b128 v[82:85], v50
	ds_load_b128 v[86:89], v50 offset:256
	ds_load_b128 v[90:93], v42 offset:8704
	v_dual_mov_b32 v74, 0 :: v_dual_mov_b32 v75, 0
	ds_load_b128 v[94:97], v42 offset:17408
	ds_load_b128 v[98:101], v42 offset:26112
	s_waitcnt lgkmcnt(4)
	;;#ASMSTART
	v_dot2_f32_f16 v74, v78, v82, v74
	;;#ASMEND
	;;#ASMSTART
	v_dot2_f32_f16 v74, v79, v83, v74
	;;#ASMEND
	v_dual_mov_b32 v70, 0 :: v_dual_mov_b32 v71, 0
	;;#ASMSTART
	v_dot2_f32_f16 v74, v80, v84, v74
	;;#ASMEND
	;;#ASMSTART
	v_dot2_f32_f16 v74, v81, v85, v74
	;;#ASMEND
	s_waitcnt lgkmcnt(3)
	;;#ASMSTART
	v_dot2_f32_f16 v70, v78, v86, v70
	;;#ASMEND
	;;#ASMSTART
	v_dot2_f32_f16 v70, v79, v87, v70
	;;#ASMEND
	;; [unrolled: 3-line block ×4, first 2 shown]
	s_waitcnt lgkmcnt(2)
	;;#ASMSTART
	v_dot2_f32_f16 v75, v90, v82, v75
	;;#ASMEND
	;;#ASMSTART
	v_dot2_f32_f16 v75, v91, v83, v75
	;;#ASMEND
	;; [unrolled: 3-line block ×6, first 2 shown]
	v_dual_mov_b32 v76, 0 :: v_dual_mov_b32 v77, 0
	;;#ASMSTART
	v_dot2_f32_f16 v71, v92, v88, v71
	;;#ASMEND
	;;#ASMSTART
	v_dot2_f32_f16 v71, v93, v89, v71
	;;#ASMEND
	s_waitcnt lgkmcnt(1)
	;;#ASMSTART
	v_dot2_f32_f16 v76, v94, v82, v76
	;;#ASMEND
	;;#ASMSTART
	v_dot2_f32_f16 v76, v95, v83, v76
	;;#ASMEND
	v_dual_mov_b32 v72, 0 :: v_dual_mov_b32 v73, 0
	;;#ASMSTART
	v_dot2_f32_f16 v76, v96, v84, v76
	;;#ASMEND
	;;#ASMSTART
	v_dot2_f32_f16 v76, v97, v85, v76
	;;#ASMEND
	;;#ASMSTART
	v_dot2_f32_f16 v72, v94, v86, v72
	;;#ASMEND
	;;#ASMSTART
	v_dot2_f32_f16 v72, v95, v87, v72
	;;#ASMEND
	;;#ASMSTART
	v_dot2_f32_f16 v72, v96, v88, v72
	;;#ASMEND
	;;#ASMSTART
	v_dot2_f32_f16 v72, v97, v89, v72
	;;#ASMEND
	s_waitcnt lgkmcnt(0)
	;;#ASMSTART
	v_dot2_f32_f16 v77, v98, v82, v77
	;;#ASMEND
	;;#ASMSTART
	v_dot2_f32_f16 v77, v99, v83, v77
	;;#ASMEND
	;; [unrolled: 3-line block ×8, first 2 shown]
	ds_load_b128 v[78:81], v42 offset:16
	ds_load_b128 v[82:85], v50 offset:16
	ds_load_b128 v[86:89], v50 offset:272
	ds_load_b128 v[90:93], v42 offset:8720
	ds_load_b128 v[94:97], v42 offset:17424
	ds_load_b128 v[98:101], v42 offset:26128
	s_waitcnt lgkmcnt(4)
	;;#ASMSTART
	v_dot2_f32_f16 v74, v78, v82, v74
	;;#ASMEND
	;;#ASMSTART
	v_dot2_f32_f16 v74, v79, v83, v74
	;;#ASMEND
	;;#ASMSTART
	v_dot2_f32_f16 v74, v80, v84, v74
	;;#ASMEND
	;;#ASMSTART
	v_dot2_f32_f16 v74, v81, v85, v74
	;;#ASMEND
	s_waitcnt lgkmcnt(3)
	;;#ASMSTART
	v_dot2_f32_f16 v70, v78, v86, v70
	;;#ASMEND
	;;#ASMSTART
	v_dot2_f32_f16 v70, v79, v87, v70
	;;#ASMEND
	;;#ASMSTART
	v_dot2_f32_f16 v70, v80, v88, v70
	;;#ASMEND
	;;#ASMSTART
	v_dot2_f32_f16 v70, v81, v89, v70
	;;#ASMEND
	;; [unrolled: 13-line block ×3, first 2 shown]
	;;#ASMSTART
	v_dot2_f32_f16 v71, v90, v86, v71
	;;#ASMEND
	;;#ASMSTART
	v_dot2_f32_f16 v71, v91, v87, v71
	;;#ASMEND
	;; [unrolled: 3-line block ×4, first 2 shown]
	s_waitcnt lgkmcnt(1)
	;;#ASMSTART
	v_dot2_f32_f16 v76, v94, v82, v76
	;;#ASMEND
	;;#ASMSTART
	v_dot2_f32_f16 v76, v95, v83, v76
	;;#ASMEND
	;; [unrolled: 3-line block ×8, first 2 shown]
	s_waitcnt lgkmcnt(0)
	;;#ASMSTART
	v_dot2_f32_f16 v77, v98, v82, v77
	;;#ASMEND
	;;#ASMSTART
	v_dot2_f32_f16 v77, v99, v83, v77
	;;#ASMEND
	;;#ASMSTART
	v_dot2_f32_f16 v77, v100, v84, v77
	;;#ASMEND
	;;#ASMSTART
	v_dot2_f32_f16 v77, v101, v85, v77
	;;#ASMEND
	;;#ASMSTART
	v_dot2_f32_f16 v73, v98, v86, v73
	;;#ASMEND
	;;#ASMSTART
	v_dot2_f32_f16 v73, v99, v87, v73
	;;#ASMEND
	;;#ASMSTART
	v_dot2_f32_f16 v73, v100, v88, v73
	;;#ASMEND
	;;#ASMSTART
	v_dot2_f32_f16 v73, v101, v89, v73
	;;#ASMEND
	ds_load_b128 v[78:81], v42 offset:32
	ds_load_b128 v[82:85], v50 offset:32
	;; [unrolled: 1-line block ×6, first 2 shown]
	s_waitcnt lgkmcnt(4)
	;;#ASMSTART
	v_dot2_f32_f16 v74, v78, v82, v74
	;;#ASMEND
	;;#ASMSTART
	v_dot2_f32_f16 v74, v79, v83, v74
	;;#ASMEND
	;;#ASMSTART
	v_dot2_f32_f16 v74, v80, v84, v74
	;;#ASMEND
	;;#ASMSTART
	v_dot2_f32_f16 v74, v81, v85, v74
	;;#ASMEND
	s_waitcnt lgkmcnt(3)
	;;#ASMSTART
	v_dot2_f32_f16 v70, v78, v86, v70
	;;#ASMEND
	;;#ASMSTART
	v_dot2_f32_f16 v70, v79, v87, v70
	;;#ASMEND
	;;#ASMSTART
	v_dot2_f32_f16 v70, v80, v88, v70
	;;#ASMEND
	;;#ASMSTART
	v_dot2_f32_f16 v70, v81, v89, v70
	;;#ASMEND
	s_waitcnt lgkmcnt(2)
	;;#ASMSTART
	v_dot2_f32_f16 v75, v90, v82, v75
	;;#ASMEND
	;;#ASMSTART
	v_dot2_f32_f16 v75, v91, v83, v75
	;;#ASMEND
	;;#ASMSTART
	v_dot2_f32_f16 v75, v92, v84, v75
	;;#ASMEND
	;;#ASMSTART
	v_dot2_f32_f16 v75, v93, v85, v75
	;;#ASMEND
	;;#ASMSTART
	v_dot2_f32_f16 v71, v90, v86, v71
	;;#ASMEND
	;;#ASMSTART
	v_dot2_f32_f16 v71, v91, v87, v71
	;;#ASMEND
	;;#ASMSTART
	v_dot2_f32_f16 v71, v92, v88, v71
	;;#ASMEND
	;;#ASMSTART
	v_dot2_f32_f16 v71, v93, v89, v71
	;;#ASMEND
	s_waitcnt lgkmcnt(1)
	;;#ASMSTART
	v_dot2_f32_f16 v76, v94, v82, v76
	;;#ASMEND
	;;#ASMSTART
	v_dot2_f32_f16 v76, v95, v83, v76
	;;#ASMEND
	;; [unrolled: 3-line block ×8, first 2 shown]
	s_waitcnt lgkmcnt(0)
	;;#ASMSTART
	v_dot2_f32_f16 v77, v98, v82, v77
	;;#ASMEND
	;;#ASMSTART
	v_dot2_f32_f16 v77, v99, v83, v77
	;;#ASMEND
	;; [unrolled: 3-line block ×8, first 2 shown]
	ds_load_b128 v[78:81], v42 offset:48
	ds_load_b128 v[82:85], v50 offset:48
	;; [unrolled: 1-line block ×6, first 2 shown]
	s_waitcnt lgkmcnt(4)
	;;#ASMSTART
	v_dot2_f32_f16 v74, v78, v82, v74
	;;#ASMEND
	;;#ASMSTART
	v_dot2_f32_f16 v74, v79, v83, v74
	;;#ASMEND
	;;#ASMSTART
	v_dot2_f32_f16 v74, v80, v84, v74
	;;#ASMEND
	;;#ASMSTART
	v_dot2_f32_f16 v74, v81, v85, v74
	;;#ASMEND
	s_waitcnt lgkmcnt(3)
	;;#ASMSTART
	v_dot2_f32_f16 v70, v78, v86, v70
	;;#ASMEND
	;;#ASMSTART
	v_dot2_f32_f16 v70, v79, v87, v70
	;;#ASMEND
	;;#ASMSTART
	v_dot2_f32_f16 v70, v80, v88, v70
	;;#ASMEND
	;;#ASMSTART
	v_dot2_f32_f16 v70, v81, v89, v70
	;;#ASMEND
	;; [unrolled: 13-line block ×3, first 2 shown]
	;;#ASMSTART
	v_dot2_f32_f16 v71, v90, v86, v71
	;;#ASMEND
	;;#ASMSTART
	v_dot2_f32_f16 v71, v91, v87, v71
	;;#ASMEND
	;; [unrolled: 3-line block ×4, first 2 shown]
	s_waitcnt lgkmcnt(1)
	;;#ASMSTART
	v_dot2_f32_f16 v76, v94, v82, v76
	;;#ASMEND
	;;#ASMSTART
	v_dot2_f32_f16 v76, v95, v83, v76
	;;#ASMEND
	;; [unrolled: 3-line block ×8, first 2 shown]
	s_waitcnt lgkmcnt(0)
	;;#ASMSTART
	v_dot2_f32_f16 v77, v98, v82, v77
	;;#ASMEND
	;;#ASMSTART
	v_dot2_f32_f16 v77, v99, v83, v77
	;;#ASMEND
	;; [unrolled: 3-line block ×8, first 2 shown]
	ds_load_b128 v[78:81], v42 offset:64
	ds_load_b128 v[82:85], v50 offset:64
	;; [unrolled: 1-line block ×6, first 2 shown]
	s_waitcnt lgkmcnt(4)
	;;#ASMSTART
	v_dot2_f32_f16 v74, v78, v82, v74
	;;#ASMEND
	;;#ASMSTART
	v_dot2_f32_f16 v74, v79, v83, v74
	;;#ASMEND
	;;#ASMSTART
	v_dot2_f32_f16 v74, v80, v84, v74
	;;#ASMEND
	;;#ASMSTART
	v_dot2_f32_f16 v74, v81, v85, v74
	;;#ASMEND
	s_waitcnt lgkmcnt(3)
	;;#ASMSTART
	v_dot2_f32_f16 v70, v78, v86, v70
	;;#ASMEND
	;;#ASMSTART
	v_dot2_f32_f16 v70, v79, v87, v70
	;;#ASMEND
	;;#ASMSTART
	v_dot2_f32_f16 v70, v80, v88, v70
	;;#ASMEND
	;;#ASMSTART
	v_dot2_f32_f16 v70, v81, v89, v70
	;;#ASMEND
	;; [unrolled: 13-line block ×3, first 2 shown]
	;;#ASMSTART
	v_dot2_f32_f16 v71, v90, v86, v71
	;;#ASMEND
	;;#ASMSTART
	v_dot2_f32_f16 v71, v91, v87, v71
	;;#ASMEND
	;; [unrolled: 3-line block ×4, first 2 shown]
	s_waitcnt lgkmcnt(1)
	;;#ASMSTART
	v_dot2_f32_f16 v76, v94, v82, v76
	;;#ASMEND
	;;#ASMSTART
	v_dot2_f32_f16 v76, v95, v83, v76
	;;#ASMEND
	;; [unrolled: 3-line block ×8, first 2 shown]
	s_waitcnt lgkmcnt(0)
	;;#ASMSTART
	v_dot2_f32_f16 v77, v98, v82, v77
	;;#ASMEND
	;;#ASMSTART
	v_dot2_f32_f16 v77, v99, v83, v77
	;;#ASMEND
	;; [unrolled: 3-line block ×8, first 2 shown]
	ds_load_b128 v[78:81], v42 offset:80
	ds_load_b128 v[82:85], v50 offset:80
	;; [unrolled: 1-line block ×6, first 2 shown]
	s_waitcnt lgkmcnt(4)
	;;#ASMSTART
	v_dot2_f32_f16 v74, v78, v82, v74
	;;#ASMEND
	;;#ASMSTART
	v_dot2_f32_f16 v74, v79, v83, v74
	;;#ASMEND
	;;#ASMSTART
	v_dot2_f32_f16 v74, v80, v84, v74
	;;#ASMEND
	;;#ASMSTART
	v_dot2_f32_f16 v74, v81, v85, v74
	;;#ASMEND
	s_waitcnt lgkmcnt(3)
	;;#ASMSTART
	v_dot2_f32_f16 v70, v78, v86, v70
	;;#ASMEND
	;;#ASMSTART
	v_dot2_f32_f16 v70, v79, v87, v70
	;;#ASMEND
	;;#ASMSTART
	v_dot2_f32_f16 v70, v80, v88, v70
	;;#ASMEND
	;;#ASMSTART
	v_dot2_f32_f16 v70, v81, v89, v70
	;;#ASMEND
	;; [unrolled: 13-line block ×3, first 2 shown]
	;;#ASMSTART
	v_dot2_f32_f16 v71, v90, v86, v71
	;;#ASMEND
	;;#ASMSTART
	v_dot2_f32_f16 v71, v91, v87, v71
	;;#ASMEND
	;; [unrolled: 3-line block ×4, first 2 shown]
	s_waitcnt lgkmcnt(1)
	;;#ASMSTART
	v_dot2_f32_f16 v76, v94, v82, v76
	;;#ASMEND
	;;#ASMSTART
	v_dot2_f32_f16 v76, v95, v83, v76
	;;#ASMEND
	;; [unrolled: 3-line block ×8, first 2 shown]
	s_waitcnt lgkmcnt(0)
	;;#ASMSTART
	v_dot2_f32_f16 v77, v98, v82, v77
	;;#ASMEND
	;;#ASMSTART
	v_dot2_f32_f16 v77, v99, v83, v77
	;;#ASMEND
	;; [unrolled: 3-line block ×8, first 2 shown]
	ds_load_b128 v[78:81], v42 offset:96
	ds_load_b128 v[82:85], v50 offset:96
	;; [unrolled: 1-line block ×6, first 2 shown]
	s_waitcnt lgkmcnt(4)
	;;#ASMSTART
	v_dot2_f32_f16 v74, v78, v82, v74
	;;#ASMEND
	;;#ASMSTART
	v_dot2_f32_f16 v74, v79, v83, v74
	;;#ASMEND
	;;#ASMSTART
	v_dot2_f32_f16 v74, v80, v84, v74
	;;#ASMEND
	;;#ASMSTART
	v_dot2_f32_f16 v74, v81, v85, v74
	;;#ASMEND
	s_waitcnt lgkmcnt(3)
	;;#ASMSTART
	v_dot2_f32_f16 v70, v78, v86, v70
	;;#ASMEND
	;;#ASMSTART
	v_dot2_f32_f16 v70, v79, v87, v70
	;;#ASMEND
	;;#ASMSTART
	v_dot2_f32_f16 v70, v80, v88, v70
	;;#ASMEND
	;;#ASMSTART
	v_dot2_f32_f16 v70, v81, v89, v70
	;;#ASMEND
	;; [unrolled: 13-line block ×3, first 2 shown]
	;;#ASMSTART
	v_dot2_f32_f16 v71, v90, v86, v71
	;;#ASMEND
	;;#ASMSTART
	v_dot2_f32_f16 v71, v91, v87, v71
	;;#ASMEND
	;; [unrolled: 3-line block ×4, first 2 shown]
	s_waitcnt lgkmcnt(1)
	;;#ASMSTART
	v_dot2_f32_f16 v76, v94, v82, v76
	;;#ASMEND
	;;#ASMSTART
	v_dot2_f32_f16 v76, v95, v83, v76
	;;#ASMEND
	;;#ASMSTART
	v_dot2_f32_f16 v76, v96, v84, v76
	;;#ASMEND
	;;#ASMSTART
	v_dot2_f32_f16 v76, v97, v85, v76
	;;#ASMEND
	;;#ASMSTART
	v_dot2_f32_f16 v72, v94, v86, v72
	;;#ASMEND
	;;#ASMSTART
	v_dot2_f32_f16 v72, v95, v87, v72
	;;#ASMEND
	;;#ASMSTART
	v_dot2_f32_f16 v72, v96, v88, v72
	;;#ASMEND
	;;#ASMSTART
	v_dot2_f32_f16 v72, v97, v89, v72
	;;#ASMEND
	s_waitcnt lgkmcnt(0)
	;;#ASMSTART
	v_dot2_f32_f16 v77, v98, v82, v77
	;;#ASMEND
	;;#ASMSTART
	v_dot2_f32_f16 v77, v99, v83, v77
	;;#ASMEND
	;; [unrolled: 3-line block ×8, first 2 shown]
	ds_load_b128 v[78:81], v42 offset:112
	ds_load_b128 v[82:85], v50 offset:112
	;; [unrolled: 1-line block ×6, first 2 shown]
	s_waitcnt lgkmcnt(4)
	;;#ASMSTART
	v_dot2_f32_f16 v74, v78, v82, v74
	;;#ASMEND
	;;#ASMSTART
	v_dot2_f32_f16 v74, v79, v83, v74
	;;#ASMEND
	;;#ASMSTART
	v_dot2_f32_f16 v74, v80, v84, v74
	;;#ASMEND
	;;#ASMSTART
	v_dot2_f32_f16 v74, v81, v85, v74
	;;#ASMEND
	s_waitcnt lgkmcnt(3)
	;;#ASMSTART
	v_dot2_f32_f16 v70, v78, v86, v70
	;;#ASMEND
	;;#ASMSTART
	v_dot2_f32_f16 v70, v79, v87, v70
	;;#ASMEND
	;;#ASMSTART
	v_dot2_f32_f16 v70, v80, v88, v70
	;;#ASMEND
	;;#ASMSTART
	v_dot2_f32_f16 v70, v81, v89, v70
	;;#ASMEND
	;; [unrolled: 13-line block ×3, first 2 shown]
	;;#ASMSTART
	v_dot2_f32_f16 v71, v90, v86, v71
	;;#ASMEND
	;;#ASMSTART
	v_dot2_f32_f16 v71, v91, v87, v71
	;;#ASMEND
	;; [unrolled: 3-line block ×4, first 2 shown]
	s_waitcnt lgkmcnt(1)
	;;#ASMSTART
	v_dot2_f32_f16 v76, v94, v82, v76
	;;#ASMEND
	;;#ASMSTART
	v_dot2_f32_f16 v76, v95, v83, v76
	;;#ASMEND
	;; [unrolled: 3-line block ×8, first 2 shown]
	s_waitcnt lgkmcnt(0)
	;;#ASMSTART
	v_dot2_f32_f16 v77, v98, v82, v77
	;;#ASMEND
	;;#ASMSTART
	v_dot2_f32_f16 v77, v99, v83, v77
	;;#ASMEND
	;; [unrolled: 3-line block ×8, first 2 shown]
	ds_load_b128 v[78:81], v42 offset:128
	ds_load_b128 v[82:85], v50 offset:128
	;; [unrolled: 1-line block ×6, first 2 shown]
	s_waitcnt lgkmcnt(4)
	;;#ASMSTART
	v_dot2_f32_f16 v74, v78, v82, v74
	;;#ASMEND
	;;#ASMSTART
	v_dot2_f32_f16 v74, v79, v83, v74
	;;#ASMEND
	;;#ASMSTART
	v_dot2_f32_f16 v74, v80, v84, v74
	;;#ASMEND
	;;#ASMSTART
	v_dot2_f32_f16 v74, v81, v85, v74
	;;#ASMEND
	s_waitcnt lgkmcnt(3)
	;;#ASMSTART
	v_dot2_f32_f16 v70, v78, v86, v70
	;;#ASMEND
	;;#ASMSTART
	v_dot2_f32_f16 v70, v79, v87, v70
	;;#ASMEND
	;;#ASMSTART
	v_dot2_f32_f16 v70, v80, v88, v70
	;;#ASMEND
	;;#ASMSTART
	v_dot2_f32_f16 v70, v81, v89, v70
	;;#ASMEND
	;; [unrolled: 13-line block ×3, first 2 shown]
	;;#ASMSTART
	v_dot2_f32_f16 v71, v90, v86, v71
	;;#ASMEND
	;;#ASMSTART
	v_dot2_f32_f16 v71, v91, v87, v71
	;;#ASMEND
	;; [unrolled: 3-line block ×4, first 2 shown]
	s_waitcnt lgkmcnt(1)
	;;#ASMSTART
	v_dot2_f32_f16 v76, v94, v82, v76
	;;#ASMEND
	;;#ASMSTART
	v_dot2_f32_f16 v76, v95, v83, v76
	;;#ASMEND
	;; [unrolled: 3-line block ×8, first 2 shown]
	s_waitcnt lgkmcnt(0)
	;;#ASMSTART
	v_dot2_f32_f16 v77, v98, v82, v77
	;;#ASMEND
	;;#ASMSTART
	v_dot2_f32_f16 v77, v99, v83, v77
	;;#ASMEND
	;; [unrolled: 3-line block ×8, first 2 shown]
	ds_load_b128 v[78:81], v42 offset:144
	ds_load_b128 v[82:85], v50 offset:144
	;; [unrolled: 1-line block ×6, first 2 shown]
	s_waitcnt lgkmcnt(4)
	;;#ASMSTART
	v_dot2_f32_f16 v74, v78, v82, v74
	;;#ASMEND
	;;#ASMSTART
	v_dot2_f32_f16 v74, v79, v83, v74
	;;#ASMEND
	;;#ASMSTART
	v_dot2_f32_f16 v74, v80, v84, v74
	;;#ASMEND
	;;#ASMSTART
	v_dot2_f32_f16 v74, v81, v85, v74
	;;#ASMEND
	s_waitcnt lgkmcnt(3)
	;;#ASMSTART
	v_dot2_f32_f16 v70, v78, v86, v70
	;;#ASMEND
	;;#ASMSTART
	v_dot2_f32_f16 v70, v79, v87, v70
	;;#ASMEND
	;;#ASMSTART
	v_dot2_f32_f16 v70, v80, v88, v70
	;;#ASMEND
	;;#ASMSTART
	v_dot2_f32_f16 v70, v81, v89, v70
	;;#ASMEND
	;; [unrolled: 13-line block ×3, first 2 shown]
	;;#ASMSTART
	v_dot2_f32_f16 v71, v90, v86, v71
	;;#ASMEND
	;;#ASMSTART
	v_dot2_f32_f16 v71, v91, v87, v71
	;;#ASMEND
	;; [unrolled: 3-line block ×4, first 2 shown]
	s_waitcnt lgkmcnt(1)
	;;#ASMSTART
	v_dot2_f32_f16 v76, v94, v82, v76
	;;#ASMEND
	;;#ASMSTART
	v_dot2_f32_f16 v76, v95, v83, v76
	;;#ASMEND
	;; [unrolled: 3-line block ×8, first 2 shown]
	s_waitcnt lgkmcnt(0)
	;;#ASMSTART
	v_dot2_f32_f16 v77, v98, v82, v77
	;;#ASMEND
	;;#ASMSTART
	v_dot2_f32_f16 v77, v99, v83, v77
	;;#ASMEND
	;; [unrolled: 3-line block ×8, first 2 shown]
	ds_load_b128 v[78:81], v42 offset:160
	ds_load_b128 v[82:85], v50 offset:160
	;; [unrolled: 1-line block ×6, first 2 shown]
	s_waitcnt lgkmcnt(4)
	;;#ASMSTART
	v_dot2_f32_f16 v74, v78, v82, v74
	;;#ASMEND
	;;#ASMSTART
	v_dot2_f32_f16 v74, v79, v83, v74
	;;#ASMEND
	;;#ASMSTART
	v_dot2_f32_f16 v74, v80, v84, v74
	;;#ASMEND
	;;#ASMSTART
	v_dot2_f32_f16 v74, v81, v85, v74
	;;#ASMEND
	s_waitcnt lgkmcnt(3)
	;;#ASMSTART
	v_dot2_f32_f16 v70, v78, v86, v70
	;;#ASMEND
	;;#ASMSTART
	v_dot2_f32_f16 v70, v79, v87, v70
	;;#ASMEND
	;;#ASMSTART
	v_dot2_f32_f16 v70, v80, v88, v70
	;;#ASMEND
	;;#ASMSTART
	v_dot2_f32_f16 v70, v81, v89, v70
	;;#ASMEND
	;; [unrolled: 13-line block ×3, first 2 shown]
	;;#ASMSTART
	v_dot2_f32_f16 v71, v90, v86, v71
	;;#ASMEND
	;;#ASMSTART
	v_dot2_f32_f16 v71, v91, v87, v71
	;;#ASMEND
	;; [unrolled: 3-line block ×4, first 2 shown]
	s_waitcnt lgkmcnt(1)
	;;#ASMSTART
	v_dot2_f32_f16 v76, v94, v82, v76
	;;#ASMEND
	;;#ASMSTART
	v_dot2_f32_f16 v76, v95, v83, v76
	;;#ASMEND
	;; [unrolled: 3-line block ×8, first 2 shown]
	s_waitcnt lgkmcnt(0)
	;;#ASMSTART
	v_dot2_f32_f16 v77, v98, v82, v77
	;;#ASMEND
	;;#ASMSTART
	v_dot2_f32_f16 v77, v99, v83, v77
	;;#ASMEND
	;; [unrolled: 3-line block ×8, first 2 shown]
	ds_load_b128 v[78:81], v42 offset:176
	ds_load_b128 v[82:85], v50 offset:176
	;; [unrolled: 1-line block ×6, first 2 shown]
	s_waitcnt lgkmcnt(4)
	;;#ASMSTART
	v_dot2_f32_f16 v74, v78, v82, v74
	;;#ASMEND
	;;#ASMSTART
	v_dot2_f32_f16 v74, v79, v83, v74
	;;#ASMEND
	;;#ASMSTART
	v_dot2_f32_f16 v74, v80, v84, v74
	;;#ASMEND
	;;#ASMSTART
	v_dot2_f32_f16 v74, v81, v85, v74
	;;#ASMEND
	s_waitcnt lgkmcnt(3)
	;;#ASMSTART
	v_dot2_f32_f16 v70, v78, v86, v70
	;;#ASMEND
	;;#ASMSTART
	v_dot2_f32_f16 v70, v79, v87, v70
	;;#ASMEND
	;;#ASMSTART
	v_dot2_f32_f16 v70, v80, v88, v70
	;;#ASMEND
	;;#ASMSTART
	v_dot2_f32_f16 v70, v81, v89, v70
	;;#ASMEND
	;; [unrolled: 13-line block ×3, first 2 shown]
	;;#ASMSTART
	v_dot2_f32_f16 v71, v90, v86, v71
	;;#ASMEND
	;;#ASMSTART
	v_dot2_f32_f16 v71, v91, v87, v71
	;;#ASMEND
	;;#ASMSTART
	v_dot2_f32_f16 v71, v92, v88, v71
	;;#ASMEND
	;;#ASMSTART
	v_dot2_f32_f16 v71, v93, v89, v71
	;;#ASMEND
	s_waitcnt lgkmcnt(1)
	;;#ASMSTART
	v_dot2_f32_f16 v76, v94, v82, v76
	;;#ASMEND
	;;#ASMSTART
	v_dot2_f32_f16 v76, v95, v83, v76
	;;#ASMEND
	;;#ASMSTART
	v_dot2_f32_f16 v76, v96, v84, v76
	;;#ASMEND
	;;#ASMSTART
	v_dot2_f32_f16 v76, v97, v85, v76
	;;#ASMEND
	;;#ASMSTART
	v_dot2_f32_f16 v72, v94, v86, v72
	;;#ASMEND
	;;#ASMSTART
	v_dot2_f32_f16 v72, v95, v87, v72
	;;#ASMEND
	;;#ASMSTART
	v_dot2_f32_f16 v72, v96, v88, v72
	;;#ASMEND
	;;#ASMSTART
	v_dot2_f32_f16 v72, v97, v89, v72
	;;#ASMEND
	s_waitcnt lgkmcnt(0)
	;;#ASMSTART
	v_dot2_f32_f16 v77, v98, v82, v77
	;;#ASMEND
	;;#ASMSTART
	v_dot2_f32_f16 v77, v99, v83, v77
	;;#ASMEND
	;; [unrolled: 3-line block ×8, first 2 shown]
	ds_load_b128 v[78:81], v42 offset:192
	ds_load_b128 v[82:85], v50 offset:192
	;; [unrolled: 1-line block ×6, first 2 shown]
	s_waitcnt lgkmcnt(4)
	;;#ASMSTART
	v_dot2_f32_f16 v74, v78, v82, v74
	;;#ASMEND
	;;#ASMSTART
	v_dot2_f32_f16 v74, v79, v83, v74
	;;#ASMEND
	;;#ASMSTART
	v_dot2_f32_f16 v74, v80, v84, v74
	;;#ASMEND
	;;#ASMSTART
	v_dot2_f32_f16 v74, v81, v85, v74
	;;#ASMEND
	s_waitcnt lgkmcnt(3)
	;;#ASMSTART
	v_dot2_f32_f16 v70, v78, v86, v70
	;;#ASMEND
	;;#ASMSTART
	v_dot2_f32_f16 v70, v79, v87, v70
	;;#ASMEND
	;;#ASMSTART
	v_dot2_f32_f16 v70, v80, v88, v70
	;;#ASMEND
	;;#ASMSTART
	v_dot2_f32_f16 v70, v81, v89, v70
	;;#ASMEND
	;; [unrolled: 13-line block ×3, first 2 shown]
	;;#ASMSTART
	v_dot2_f32_f16 v71, v90, v86, v71
	;;#ASMEND
	;;#ASMSTART
	v_dot2_f32_f16 v71, v91, v87, v71
	;;#ASMEND
	;;#ASMSTART
	v_dot2_f32_f16 v71, v92, v88, v71
	;;#ASMEND
	;;#ASMSTART
	v_dot2_f32_f16 v71, v93, v89, v71
	;;#ASMEND
	s_waitcnt lgkmcnt(1)
	;;#ASMSTART
	v_dot2_f32_f16 v76, v94, v82, v76
	;;#ASMEND
	;;#ASMSTART
	v_dot2_f32_f16 v76, v95, v83, v76
	;;#ASMEND
	;; [unrolled: 3-line block ×8, first 2 shown]
	s_waitcnt lgkmcnt(0)
	;;#ASMSTART
	v_dot2_f32_f16 v77, v98, v82, v77
	;;#ASMEND
	;;#ASMSTART
	v_dot2_f32_f16 v77, v99, v83, v77
	;;#ASMEND
	;; [unrolled: 3-line block ×8, first 2 shown]
	ds_load_b128 v[78:81], v42 offset:208
	ds_load_b128 v[82:85], v50 offset:208
	;; [unrolled: 1-line block ×6, first 2 shown]
	s_waitcnt lgkmcnt(4)
	;;#ASMSTART
	v_dot2_f32_f16 v74, v78, v82, v74
	;;#ASMEND
	;;#ASMSTART
	v_dot2_f32_f16 v74, v79, v83, v74
	;;#ASMEND
	;;#ASMSTART
	v_dot2_f32_f16 v74, v80, v84, v74
	;;#ASMEND
	;;#ASMSTART
	v_dot2_f32_f16 v74, v81, v85, v74
	;;#ASMEND
	s_waitcnt lgkmcnt(3)
	;;#ASMSTART
	v_dot2_f32_f16 v70, v78, v86, v70
	;;#ASMEND
	;;#ASMSTART
	v_dot2_f32_f16 v70, v79, v87, v70
	;;#ASMEND
	;;#ASMSTART
	v_dot2_f32_f16 v70, v80, v88, v70
	;;#ASMEND
	;;#ASMSTART
	v_dot2_f32_f16 v70, v81, v89, v70
	;;#ASMEND
	;; [unrolled: 13-line block ×3, first 2 shown]
	;;#ASMSTART
	v_dot2_f32_f16 v71, v90, v86, v71
	;;#ASMEND
	;;#ASMSTART
	v_dot2_f32_f16 v71, v91, v87, v71
	;;#ASMEND
	;; [unrolled: 3-line block ×4, first 2 shown]
	s_waitcnt lgkmcnt(1)
	;;#ASMSTART
	v_dot2_f32_f16 v76, v94, v82, v76
	;;#ASMEND
	;;#ASMSTART
	v_dot2_f32_f16 v76, v95, v83, v76
	;;#ASMEND
	;; [unrolled: 3-line block ×8, first 2 shown]
	s_waitcnt lgkmcnt(0)
	;;#ASMSTART
	v_dot2_f32_f16 v77, v98, v82, v77
	;;#ASMEND
	;;#ASMSTART
	v_dot2_f32_f16 v77, v99, v83, v77
	;;#ASMEND
	;; [unrolled: 3-line block ×8, first 2 shown]
	ds_load_b128 v[78:81], v42 offset:224
	ds_load_b128 v[82:85], v50 offset:224
	;; [unrolled: 1-line block ×6, first 2 shown]
	s_waitcnt lgkmcnt(4)
	;;#ASMSTART
	v_dot2_f32_f16 v74, v78, v82, v74
	;;#ASMEND
	;;#ASMSTART
	v_dot2_f32_f16 v74, v79, v83, v74
	;;#ASMEND
	;;#ASMSTART
	v_dot2_f32_f16 v74, v80, v84, v74
	;;#ASMEND
	;;#ASMSTART
	v_dot2_f32_f16 v74, v81, v85, v74
	;;#ASMEND
	s_waitcnt lgkmcnt(3)
	;;#ASMSTART
	v_dot2_f32_f16 v70, v78, v86, v70
	;;#ASMEND
	;;#ASMSTART
	v_dot2_f32_f16 v70, v79, v87, v70
	;;#ASMEND
	;;#ASMSTART
	v_dot2_f32_f16 v70, v80, v88, v70
	;;#ASMEND
	;;#ASMSTART
	v_dot2_f32_f16 v70, v81, v89, v70
	;;#ASMEND
	;; [unrolled: 13-line block ×3, first 2 shown]
	;;#ASMSTART
	v_dot2_f32_f16 v71, v90, v86, v71
	;;#ASMEND
	;;#ASMSTART
	v_dot2_f32_f16 v71, v91, v87, v71
	;;#ASMEND
	;; [unrolled: 3-line block ×4, first 2 shown]
	s_waitcnt lgkmcnt(1)
	;;#ASMSTART
	v_dot2_f32_f16 v76, v94, v82, v76
	;;#ASMEND
	;;#ASMSTART
	v_dot2_f32_f16 v76, v95, v83, v76
	;;#ASMEND
	;; [unrolled: 3-line block ×8, first 2 shown]
	s_waitcnt lgkmcnt(0)
	;;#ASMSTART
	v_dot2_f32_f16 v77, v98, v82, v77
	;;#ASMEND
	;;#ASMSTART
	v_dot2_f32_f16 v77, v99, v83, v77
	;;#ASMEND
	;; [unrolled: 3-line block ×8, first 2 shown]
	ds_load_b128 v[78:81], v42 offset:240
	ds_load_b128 v[82:85], v50 offset:240
	;; [unrolled: 1-line block ×6, first 2 shown]
	s_waitcnt lgkmcnt(4)
	;;#ASMSTART
	v_dot2_f32_f16 v74, v78, v82, v74
	;;#ASMEND
	;;#ASMSTART
	v_dot2_f32_f16 v74, v79, v83, v74
	;;#ASMEND
	;;#ASMSTART
	v_dot2_f32_f16 v74, v80, v84, v74
	;;#ASMEND
	;;#ASMSTART
	v_dot2_f32_f16 v74, v81, v85, v74
	;;#ASMEND
	s_waitcnt lgkmcnt(3)
	;;#ASMSTART
	v_dot2_f32_f16 v70, v78, v86, v70
	;;#ASMEND
	;;#ASMSTART
	v_dot2_f32_f16 v70, v79, v87, v70
	;;#ASMEND
	;;#ASMSTART
	v_dot2_f32_f16 v70, v80, v88, v70
	;;#ASMEND
	;;#ASMSTART
	v_dot2_f32_f16 v70, v81, v89, v70
	;;#ASMEND
	;; [unrolled: 13-line block ×3, first 2 shown]
	;;#ASMSTART
	v_dot2_f32_f16 v71, v90, v86, v71
	;;#ASMEND
	;;#ASMSTART
	v_dot2_f32_f16 v71, v91, v87, v71
	;;#ASMEND
	;; [unrolled: 3-line block ×4, first 2 shown]
	s_waitcnt lgkmcnt(1)
	;;#ASMSTART
	v_dot2_f32_f16 v76, v94, v82, v76
	;;#ASMEND
	;;#ASMSTART
	v_dot2_f32_f16 v76, v95, v83, v76
	;;#ASMEND
	;; [unrolled: 3-line block ×8, first 2 shown]
	s_waitcnt lgkmcnt(0)
	;;#ASMSTART
	v_dot2_f32_f16 v77, v98, v82, v77
	;;#ASMEND
	v_cmp_ngt_f32_e64 s19, 0x3f200000, |v74|
	;;#ASMSTART
	v_dot2_f32_f16 v77, v99, v83, v77
	;;#ASMEND
	;;#ASMSTART
	v_dot2_f32_f16 v77, v100, v84, v77
	;;#ASMEND
	;; [unrolled: 3-line block ×7, first 2 shown]
                                        ; implicit-def: $vgpr78
	s_and_saveexec_b32 s20, s19
	s_delay_alu instid0(SALU_CYCLE_1)
	s_xor_b32 s19, exec_lo, s20
	s_cbranch_execz .LBB73_11
; %bb.10:                               ;   in Loop: Header=BB73_9 Depth=1
	v_add_f32_e64 v35, |v74|, |v74|
	s_delay_alu instid0(VALU_DEP_1) | instskip(SKIP_1) | instid1(VALU_DEP_2)
	v_mul_f32_e32 v36, 0x3fb8aa3b, v35
	v_cmp_ngt_f32_e32 vcc_lo, 0xc2ce8ed0, v35
	v_rndne_f32_e32 v78, v36
	v_fma_f32 v79, 0x3fb8aa3b, v35, -v36
	s_delay_alu instid0(VALU_DEP_1) | instskip(SKIP_1) | instid1(VALU_DEP_2)
	v_dual_sub_f32 v36, v36, v78 :: v_dual_fmac_f32 v79, 0x32a5705f, v35
	v_cvt_i32_f32_e32 v78, v78
	v_add_f32_e32 v36, v36, v79
	s_delay_alu instid0(VALU_DEP_1) | instskip(SKIP_2) | instid1(VALU_DEP_1)
	v_exp_f32_e32 v36, v36
	s_waitcnt_depctr 0xfff
	v_ldexp_f32 v36, v36, v78
	v_cndmask_b32_e32 v36, 0, v36, vcc_lo
	v_cmp_nlt_f32_e32 vcc_lo, 0x42b17218, v35
	s_delay_alu instid0(VALU_DEP_2) | instskip(NEXT) | instid1(VALU_DEP_1)
	v_cndmask_b32_e32 v35, 0x7f800000, v36, vcc_lo
	v_add_f32_e32 v35, 1.0, v35
	s_delay_alu instid0(VALU_DEP_1)
	v_rcp_f32_e32 v35, v35
	s_waitcnt_depctr 0xfff
	v_fma_f32 v78, v35, -2.0, 1.0
.LBB73_11:                              ;   in Loop: Header=BB73_9 Depth=1
	s_and_not1_saveexec_b32 s19, s19
; %bb.12:                               ;   in Loop: Header=BB73_9 Depth=1
	v_mul_f32_e32 v35, v74, v74
	s_delay_alu instid0(VALU_DEP_1) | instskip(NEXT) | instid1(VALU_DEP_1)
	v_fmaak_f32 v36, s18, v35, 0x3ca908c9
	v_fmaak_f32 v36, v35, v36, 0xbd5c1c4e
	s_delay_alu instid0(VALU_DEP_1) | instskip(NEXT) | instid1(VALU_DEP_1)
	v_fmaak_f32 v36, v35, v36, 0x3e088382
	v_fmaak_f32 v36, v35, v36, 0xbeaaaa99
	s_delay_alu instid0(VALU_DEP_1) | instskip(NEXT) | instid1(VALU_DEP_1)
	v_mul_f32_e64 v36, |v74|, v36
	v_fma_f32 v78, v35, v36, |v74|
; %bb.13:                               ;   in Loop: Header=BB73_9 Depth=1
	s_or_b32 exec_lo, exec_lo, s19
	v_add_nc_u32_e32 v35, s3, v2
	v_cmp_ngt_f32_e64 s19, 0x3f200000, |v75|
                                        ; implicit-def: $vgpr82
	s_delay_alu instid0(VALU_DEP_2) | instskip(NEXT) | instid1(VALU_DEP_1)
	v_ashrrev_i32_e32 v36, 31, v35
	v_lshlrev_b64 v[35:36], 1, v[35:36]
	s_delay_alu instid0(VALU_DEP_1) | instskip(NEXT) | instid1(VALU_DEP_2)
	v_add_co_u32 v35, vcc_lo, s34, v35
	v_add_co_ci_u32_e32 v36, vcc_lo, s35, v36, vcc_lo
	flat_load_u16 v79, v[35:36]
	s_and_saveexec_b32 s20, s19
	s_delay_alu instid0(SALU_CYCLE_1)
	s_xor_b32 s19, exec_lo, s20
	s_cbranch_execz .LBB73_15
; %bb.14:                               ;   in Loop: Header=BB73_9 Depth=1
	v_add_f32_e64 v80, |v75|, |v75|
	s_delay_alu instid0(VALU_DEP_1) | instskip(SKIP_1) | instid1(VALU_DEP_2)
	v_mul_f32_e32 v81, 0x3fb8aa3b, v80
	v_cmp_ngt_f32_e32 vcc_lo, 0xc2ce8ed0, v80
	v_rndne_f32_e32 v82, v81
	v_fma_f32 v83, 0x3fb8aa3b, v80, -v81
	s_delay_alu instid0(VALU_DEP_2) | instskip(NEXT) | instid1(VALU_DEP_2)
	v_sub_f32_e32 v81, v81, v82
	v_fmac_f32_e32 v83, 0x32a5705f, v80
	v_cvt_i32_f32_e32 v82, v82
	s_delay_alu instid0(VALU_DEP_2) | instskip(NEXT) | instid1(VALU_DEP_1)
	v_add_f32_e32 v81, v81, v83
	v_exp_f32_e32 v81, v81
	s_waitcnt_depctr 0xfff
	v_ldexp_f32 v81, v81, v82
	s_delay_alu instid0(VALU_DEP_1) | instskip(SKIP_1) | instid1(VALU_DEP_2)
	v_cndmask_b32_e32 v81, 0, v81, vcc_lo
	v_cmp_nlt_f32_e32 vcc_lo, 0x42b17218, v80
	v_cndmask_b32_e32 v80, 0x7f800000, v81, vcc_lo
	s_delay_alu instid0(VALU_DEP_1) | instskip(NEXT) | instid1(VALU_DEP_1)
	v_add_f32_e32 v80, 1.0, v80
	v_rcp_f32_e32 v80, v80
	s_waitcnt_depctr 0xfff
	v_fma_f32 v82, v80, -2.0, 1.0
.LBB73_15:                              ;   in Loop: Header=BB73_9 Depth=1
	s_and_not1_saveexec_b32 s19, s19
; %bb.16:                               ;   in Loop: Header=BB73_9 Depth=1
	v_mul_f32_e32 v80, v75, v75
	s_delay_alu instid0(VALU_DEP_1) | instskip(NEXT) | instid1(VALU_DEP_1)
	v_fmaak_f32 v81, s18, v80, 0x3ca908c9
	v_fmaak_f32 v81, v80, v81, 0xbd5c1c4e
	s_delay_alu instid0(VALU_DEP_1) | instskip(NEXT) | instid1(VALU_DEP_1)
	v_fmaak_f32 v81, v80, v81, 0x3e088382
	v_fmaak_f32 v81, v80, v81, 0xbeaaaa99
	s_delay_alu instid0(VALU_DEP_1) | instskip(NEXT) | instid1(VALU_DEP_1)
	v_mul_f32_e64 v81, |v75|, v81
	v_fma_f32 v82, v80, v81, |v75|
; %bb.17:                               ;   in Loop: Header=BB73_9 Depth=1
	s_or_b32 exec_lo, exec_lo, s19
	flat_load_u16 v80, v[35:36] offset:64
	v_cmp_ngt_f32_e64 s19, 0x3f200000, |v76|
                                        ; implicit-def: $vgpr84
	s_delay_alu instid0(VALU_DEP_1) | instskip(NEXT) | instid1(SALU_CYCLE_1)
	s_and_saveexec_b32 s20, s19
	s_xor_b32 s19, exec_lo, s20
	s_cbranch_execz .LBB73_19
; %bb.18:                               ;   in Loop: Header=BB73_9 Depth=1
	v_add_f32_e64 v81, |v76|, |v76|
	s_delay_alu instid0(VALU_DEP_1) | instskip(SKIP_1) | instid1(VALU_DEP_2)
	v_mul_f32_e32 v83, 0x3fb8aa3b, v81
	v_cmp_ngt_f32_e32 vcc_lo, 0xc2ce8ed0, v81
	v_rndne_f32_e32 v84, v83
	v_fma_f32 v85, 0x3fb8aa3b, v81, -v83
	s_delay_alu instid0(VALU_DEP_2) | instskip(NEXT) | instid1(VALU_DEP_2)
	v_sub_f32_e32 v83, v83, v84
	v_fmac_f32_e32 v85, 0x32a5705f, v81
	v_cvt_i32_f32_e32 v84, v84
	s_delay_alu instid0(VALU_DEP_2) | instskip(NEXT) | instid1(VALU_DEP_1)
	v_add_f32_e32 v83, v83, v85
	v_exp_f32_e32 v83, v83
	s_waitcnt_depctr 0xfff
	v_ldexp_f32 v83, v83, v84
	s_delay_alu instid0(VALU_DEP_1) | instskip(SKIP_1) | instid1(VALU_DEP_2)
	v_cndmask_b32_e32 v83, 0, v83, vcc_lo
	v_cmp_nlt_f32_e32 vcc_lo, 0x42b17218, v81
	v_cndmask_b32_e32 v81, 0x7f800000, v83, vcc_lo
	s_delay_alu instid0(VALU_DEP_1) | instskip(NEXT) | instid1(VALU_DEP_1)
	v_add_f32_e32 v81, 1.0, v81
	v_rcp_f32_e32 v81, v81
	s_waitcnt_depctr 0xfff
	v_fma_f32 v84, v81, -2.0, 1.0
.LBB73_19:                              ;   in Loop: Header=BB73_9 Depth=1
	s_and_not1_saveexec_b32 s19, s19
; %bb.20:                               ;   in Loop: Header=BB73_9 Depth=1
	v_mul_f32_e32 v81, v76, v76
	s_delay_alu instid0(VALU_DEP_1) | instskip(NEXT) | instid1(VALU_DEP_1)
	v_fmaak_f32 v83, s18, v81, 0x3ca908c9
	v_fmaak_f32 v83, v81, v83, 0xbd5c1c4e
	s_delay_alu instid0(VALU_DEP_1) | instskip(NEXT) | instid1(VALU_DEP_1)
	v_fmaak_f32 v83, v81, v83, 0x3e088382
	v_fmaak_f32 v83, v81, v83, 0xbeaaaa99
	s_delay_alu instid0(VALU_DEP_1) | instskip(NEXT) | instid1(VALU_DEP_1)
	v_mul_f32_e64 v83, |v76|, v83
	v_fma_f32 v84, v81, v83, |v76|
; %bb.21:                               ;   in Loop: Header=BB73_9 Depth=1
	s_or_b32 exec_lo, exec_lo, s19
	flat_load_u16 v81, v[35:36] offset:128
	v_cmp_ngt_f32_e64 s19, 0x3f200000, |v77|
                                        ; implicit-def: $vgpr85
	s_delay_alu instid0(VALU_DEP_1) | instskip(NEXT) | instid1(SALU_CYCLE_1)
	s_and_saveexec_b32 s20, s19
	s_xor_b32 s19, exec_lo, s20
	s_cbranch_execz .LBB73_23
; %bb.22:                               ;   in Loop: Header=BB73_9 Depth=1
	v_add_f32_e64 v83, |v77|, |v77|
	s_delay_alu instid0(VALU_DEP_1) | instskip(SKIP_1) | instid1(VALU_DEP_2)
	v_mul_f32_e32 v85, 0x3fb8aa3b, v83
	v_cmp_ngt_f32_e32 vcc_lo, 0xc2ce8ed0, v83
	v_rndne_f32_e32 v86, v85
	v_fma_f32 v87, 0x3fb8aa3b, v83, -v85
	s_delay_alu instid0(VALU_DEP_2) | instskip(NEXT) | instid1(VALU_DEP_2)
	v_sub_f32_e32 v85, v85, v86
	v_fmac_f32_e32 v87, 0x32a5705f, v83
	v_cvt_i32_f32_e32 v86, v86
	s_delay_alu instid0(VALU_DEP_2) | instskip(NEXT) | instid1(VALU_DEP_1)
	v_add_f32_e32 v85, v85, v87
	v_exp_f32_e32 v85, v85
	s_waitcnt_depctr 0xfff
	v_ldexp_f32 v85, v85, v86
	s_delay_alu instid0(VALU_DEP_1) | instskip(SKIP_1) | instid1(VALU_DEP_2)
	v_cndmask_b32_e32 v85, 0, v85, vcc_lo
	v_cmp_nlt_f32_e32 vcc_lo, 0x42b17218, v83
	v_cndmask_b32_e32 v83, 0x7f800000, v85, vcc_lo
	s_delay_alu instid0(VALU_DEP_1) | instskip(NEXT) | instid1(VALU_DEP_1)
	v_add_f32_e32 v83, 1.0, v83
	v_rcp_f32_e32 v83, v83
	s_waitcnt_depctr 0xfff
	v_fma_f32 v85, v83, -2.0, 1.0
.LBB73_23:                              ;   in Loop: Header=BB73_9 Depth=1
	s_and_not1_saveexec_b32 s19, s19
; %bb.24:                               ;   in Loop: Header=BB73_9 Depth=1
	v_mul_f32_e32 v83, v77, v77
	s_delay_alu instid0(VALU_DEP_1) | instskip(NEXT) | instid1(VALU_DEP_1)
	v_fmaak_f32 v85, s18, v83, 0x3ca908c9
	v_fmaak_f32 v85, v83, v85, 0xbd5c1c4e
	s_delay_alu instid0(VALU_DEP_1) | instskip(NEXT) | instid1(VALU_DEP_1)
	v_fmaak_f32 v85, v83, v85, 0x3e088382
	v_fmaak_f32 v85, v83, v85, 0xbeaaaa99
	s_delay_alu instid0(VALU_DEP_1) | instskip(NEXT) | instid1(VALU_DEP_1)
	v_mul_f32_e64 v85, |v77|, v85
	v_fma_f32 v85, v83, v85, |v77|
; %bb.25:                               ;   in Loop: Header=BB73_9 Depth=1
	s_or_b32 exec_lo, exec_lo, s19
	flat_load_u16 v35, v[35:36] offset:192
	v_bfi_b32 v36, 0x7fffffff, v78, v74
	v_bfi_b32 v74, 0x7fffffff, v82, v75
	v_xor_b32_e32 v78, 16, v39
	v_bfi_b32 v75, 0x7fffffff, v85, v77
	v_cmp_ngt_f32_e64 s19, 0x3f200000, |v70|
	s_waitcnt vmcnt(3) lgkmcnt(3)
	v_fma_mix_f32 v82, v36, s17, v79 op_sel_hi:[0,0,1]
	s_waitcnt vmcnt(2) lgkmcnt(2)
	v_fma_mix_f32 v83, v74, s17, v80 op_sel_hi:[0,0,1]
	v_bfi_b32 v36, 0x7fffffff, v84, v76
	v_cmp_gt_i32_e32 vcc_lo, 32, v78
	s_delay_alu instid0(VALU_DEP_3) | instskip(SKIP_1) | instid1(VALU_DEP_3)
	v_add_f32_e32 v76, 0x40051340, v83
	s_waitcnt vmcnt(1) lgkmcnt(1)
	v_fma_mix_f32 v84, v36, s17, v81 op_sel_hi:[0,0,1]
	s_waitcnt vmcnt(0) lgkmcnt(0)
	v_fma_mix_f32 v85, v75, s17, v35 op_sel_hi:[0,0,1]
	v_cndmask_b32_e32 v75, v39, v78, vcc_lo
	s_delay_alu instid0(VALU_DEP_1) | instskip(NEXT) | instid1(VALU_DEP_1)
	v_dual_add_f32 v74, 0x40051340, v82 :: v_dual_lshlrev_b32 v87, 2, v75
	v_max3_f32 v36, v69, v74, v76
	v_add_f32_e32 v74, 0x40051340, v84
	v_add_f32_e32 v76, 0x40051340, v85
	s_delay_alu instid0(VALU_DEP_1)
	v_max3_f32 v36, v36, v74, v76
	v_xor_b32_e32 v74, 8, v39
	ds_bpermute_b32 v75, v87, v36
	v_cmp_gt_i32_e32 vcc_lo, 32, v74
	v_cndmask_b32_e32 v76, v39, v74, vcc_lo
	s_waitcnt lgkmcnt(0)
	v_max_f32_e32 v75, v75, v75
	s_delay_alu instid0(VALU_DEP_1) | instskip(SKIP_1) | instid1(VALU_DEP_1)
	v_max_f32_e32 v36, v36, v75
	v_xor_b32_e32 v75, 4, v39
	v_cmp_gt_i32_e32 vcc_lo, 32, v75
	v_cndmask_b32_e32 v77, v39, v75, vcc_lo
	s_delay_alu instid0(VALU_DEP_1) | instskip(SKIP_4) | instid1(VALU_DEP_1)
	v_lshlrev_b32_e32 v89, 2, v77
	v_lshlrev_b32_e32 v88, 2, v76
	ds_bpermute_b32 v76, v88, v36
	s_waitcnt lgkmcnt(0)
	v_max_f32_e32 v76, v76, v76
	v_max_f32_e32 v36, v36, v76
	v_xor_b32_e32 v76, 2, v39
	ds_bpermute_b32 v77, v89, v36
	v_cmp_gt_i32_e32 vcc_lo, 32, v76
	v_cndmask_b32_e32 v86, v39, v76, vcc_lo
	s_waitcnt lgkmcnt(0)
	s_delay_alu instid0(VALU_DEP_1) | instskip(NEXT) | instid1(VALU_DEP_1)
	v_dual_max_f32 v77, v77, v77 :: v_dual_lshlrev_b32 v86, 2, v86
	v_max_f32_e32 v90, v36, v77
	v_xor_b32_e32 v77, 1, v39
	ds_bpermute_b32 v36, v86, v90
	v_cmp_gt_i32_e32 vcc_lo, 32, v77
	s_waitcnt lgkmcnt(0)
	v_dual_cndmask_b32 v91, v39, v77 :: v_dual_max_f32 v92, v36, v36
	s_delay_alu instid0(VALU_DEP_1) | instskip(NEXT) | instid1(VALU_DEP_2)
	v_lshlrev_b32_e32 v36, 2, v91
	v_max_f32_e32 v90, v90, v92
                                        ; implicit-def: $vgpr92
	ds_bpermute_b32 v91, v36, v90
	s_and_saveexec_b32 s20, s19
	s_delay_alu instid0(SALU_CYCLE_1)
	s_xor_b32 s19, exec_lo, s20
	s_cbranch_execz .LBB73_27
; %bb.26:                               ;   in Loop: Header=BB73_9 Depth=1
	v_add_f32_e64 v92, |v70|, |v70|
	s_delay_alu instid0(VALU_DEP_1) | instskip(SKIP_1) | instid1(VALU_DEP_2)
	v_mul_f32_e32 v93, 0x3fb8aa3b, v92
	v_cmp_ngt_f32_e32 vcc_lo, 0xc2ce8ed0, v92
	v_rndne_f32_e32 v94, v93
	v_fma_f32 v95, 0x3fb8aa3b, v92, -v93
	s_delay_alu instid0(VALU_DEP_2) | instskip(NEXT) | instid1(VALU_DEP_2)
	v_sub_f32_e32 v93, v93, v94
	v_fmac_f32_e32 v95, 0x32a5705f, v92
	v_cvt_i32_f32_e32 v94, v94
	s_delay_alu instid0(VALU_DEP_2) | instskip(NEXT) | instid1(VALU_DEP_1)
	v_add_f32_e32 v93, v93, v95
	v_exp_f32_e32 v93, v93
	s_waitcnt_depctr 0xfff
	v_ldexp_f32 v93, v93, v94
	s_delay_alu instid0(VALU_DEP_1) | instskip(SKIP_1) | instid1(VALU_DEP_2)
	v_cndmask_b32_e32 v93, 0, v93, vcc_lo
	v_cmp_nlt_f32_e32 vcc_lo, 0x42b17218, v92
	v_cndmask_b32_e32 v92, 0x7f800000, v93, vcc_lo
	s_delay_alu instid0(VALU_DEP_1) | instskip(NEXT) | instid1(VALU_DEP_1)
	v_add_f32_e32 v92, 1.0, v92
	v_rcp_f32_e32 v92, v92
	s_waitcnt_depctr 0xfff
	v_fma_f32 v92, v92, -2.0, 1.0
.LBB73_27:                              ;   in Loop: Header=BB73_9 Depth=1
	s_and_not1_saveexec_b32 s19, s19
; %bb.28:                               ;   in Loop: Header=BB73_9 Depth=1
	v_mul_f32_e32 v92, v70, v70
	s_delay_alu instid0(VALU_DEP_1) | instskip(NEXT) | instid1(VALU_DEP_1)
	v_fmaak_f32 v93, s18, v92, 0x3ca908c9
	v_fmaak_f32 v93, v92, v93, 0xbd5c1c4e
	s_delay_alu instid0(VALU_DEP_1) | instskip(NEXT) | instid1(VALU_DEP_1)
	v_fmaak_f32 v93, v92, v93, 0x3e088382
	v_fmaak_f32 v93, v92, v93, 0xbeaaaa99
	s_delay_alu instid0(VALU_DEP_1) | instskip(NEXT) | instid1(VALU_DEP_1)
	v_mul_f32_e64 v93, |v70|, v93
	v_fma_f32 v92, v92, v93, |v70|
; %bb.29:                               ;   in Loop: Header=BB73_9 Depth=1
	s_or_b32 exec_lo, exec_lo, s19
	v_cmp_ngt_f32_e64 s19, 0x3f200000, |v71|
                                        ; implicit-def: $vgpr93
	s_delay_alu instid0(VALU_DEP_1) | instskip(NEXT) | instid1(SALU_CYCLE_1)
	s_and_saveexec_b32 s20, s19
	s_xor_b32 s19, exec_lo, s20
	s_cbranch_execz .LBB73_31
; %bb.30:                               ;   in Loop: Header=BB73_9 Depth=1
	v_add_f32_e64 v93, |v71|, |v71|
	s_delay_alu instid0(VALU_DEP_1) | instskip(SKIP_1) | instid1(VALU_DEP_2)
	v_mul_f32_e32 v94, 0x3fb8aa3b, v93
	v_cmp_ngt_f32_e32 vcc_lo, 0xc2ce8ed0, v93
	v_rndne_f32_e32 v95, v94
	v_fma_f32 v96, 0x3fb8aa3b, v93, -v94
	s_delay_alu instid0(VALU_DEP_2) | instskip(NEXT) | instid1(VALU_DEP_2)
	v_sub_f32_e32 v94, v94, v95
	v_fmac_f32_e32 v96, 0x32a5705f, v93
	v_cvt_i32_f32_e32 v95, v95
	s_delay_alu instid0(VALU_DEP_2) | instskip(NEXT) | instid1(VALU_DEP_1)
	v_add_f32_e32 v94, v94, v96
	v_exp_f32_e32 v94, v94
	s_waitcnt_depctr 0xfff
	v_ldexp_f32 v94, v94, v95
	s_delay_alu instid0(VALU_DEP_1) | instskip(SKIP_1) | instid1(VALU_DEP_2)
	v_cndmask_b32_e32 v94, 0, v94, vcc_lo
	v_cmp_nlt_f32_e32 vcc_lo, 0x42b17218, v93
	v_cndmask_b32_e32 v93, 0x7f800000, v94, vcc_lo
	s_delay_alu instid0(VALU_DEP_1) | instskip(NEXT) | instid1(VALU_DEP_1)
	v_add_f32_e32 v93, 1.0, v93
	v_rcp_f32_e32 v93, v93
	s_waitcnt_depctr 0xfff
	v_fma_f32 v93, v93, -2.0, 1.0
.LBB73_31:                              ;   in Loop: Header=BB73_9 Depth=1
	s_and_not1_saveexec_b32 s19, s19
; %bb.32:                               ;   in Loop: Header=BB73_9 Depth=1
	v_mul_f32_e32 v93, v71, v71
	s_delay_alu instid0(VALU_DEP_1) | instskip(NEXT) | instid1(VALU_DEP_1)
	v_fmaak_f32 v94, s18, v93, 0x3ca908c9
	v_fmaak_f32 v94, v93, v94, 0xbd5c1c4e
	s_delay_alu instid0(VALU_DEP_1) | instskip(NEXT) | instid1(VALU_DEP_1)
	v_fmaak_f32 v94, v93, v94, 0x3e088382
	v_fmaak_f32 v94, v93, v94, 0xbeaaaa99
	s_delay_alu instid0(VALU_DEP_1) | instskip(NEXT) | instid1(VALU_DEP_1)
	v_mul_f32_e64 v94, |v71|, v94
	v_fma_f32 v93, v93, v94, |v71|
; %bb.33:                               ;   in Loop: Header=BB73_9 Depth=1
	s_or_b32 exec_lo, exec_lo, s19
	v_cmp_ngt_f32_e64 s19, 0x3f200000, |v72|
                                        ; implicit-def: $vgpr94
	s_delay_alu instid0(VALU_DEP_1) | instskip(NEXT) | instid1(SALU_CYCLE_1)
	s_and_saveexec_b32 s20, s19
	s_xor_b32 s19, exec_lo, s20
	s_cbranch_execz .LBB73_35
; %bb.34:                               ;   in Loop: Header=BB73_9 Depth=1
	v_add_f32_e64 v94, |v72|, |v72|
	s_delay_alu instid0(VALU_DEP_1) | instskip(SKIP_1) | instid1(VALU_DEP_2)
	v_mul_f32_e32 v95, 0x3fb8aa3b, v94
	v_cmp_ngt_f32_e32 vcc_lo, 0xc2ce8ed0, v94
	v_rndne_f32_e32 v96, v95
	v_fma_f32 v97, 0x3fb8aa3b, v94, -v95
	s_delay_alu instid0(VALU_DEP_2) | instskip(NEXT) | instid1(VALU_DEP_2)
	v_sub_f32_e32 v95, v95, v96
	v_fmac_f32_e32 v97, 0x32a5705f, v94
	v_cvt_i32_f32_e32 v96, v96
	s_delay_alu instid0(VALU_DEP_2) | instskip(NEXT) | instid1(VALU_DEP_1)
	v_add_f32_e32 v95, v95, v97
	v_exp_f32_e32 v95, v95
	s_waitcnt_depctr 0xfff
	v_ldexp_f32 v95, v95, v96
	s_delay_alu instid0(VALU_DEP_1) | instskip(SKIP_1) | instid1(VALU_DEP_2)
	v_cndmask_b32_e32 v95, 0, v95, vcc_lo
	v_cmp_nlt_f32_e32 vcc_lo, 0x42b17218, v94
	v_cndmask_b32_e32 v94, 0x7f800000, v95, vcc_lo
	s_delay_alu instid0(VALU_DEP_1) | instskip(NEXT) | instid1(VALU_DEP_1)
	v_add_f32_e32 v94, 1.0, v94
	v_rcp_f32_e32 v94, v94
	s_waitcnt_depctr 0xfff
	v_fma_f32 v94, v94, -2.0, 1.0
.LBB73_35:                              ;   in Loop: Header=BB73_9 Depth=1
	s_and_not1_saveexec_b32 s19, s19
; %bb.36:                               ;   in Loop: Header=BB73_9 Depth=1
	v_mul_f32_e32 v94, v72, v72
	s_delay_alu instid0(VALU_DEP_1) | instskip(NEXT) | instid1(VALU_DEP_1)
	v_fmaak_f32 v95, s18, v94, 0x3ca908c9
	v_fmaak_f32 v95, v94, v95, 0xbd5c1c4e
	s_delay_alu instid0(VALU_DEP_1) | instskip(NEXT) | instid1(VALU_DEP_1)
	v_fmaak_f32 v95, v94, v95, 0x3e088382
	v_fmaak_f32 v95, v94, v95, 0xbeaaaa99
	s_delay_alu instid0(VALU_DEP_1) | instskip(NEXT) | instid1(VALU_DEP_1)
	v_mul_f32_e64 v95, |v72|, v95
	v_fma_f32 v94, v94, v95, |v72|
; %bb.37:                               ;   in Loop: Header=BB73_9 Depth=1
	s_or_b32 exec_lo, exec_lo, s19
	v_cmp_ngt_f32_e64 s19, 0x3f200000, |v73|
                                        ; implicit-def: $vgpr95
	s_delay_alu instid0(VALU_DEP_1) | instskip(NEXT) | instid1(SALU_CYCLE_1)
	s_and_saveexec_b32 s20, s19
	s_xor_b32 s19, exec_lo, s20
	s_cbranch_execz .LBB73_39
; %bb.38:                               ;   in Loop: Header=BB73_9 Depth=1
	v_add_f32_e64 v95, |v73|, |v73|
	s_delay_alu instid0(VALU_DEP_1) | instskip(SKIP_1) | instid1(VALU_DEP_2)
	v_mul_f32_e32 v96, 0x3fb8aa3b, v95
	v_cmp_ngt_f32_e32 vcc_lo, 0xc2ce8ed0, v95
	v_rndne_f32_e32 v97, v96
	v_fma_f32 v98, 0x3fb8aa3b, v95, -v96
	s_delay_alu instid0(VALU_DEP_2) | instskip(NEXT) | instid1(VALU_DEP_2)
	v_sub_f32_e32 v96, v96, v97
	v_fmac_f32_e32 v98, 0x32a5705f, v95
	v_cvt_i32_f32_e32 v97, v97
	s_delay_alu instid0(VALU_DEP_2) | instskip(NEXT) | instid1(VALU_DEP_1)
	v_add_f32_e32 v96, v96, v98
	v_exp_f32_e32 v96, v96
	s_waitcnt_depctr 0xfff
	v_ldexp_f32 v96, v96, v97
	s_delay_alu instid0(VALU_DEP_1) | instskip(SKIP_1) | instid1(VALU_DEP_2)
	v_cndmask_b32_e32 v96, 0, v96, vcc_lo
	v_cmp_nlt_f32_e32 vcc_lo, 0x42b17218, v95
	v_cndmask_b32_e32 v95, 0x7f800000, v96, vcc_lo
	s_delay_alu instid0(VALU_DEP_1) | instskip(NEXT) | instid1(VALU_DEP_1)
	v_add_f32_e32 v95, 1.0, v95
	v_rcp_f32_e32 v95, v95
	s_waitcnt_depctr 0xfff
	v_fma_f32 v95, v95, -2.0, 1.0
.LBB73_39:                              ;   in Loop: Header=BB73_9 Depth=1
	s_and_not1_saveexec_b32 s19, s19
; %bb.40:                               ;   in Loop: Header=BB73_9 Depth=1
	v_mul_f32_e32 v95, v73, v73
	s_delay_alu instid0(VALU_DEP_1) | instskip(NEXT) | instid1(VALU_DEP_1)
	v_fmaak_f32 v96, s18, v95, 0x3ca908c9
	v_fmaak_f32 v96, v95, v96, 0xbd5c1c4e
	s_delay_alu instid0(VALU_DEP_1) | instskip(NEXT) | instid1(VALU_DEP_1)
	v_fmaak_f32 v96, v95, v96, 0x3e088382
	v_fmaak_f32 v96, v95, v96, 0xbeaaaa99
	s_delay_alu instid0(VALU_DEP_1) | instskip(NEXT) | instid1(VALU_DEP_1)
	v_mul_f32_e64 v96, |v73|, v96
	v_fma_f32 v95, v95, v96, |v73|
; %bb.41:                               ;   in Loop: Header=BB73_9 Depth=1
	s_or_b32 exec_lo, exec_lo, s19
	s_mul_hi_i32 s21, s3, s10
	s_mul_i32 s20, s3, s10
	s_waitcnt lgkmcnt(0)
	s_lshl_b64 s[20:21], s[20:21], 2
	s_barrier
	s_add_u32 s19, s11, s20
	s_addc_u32 s20, s16, s21
	v_add_co_u32 v96, vcc_lo, s19, v19
	v_add_co_ci_u32_e32 v97, vcc_lo, s20, v20, vcc_lo
	v_add_co_u32 v98, vcc_lo, s19, v21
	v_add_co_ci_u32_e32 v99, vcc_lo, s20, v22, vcc_lo
	s_delay_alu instid0(VALU_DEP_4) | instskip(NEXT) | instid1(VALU_DEP_4)
	v_add_co_u32 v96, vcc_lo, v96, v61
	v_add_co_ci_u32_e32 v97, vcc_lo, 0, v97, vcc_lo
	s_delay_alu instid0(VALU_DEP_4) | instskip(NEXT) | instid1(VALU_DEP_4)
	v_add_co_u32 v100, vcc_lo, v98, v61
	v_add_co_ci_u32_e32 v101, vcc_lo, 0, v99, vcc_lo
	v_add_co_u32 v104, vcc_lo, s19, v23
	v_add_co_ci_u32_e32 v105, vcc_lo, s20, v24, vcc_lo
	v_add_co_u32 v106, vcc_lo, s19, v25
	v_add_co_ci_u32_e32 v107, vcc_lo, s20, v26, vcc_lo
	s_delay_alu instid0(VALU_DEP_4) | instskip(NEXT) | instid1(VALU_DEP_4)
	v_add_co_u32 v104, vcc_lo, v104, v61
	v_add_co_ci_u32_e32 v105, vcc_lo, 0, v105, vcc_lo
	s_delay_alu instid0(VALU_DEP_4) | instskip(NEXT) | instid1(VALU_DEP_4)
	v_add_co_u32 v108, vcc_lo, v106, v61
	v_add_co_ci_u32_e32 v109, vcc_lo, 0, v107, vcc_lo
	;; [unrolled: 10-line block ×4, first 2 shown]
	buffer_gl0_inv
	s_clause 0x7
	global_load_b128 v[96:99], v[96:97], off
	global_load_b128 v[100:103], v[100:101], off
	;; [unrolled: 1-line block ×8, first 2 shown]
	v_cvt_f32_f16_e64 v128, v79
	v_cvt_f32_f16_e32 v80, v80
	v_bfi_b32 v70, 0x7fffffff, v92, v70
	v_bfi_b32 v71, 0x7fffffff, v93, v71
	v_cvt_f32_f16_e32 v81, v81
	v_cvt_f32_f16_e32 v92, v35
	v_bfi_b32 v35, 0x7fffffff, v94, v72
	v_bfi_b32 v72, 0x7fffffff, v95, v73
	v_fmac_f32_e32 v128, s17, v70
	v_fmac_f32_e32 v80, s17, v71
	s_delay_alu instid0(VALU_DEP_3) | instskip(NEXT) | instid1(VALU_DEP_3)
	v_dual_fmac_f32 v81, s17, v35 :: v_dual_fmac_f32 v92, s17, v72
	v_add_f32_e32 v35, 0x40051340, v128
	s_delay_alu instid0(VALU_DEP_2) | instskip(NEXT) | instid1(VALU_DEP_3)
	v_dual_add_f32 v70, 0x40051340, v80 :: v_dual_add_f32 v71, 0x40051340, v81
	v_add_f32_e32 v72, 0x40051340, v92
	s_delay_alu instid0(VALU_DEP_2) | instskip(NEXT) | instid1(VALU_DEP_1)
	v_max3_f32 v35, v68, v35, v70
	v_max3_f32 v35, v35, v71, v72
	v_max_f32_e32 v72, v90, v90
	ds_bpermute_b32 v70, v87, v35
	s_waitcnt lgkmcnt(0)
	v_max_f32_e32 v70, v70, v70
	s_delay_alu instid0(VALU_DEP_1) | instskip(SKIP_3) | instid1(VALU_DEP_1)
	v_max_f32_e32 v35, v35, v70
	ds_bpermute_b32 v70, v88, v35
	s_waitcnt lgkmcnt(0)
	v_max_f32_e32 v70, v70, v70
	v_max_f32_e32 v70, v35, v70
	;; [unrolled: 1-line block ×3, first 2 shown]
	s_delay_alu instid0(VALU_DEP_1) | instskip(NEXT) | instid1(VALU_DEP_1)
	v_max_f32_e32 v35, v72, v35
	v_dual_sub_f32 v72, v83, v35 :: v_dual_add_nc_u32 v87, v52, v38
	v_sub_f32_e32 v79, v82, v35
	ds_bpermute_b32 v71, v89, v70
	v_sub_f32_e32 v82, v69, v35
	v_sub_f32_e32 v83, v85, v35
	v_mul_f32_e32 v73, 0x3fb8aa3b, v72
	v_sub_f32_e32 v69, v84, v35
	s_delay_alu instid0(VALU_DEP_4) | instskip(NEXT) | instid1(VALU_DEP_4)
	v_dual_mul_f32 v84, 0x3fb8aa3b, v79 :: v_dual_mul_f32 v89, 0x3fb8aa3b, v82
	v_mul_f32_e32 v88, 0x3fb8aa3b, v83
	s_delay_alu instid0(VALU_DEP_4) | instskip(NEXT) | instid1(VALU_DEP_4)
	v_fma_f32 v90, 0x3fb8aa3b, v72, -v73
	v_mul_f32_e32 v85, 0x3fb8aa3b, v69
	s_delay_alu instid0(VALU_DEP_4)
	v_rndne_f32_e32 v93, v84
	v_fma_f32 v131, 0x3fb8aa3b, v82, -v89
	v_fma_f32 v129, 0x3fb8aa3b, v83, -v88
	v_fmac_f32_e32 v90, 0x32a5705f, v72
	v_rndne_f32_e32 v95, v85
	v_rndne_f32_e32 v130, v88
	v_fmac_f32_e32 v131, 0x32a5705f, v82
	v_fma_f32 v91, 0x3fb8aa3b, v79, -v84
	v_fma_f32 v94, 0x3fb8aa3b, v69, -v85
	s_waitcnt lgkmcnt(0)
	v_dual_sub_f32 v84, v84, v93 :: v_dual_max_f32 v71, v71, v71
	v_dual_sub_f32 v85, v85, v95 :: v_dual_sub_f32 v88, v88, v130
	v_rndne_f32_e32 v132, v89
	v_dual_fmac_f32 v91, 0x32a5705f, v79 :: v_dual_fmac_f32 v94, 0x32a5705f, v69
	s_delay_alu instid0(VALU_DEP_4) | instskip(SKIP_2) | instid1(VALU_DEP_4)
	v_max_f32_e32 v70, v70, v71
	v_rndne_f32_e32 v71, v73
	v_cmp_ngt_f32_e32 vcc_lo, 0xc2ce8ed0, v72
	v_dual_sub_f32 v89, v89, v132 :: v_dual_add_f32 v84, v84, v91
	ds_bpermute_b32 v86, v86, v70
	v_sub_f32_e32 v73, v73, v71
	v_fmac_f32_e32 v129, 0x32a5705f, v83
	v_cvt_i32_f32_e32 v71, v71
	v_exp_f32_e32 v84, v84
	v_cvt_i32_f32_e32 v93, v93
	v_cvt_i32_f32_e32 v91, v132
	s_waitcnt lgkmcnt(0)
	v_max_f32_e32 v86, v86, v86
	v_dual_add_f32 v73, v73, v90 :: v_dual_add_f32 v88, v88, v129
	v_cvt_i32_f32_e32 v90, v130
	s_delay_alu instid0(VALU_DEP_2)
	v_exp_f32_e32 v73, v73
	s_waitcnt_depctr 0xfff
	v_ldexp_f32 v71, v73, v71
	v_max_f32_e32 v70, v70, v86
	v_ldexp_f32 v73, v84, v93
	v_exp_f32_e32 v86, v88
	v_add_f32_e32 v88, v89, v131
	v_cndmask_b32_e32 v71, 0, v71, vcc_lo
	ds_bpermute_b32 v36, v36, v70
	v_cmp_ngt_f32_e32 vcc_lo, 0xc2ce8ed0, v79
	v_add_f32_e32 v85, v85, v94
	v_cvt_i32_f32_e32 v89, v95
	s_delay_alu instid0(VALU_DEP_2)
	v_exp_f32_e32 v85, v85
	s_waitcnt_depctr 0xfff
	v_ldexp_f32 v84, v85, v89
	v_ldexp_f32 v85, v86, v90
	v_cndmask_b32_e32 v86, 0, v73, vcc_lo
	s_waitcnt lgkmcnt(0)
	v_max_f32_e32 v36, v36, v36
	v_cmp_ngt_f32_e32 vcc_lo, 0xc2ce8ed0, v69
	s_delay_alu instid0(VALU_DEP_2) | instskip(NEXT) | instid1(VALU_DEP_1)
	v_max_f32_e32 v36, v70, v36
	v_sub_f32_e32 v90, v92, v36
	s_delay_alu instid0(VALU_DEP_1)
	v_mul_f32_e32 v93, 0x3fb8aa3b, v90
	v_sub_f32_e32 v89, v81, v36
	v_cndmask_b32_e32 v84, 0, v84, vcc_lo
	v_cmp_ngt_f32_e32 vcc_lo, 0xc2ce8ed0, v83
	v_sub_f32_e32 v92, v68, v36
	v_rndne_f32_e32 v134, v93
	v_mul_f32_e32 v81, 0x3fb8aa3b, v89
	v_cndmask_b32_e32 v85, 0, v85, vcc_lo
	v_cmp_nlt_f32_e32 vcc_lo, 0x42b17218, v72
	v_exp_f32_e32 v88, v88
	s_delay_alu instid0(VALU_DEP_3)
	v_rndne_f32_e32 v132, v81
	v_cndmask_b32_e32 v73, 0x7f800000, v71, vcc_lo
	v_cmp_nlt_f32_e32 vcc_lo, 0x42b17218, v69
	v_cndmask_b32_e32 v72, 0x7f800000, v84, vcc_lo
	v_cmp_nlt_f32_e32 vcc_lo, 0x42b17218, v83
	s_waitcnt_depctr 0xfff
	v_ldexp_f32 v91, v88, v91
	v_cndmask_b32_e32 v71, 0x7f800000, v85, vcc_lo
	v_cmp_nlt_f32_e32 vcc_lo, 0x42b17218, v79
	s_delay_alu instid0(VALU_DEP_2) | instskip(SKIP_3) | instid1(VALU_DEP_3)
	v_cvt_f16_f32_e32 v84, v71
	v_dual_cndmask_b32 v79, 0x7f800000, v86 :: v_dual_sub_f32 v86, v80, v36
	v_sub_f32_e32 v69, v128, v36
	v_cvt_f16_f32_e32 v70, v73
	v_cvt_f16_f32_e32 v85, v79
	s_delay_alu instid0(VALU_DEP_4) | instskip(NEXT) | instid1(VALU_DEP_4)
	v_mul_f32_e32 v80, 0x3fb8aa3b, v86
	v_mul_f32_e32 v68, 0x3fb8aa3b, v69
	v_fma_f32 v131, 0x3fb8aa3b, v89, -v81
	v_cmp_ngt_f32_e32 vcc_lo, 0xc2ce8ed0, v69
	v_add_f32_e32 v73, v79, v73
	v_fma_f32 v129, 0x3fb8aa3b, v86, -v80
	v_fma_f32 v95, 0x3fb8aa3b, v69, -v68
	v_rndne_f32_e32 v128, v68
	v_rndne_f32_e32 v130, v80
	v_fmac_f32_e32 v131, 0x32a5705f, v89
	v_fmac_f32_e32 v129, 0x32a5705f, v86
	s_delay_alu instid0(VALU_DEP_4) | instskip(SKIP_2) | instid1(VALU_DEP_3)
	v_dual_fmac_f32 v95, 0x32a5705f, v69 :: v_dual_sub_f32 v68, v68, v128
	v_fma_f32 v133, 0x3fb8aa3b, v90, -v93
	v_dual_sub_f32 v80, v80, v130 :: v_dual_sub_f32 v81, v81, v132
	v_dual_sub_f32 v93, v93, v134 :: v_dual_add_f32 v68, v68, v95
	s_delay_alu instid0(VALU_DEP_2) | instskip(NEXT) | instid1(VALU_DEP_3)
	v_dual_fmac_f32 v133, 0x32a5705f, v90 :: v_dual_add_f32 v80, v80, v129
	v_dual_mul_f32 v94, 0x3fb8aa3b, v92 :: v_dual_add_f32 v81, v81, v131
	s_delay_alu instid0(VALU_DEP_3) | instskip(SKIP_1) | instid1(VALU_DEP_3)
	v_exp_f32_e32 v68, v68
	v_cvt_i32_f32_e32 v95, v128
	v_exp_f32_e32 v80, v80
	s_delay_alu instid0(VALU_DEP_2)
	v_rndne_f32_e32 v136, v94
	v_add_f32_e32 v93, v93, v133
	v_exp_f32_e32 v81, v81
	v_cvt_i32_f32_e32 v128, v130
	v_fma_f32 v135, 0x3fb8aa3b, v92, -v94
	v_sub_f32_e32 v94, v94, v136
	v_exp_f32_e32 v93, v93
	v_ldexp_f32 v68, v68, v95
	v_cvt_i32_f32_e32 v129, v132
	v_ldexp_f32 v80, v80, v128
	v_cvt_i32_f32_e32 v130, v134
	v_cvt_f16_f32_e32 v83, v72
	v_cndmask_b32_e32 v68, 0, v68, vcc_lo
	v_cmp_ngt_f32_e32 vcc_lo, 0xc2ce8ed0, v86
	v_ldexp_f32 v81, v81, v129
	s_delay_alu instid0(TRANS32_DEP_1) | instskip(SKIP_2) | instid1(VALU_DEP_4)
	v_ldexp_f32 v93, v93, v130
	v_cndmask_b32_e32 v95, 0, v80, vcc_lo
	v_cmp_ngt_f32_e32 vcc_lo, 0xc2ce8ed0, v89
	v_dual_fmac_f32 v135, 0x32a5705f, v92 :: v_dual_cndmask_b32 v128, 0, v81
	v_cmp_ngt_f32_e32 vcc_lo, 0xc2ce8ed0, v90
	s_delay_alu instid0(VALU_DEP_2) | instskip(SKIP_3) | instid1(VALU_DEP_4)
	v_dual_add_f32 v94, v94, v135 :: v_dual_cndmask_b32 v93, 0, v93
	v_cmp_nlt_f32_e32 vcc_lo, 0x42b17218, v69
	v_cndmask_b32_e32 v80, 0x7f800000, v68, vcc_lo
	v_cmp_nlt_f32_e32 vcc_lo, 0x42b17218, v86
	v_exp_f32_e32 v86, v94
	v_cndmask_b32_e32 v81, 0x7f800000, v95, vcc_lo
	v_cmp_nlt_f32_e32 vcc_lo, 0x42b17218, v89
	v_cvt_f16_f32_e32 v89, v80
	v_cvt_i32_f32_e32 v95, v136
	v_cndmask_b32_e32 v69, 0x7f800000, v128, vcc_lo
	v_cmp_nlt_f32_e32 vcc_lo, 0x42b17218, v90
	v_cvt_f16_f32_e32 v90, v81
	v_pack_b32_f16 v85, v85, v89
	v_cndmask_b32_e32 v68, 0x7f800000, v93, vcc_lo
	v_cvt_f16_f32_e32 v93, v69
	s_delay_alu instid0(VALU_DEP_4) | instskip(SKIP_1) | instid1(VALU_DEP_4)
	v_pack_b32_f16 v70, v70, v90
	v_cmp_ngt_f32_e32 vcc_lo, 0xc2ce8ed0, v92
	v_cvt_f16_f32_e32 v94, v68
	s_delay_alu instid0(VALU_DEP_4) | instskip(SKIP_1) | instid1(VALU_DEP_3)
	v_pack_b32_f16 v83, v83, v93
	v_ldexp_f32 v93, v86, v95
	v_pack_b32_f16 v84, v84, v94
	ds_store_2addr_b32 v87, v85, v70 offset1:32
	ds_store_2addr_b32 v87, v83, v84 offset0:64 offset1:96
	s_waitcnt vmcnt(7)
	ds_store_b128 v51, v[96:99]
	s_waitcnt vmcnt(6)
	ds_store_b128 v53, v[100:103]
	;; [unrolled: 2-line block ×8, first 2 shown]
	s_waitcnt lgkmcnt(0)
	s_barrier
	buffer_gl0_inv
	ds_load_2addr_b64 v[83:86], v60 offset1:32
	ds_load_b128 v[87:90], v52
	v_cndmask_b32_e32 v70, 0, v93, vcc_lo
	v_cmp_ngt_f32_e32 vcc_lo, 0xc2ce8ed0, v82
	v_add_nc_u32_e32 v107, 0x800, v60
	v_add_nc_u32_e32 v109, 0x7000, v60
	v_dual_cndmask_b32 v91, 0, v91 :: v_dual_add_nc_u32 v110, 0x7800, v60
	v_cmp_nlt_f32_e32 vcc_lo, 0x42b17218, v92
	v_cndmask_b32_e32 v70, 0x7f800000, v70, vcc_lo
	v_cmp_nlt_f32_e32 vcc_lo, 0x42b17218, v82
	s_delay_alu instid0(VALU_DEP_2)
	v_cvt_f16_f32_e32 v103, v70
	v_cndmask_b32_e32 v82, 0x7f800000, v91, vcc_lo
	ds_load_2addr_b64 v[91:94], v60 offset0:64 offset1:96
	s_waitcnt lgkmcnt(1)
	v_pk_mul_f16 v105, v83, v87 op_sel_hi:[1,0]
	v_pk_mul_f16 v83, v83, v87 op_sel:[0,1]
	v_pk_mul_f16 v64, v103, v64 op_sel_hi:[0,1]
	v_cvt_f16_f32_e32 v104, v82
	v_pk_mul_f16 v106, v84, v87 op_sel_hi:[1,0]
	ds_load_2addr_b64 v[95:98], v60 offset0:128 offset1:160
	ds_load_b128 v[99:102], v52 offset:16
	v_pk_fma_f16 v65, v65, v103, v83 op_sel_hi:[1,0,1]
	v_pk_fma_f16 v64, v84, v87, v64 op_sel:[0,1,0]
	v_pk_fma_f16 v66, v104, v66, v105 op_sel_hi:[0,1,1]
	v_pk_fma_f16 v67, v104, v67, v106 op_sel_hi:[0,1,1]
	s_delay_alu instid0(VALU_DEP_4) | instskip(NEXT) | instid1(VALU_DEP_4)
	v_pk_fma_f16 v84, v85, v88, v65 op_sel:[0,1,0]
	v_pk_fma_f16 v64, v86, v88, v64 op_sel:[0,1,0]
	s_delay_alu instid0(VALU_DEP_4) | instskip(NEXT) | instid1(VALU_DEP_4)
	v_pk_fma_f16 v83, v85, v88, v66 op_sel_hi:[1,0,1]
	v_pk_fma_f16 v85, v86, v88, v67 op_sel_hi:[1,0,1]
	s_waitcnt lgkmcnt(2)
	s_delay_alu instid0(VALU_DEP_3)
	v_pk_fma_f16 v86, v92, v89, v64 op_sel:[0,1,0]
	ds_load_2addr_b64 v[64:67], v60 offset0:192 offset1:224
	v_pk_fma_f16 v87, v91, v89, v83 op_sel_hi:[1,0,1]
	v_pk_fma_f16 v88, v91, v89, v84 op_sel:[0,1,0]
	v_pk_fma_f16 v89, v92, v89, v85 op_sel_hi:[1,0,1]
	v_pk_fma_f16 v91, v94, v90, v86 op_sel:[0,1,0]
	ds_load_2addr_b64 v[83:86], v107 offset1:32
	v_pk_fma_f16 v92, v93, v90, v87 op_sel_hi:[1,0,1]
	v_pk_fma_f16 v93, v93, v90, v88 op_sel:[0,1,0]
	v_pk_fma_f16 v94, v94, v90, v89 op_sel_hi:[1,0,1]
	s_waitcnt lgkmcnt(2)
	v_pk_fma_f16 v91, v96, v99, v91 op_sel:[0,1,0]
	ds_load_b128 v[87:90], v52 offset:32
	v_pk_fma_f16 v103, v95, v99, v92 op_sel_hi:[1,0,1]
	v_pk_fma_f16 v95, v95, v99, v93 op_sel:[0,1,0]
	v_pk_fma_f16 v96, v96, v99, v94 op_sel_hi:[1,0,1]
	v_pk_fma_f16 v99, v98, v100, v91 op_sel:[0,1,0]
	ds_load_2addr_b64 v[91:94], v107 offset0:64 offset1:96
	v_pk_fma_f16 v103, v97, v100, v103 op_sel_hi:[1,0,1]
	v_pk_fma_f16 v104, v97, v100, v95 op_sel:[0,1,0]
	v_pk_fma_f16 v100, v98, v100, v96 op_sel_hi:[1,0,1]
	ds_load_2addr_b64 v[95:98], v107 offset0:128 offset1:160
	s_waitcnt lgkmcnt(4)
	v_pk_fma_f16 v99, v65, v101, v99 op_sel:[0,1,0]
	v_pk_fma_f16 v108, v64, v101, v103 op_sel_hi:[1,0,1]
	v_pk_fma_f16 v64, v64, v101, v104 op_sel:[0,1,0]
	ds_load_b128 v[103:106], v52 offset:48
	v_pk_fma_f16 v65, v65, v101, v100 op_sel_hi:[1,0,1]
	v_pk_fma_f16 v99, v67, v102, v99 op_sel:[0,1,0]
	v_pk_fma_f16 v100, v66, v102, v108 op_sel_hi:[1,0,1]
	v_pk_fma_f16 v64, v66, v102, v64 op_sel:[0,1,0]
	v_add_nc_u32_e32 v108, 0x1000, v60
	v_pk_fma_f16 v65, v67, v102, v65 op_sel_hi:[1,0,1]
	s_waitcnt lgkmcnt(3)
	v_pk_fma_f16 v66, v84, v87, v99 op_sel:[0,1,0]
	v_pk_fma_f16 v67, v83, v87, v100 op_sel_hi:[1,0,1]
	v_pk_fma_f16 v64, v83, v87, v64 op_sel:[0,1,0]
	v_pk_fma_f16 v65, v84, v87, v65 op_sel_hi:[1,0,1]
	s_delay_alu instid0(VALU_DEP_4) | instskip(NEXT) | instid1(VALU_DEP_4)
	v_pk_fma_f16 v66, v86, v88, v66 op_sel:[0,1,0]
	v_pk_fma_f16 v83, v85, v88, v67 op_sel_hi:[1,0,1]
	s_delay_alu instid0(VALU_DEP_4) | instskip(NEXT) | instid1(VALU_DEP_4)
	v_pk_fma_f16 v84, v85, v88, v64 op_sel:[0,1,0]
	v_pk_fma_f16 v85, v86, v88, v65 op_sel_hi:[1,0,1]
	s_waitcnt lgkmcnt(2)
	v_pk_fma_f16 v86, v92, v89, v66 op_sel:[0,1,0]
	ds_load_2addr_b64 v[64:67], v107 offset0:192 offset1:224
	v_pk_fma_f16 v87, v91, v89, v83 op_sel_hi:[1,0,1]
	v_pk_fma_f16 v88, v91, v89, v84 op_sel:[0,1,0]
	v_pk_fma_f16 v89, v92, v89, v85 op_sel_hi:[1,0,1]
	v_pk_fma_f16 v91, v94, v90, v86 op_sel:[0,1,0]
	ds_load_2addr_b64 v[83:86], v108 offset1:32
	v_pk_fma_f16 v92, v93, v90, v87 op_sel_hi:[1,0,1]
	v_pk_fma_f16 v93, v93, v90, v88 op_sel:[0,1,0]
	v_pk_fma_f16 v94, v94, v90, v89 op_sel_hi:[1,0,1]
	s_waitcnt lgkmcnt(2)
	v_pk_fma_f16 v91, v96, v103, v91 op_sel:[0,1,0]
	ds_load_b128 v[87:90], v52 offset:64
	v_pk_fma_f16 v99, v95, v103, v92 op_sel_hi:[1,0,1]
	v_pk_fma_f16 v95, v95, v103, v93 op_sel:[0,1,0]
	v_pk_fma_f16 v96, v96, v103, v94 op_sel_hi:[1,0,1]
	v_pk_fma_f16 v100, v98, v104, v91 op_sel:[0,1,0]
	ds_load_2addr_b64 v[91:94], v108 offset0:64 offset1:96
	v_pk_fma_f16 v99, v97, v104, v99 op_sel_hi:[1,0,1]
	v_pk_fma_f16 v101, v97, v104, v95 op_sel:[0,1,0]
	v_pk_fma_f16 v102, v98, v104, v96 op_sel_hi:[1,0,1]
	ds_load_2addr_b64 v[95:98], v108 offset0:128 offset1:160
	s_waitcnt lgkmcnt(4)
	v_pk_fma_f16 v100, v65, v105, v100 op_sel:[0,1,0]
	v_pk_fma_f16 v103, v64, v105, v99 op_sel_hi:[1,0,1]
	v_pk_fma_f16 v64, v64, v105, v101 op_sel:[0,1,0]
	v_pk_fma_f16 v65, v65, v105, v102 op_sel_hi:[1,0,1]
	v_add_nc_u32_e32 v107, 0x1800, v60
	v_pk_fma_f16 v104, v67, v106, v100 op_sel:[0,1,0]
	ds_load_b128 v[99:102], v52 offset:80
	v_pk_fma_f16 v103, v66, v106, v103 op_sel_hi:[1,0,1]
	v_pk_fma_f16 v64, v66, v106, v64 op_sel:[0,1,0]
	v_pk_fma_f16 v65, v67, v106, v65 op_sel_hi:[1,0,1]
	s_waitcnt lgkmcnt(3)
	v_pk_fma_f16 v66, v84, v87, v104 op_sel:[0,1,0]
	v_pk_fma_f16 v67, v83, v87, v103 op_sel_hi:[1,0,1]
	v_pk_fma_f16 v64, v83, v87, v64 op_sel:[0,1,0]
	v_pk_fma_f16 v65, v84, v87, v65 op_sel_hi:[1,0,1]
	s_delay_alu instid0(VALU_DEP_4) | instskip(NEXT) | instid1(VALU_DEP_4)
	v_pk_fma_f16 v66, v86, v88, v66 op_sel:[0,1,0]
	v_pk_fma_f16 v83, v85, v88, v67 op_sel_hi:[1,0,1]
	s_delay_alu instid0(VALU_DEP_4) | instskip(NEXT) | instid1(VALU_DEP_4)
	v_pk_fma_f16 v84, v85, v88, v64 op_sel:[0,1,0]
	v_pk_fma_f16 v85, v86, v88, v65 op_sel_hi:[1,0,1]
	s_waitcnt lgkmcnt(2)
	v_pk_fma_f16 v86, v92, v89, v66 op_sel:[0,1,0]
	ds_load_2addr_b64 v[64:67], v108 offset0:192 offset1:224
	v_pk_fma_f16 v87, v91, v89, v83 op_sel_hi:[1,0,1]
	v_pk_fma_f16 v88, v91, v89, v84 op_sel:[0,1,0]
	v_pk_fma_f16 v89, v92, v89, v85 op_sel_hi:[1,0,1]
	v_pk_fma_f16 v91, v94, v90, v86 op_sel:[0,1,0]
	ds_load_2addr_b64 v[83:86], v107 offset1:32
	v_pk_fma_f16 v92, v93, v90, v87 op_sel_hi:[1,0,1]
	v_pk_fma_f16 v93, v93, v90, v88 op_sel:[0,1,0]
	v_pk_fma_f16 v94, v94, v90, v89 op_sel_hi:[1,0,1]
	s_waitcnt lgkmcnt(2)
	v_pk_fma_f16 v91, v96, v99, v91 op_sel:[0,1,0]
	ds_load_b128 v[87:90], v52 offset:96
	v_pk_fma_f16 v103, v95, v99, v92 op_sel_hi:[1,0,1]
	v_pk_fma_f16 v95, v95, v99, v93 op_sel:[0,1,0]
	v_pk_fma_f16 v96, v96, v99, v94 op_sel_hi:[1,0,1]
	v_pk_fma_f16 v99, v98, v100, v91 op_sel:[0,1,0]
	ds_load_2addr_b64 v[91:94], v107 offset0:64 offset1:96
	v_pk_fma_f16 v103, v97, v100, v103 op_sel_hi:[1,0,1]
	v_pk_fma_f16 v104, v97, v100, v95 op_sel:[0,1,0]
	v_pk_fma_f16 v100, v98, v100, v96 op_sel_hi:[1,0,1]
	ds_load_2addr_b64 v[95:98], v107 offset0:128 offset1:160
	s_waitcnt lgkmcnt(4)
	v_pk_fma_f16 v99, v65, v101, v99 op_sel:[0,1,0]
	v_pk_fma_f16 v108, v64, v101, v103 op_sel_hi:[1,0,1]
	v_pk_fma_f16 v64, v64, v101, v104 op_sel:[0,1,0]
	ds_load_b128 v[103:106], v52 offset:112
	v_pk_fma_f16 v65, v65, v101, v100 op_sel_hi:[1,0,1]
	v_pk_fma_f16 v99, v67, v102, v99 op_sel:[0,1,0]
	v_pk_fma_f16 v100, v66, v102, v108 op_sel_hi:[1,0,1]
	v_pk_fma_f16 v64, v66, v102, v64 op_sel:[0,1,0]
	v_add_nc_u32_e32 v108, 0x2000, v60
	v_pk_fma_f16 v65, v67, v102, v65 op_sel_hi:[1,0,1]
	s_waitcnt lgkmcnt(3)
	v_pk_fma_f16 v66, v84, v87, v99 op_sel:[0,1,0]
	v_pk_fma_f16 v67, v83, v87, v100 op_sel_hi:[1,0,1]
	v_pk_fma_f16 v64, v83, v87, v64 op_sel:[0,1,0]
	v_pk_fma_f16 v65, v84, v87, v65 op_sel_hi:[1,0,1]
	s_delay_alu instid0(VALU_DEP_4) | instskip(NEXT) | instid1(VALU_DEP_4)
	v_pk_fma_f16 v66, v86, v88, v66 op_sel:[0,1,0]
	v_pk_fma_f16 v83, v85, v88, v67 op_sel_hi:[1,0,1]
	s_delay_alu instid0(VALU_DEP_4) | instskip(NEXT) | instid1(VALU_DEP_4)
	v_pk_fma_f16 v84, v85, v88, v64 op_sel:[0,1,0]
	v_pk_fma_f16 v85, v86, v88, v65 op_sel_hi:[1,0,1]
	s_waitcnt lgkmcnt(2)
	v_pk_fma_f16 v86, v92, v89, v66 op_sel:[0,1,0]
	ds_load_2addr_b64 v[64:67], v107 offset0:192 offset1:224
	v_pk_fma_f16 v87, v91, v89, v83 op_sel_hi:[1,0,1]
	v_pk_fma_f16 v88, v91, v89, v84 op_sel:[0,1,0]
	v_pk_fma_f16 v89, v92, v89, v85 op_sel_hi:[1,0,1]
	v_pk_fma_f16 v91, v94, v90, v86 op_sel:[0,1,0]
	ds_load_2addr_b64 v[83:86], v108 offset1:32
	v_pk_fma_f16 v92, v93, v90, v87 op_sel_hi:[1,0,1]
	v_pk_fma_f16 v93, v93, v90, v88 op_sel:[0,1,0]
	v_pk_fma_f16 v94, v94, v90, v89 op_sel_hi:[1,0,1]
	s_waitcnt lgkmcnt(2)
	v_pk_fma_f16 v91, v96, v103, v91 op_sel:[0,1,0]
	ds_load_b128 v[87:90], v52 offset:128
	v_pk_fma_f16 v99, v95, v103, v92 op_sel_hi:[1,0,1]
	v_pk_fma_f16 v95, v95, v103, v93 op_sel:[0,1,0]
	v_pk_fma_f16 v96, v96, v103, v94 op_sel_hi:[1,0,1]
	v_pk_fma_f16 v100, v98, v104, v91 op_sel:[0,1,0]
	ds_load_2addr_b64 v[91:94], v108 offset0:64 offset1:96
	v_pk_fma_f16 v99, v97, v104, v99 op_sel_hi:[1,0,1]
	v_pk_fma_f16 v101, v97, v104, v95 op_sel:[0,1,0]
	v_pk_fma_f16 v102, v98, v104, v96 op_sel_hi:[1,0,1]
	ds_load_2addr_b64 v[95:98], v108 offset0:128 offset1:160
	s_waitcnt lgkmcnt(4)
	v_pk_fma_f16 v100, v65, v105, v100 op_sel:[0,1,0]
	v_pk_fma_f16 v103, v64, v105, v99 op_sel_hi:[1,0,1]
	v_pk_fma_f16 v64, v64, v105, v101 op_sel:[0,1,0]
	v_pk_fma_f16 v65, v65, v105, v102 op_sel_hi:[1,0,1]
	v_add_nc_u32_e32 v107, 0x2800, v60
	v_pk_fma_f16 v104, v67, v106, v100 op_sel:[0,1,0]
	ds_load_b128 v[99:102], v52 offset:144
	v_pk_fma_f16 v103, v66, v106, v103 op_sel_hi:[1,0,1]
	v_pk_fma_f16 v64, v66, v106, v64 op_sel:[0,1,0]
	v_pk_fma_f16 v65, v67, v106, v65 op_sel_hi:[1,0,1]
	s_waitcnt lgkmcnt(3)
	v_pk_fma_f16 v66, v84, v87, v104 op_sel:[0,1,0]
	v_pk_fma_f16 v67, v83, v87, v103 op_sel_hi:[1,0,1]
	v_pk_fma_f16 v64, v83, v87, v64 op_sel:[0,1,0]
	v_pk_fma_f16 v65, v84, v87, v65 op_sel_hi:[1,0,1]
	s_delay_alu instid0(VALU_DEP_4) | instskip(NEXT) | instid1(VALU_DEP_4)
	v_pk_fma_f16 v66, v86, v88, v66 op_sel:[0,1,0]
	v_pk_fma_f16 v83, v85, v88, v67 op_sel_hi:[1,0,1]
	s_delay_alu instid0(VALU_DEP_4) | instskip(NEXT) | instid1(VALU_DEP_4)
	v_pk_fma_f16 v84, v85, v88, v64 op_sel:[0,1,0]
	v_pk_fma_f16 v85, v86, v88, v65 op_sel_hi:[1,0,1]
	s_waitcnt lgkmcnt(2)
	v_pk_fma_f16 v86, v92, v89, v66 op_sel:[0,1,0]
	ds_load_2addr_b64 v[64:67], v108 offset0:192 offset1:224
	v_pk_fma_f16 v87, v91, v89, v83 op_sel_hi:[1,0,1]
	v_pk_fma_f16 v88, v91, v89, v84 op_sel:[0,1,0]
	v_pk_fma_f16 v89, v92, v89, v85 op_sel_hi:[1,0,1]
	v_pk_fma_f16 v91, v94, v90, v86 op_sel:[0,1,0]
	ds_load_2addr_b64 v[83:86], v107 offset1:32
	v_pk_fma_f16 v92, v93, v90, v87 op_sel_hi:[1,0,1]
	v_pk_fma_f16 v93, v93, v90, v88 op_sel:[0,1,0]
	v_pk_fma_f16 v94, v94, v90, v89 op_sel_hi:[1,0,1]
	s_waitcnt lgkmcnt(2)
	v_pk_fma_f16 v91, v96, v99, v91 op_sel:[0,1,0]
	ds_load_b128 v[87:90], v52 offset:160
	v_pk_fma_f16 v103, v95, v99, v92 op_sel_hi:[1,0,1]
	v_pk_fma_f16 v95, v95, v99, v93 op_sel:[0,1,0]
	v_pk_fma_f16 v96, v96, v99, v94 op_sel_hi:[1,0,1]
	v_pk_fma_f16 v99, v98, v100, v91 op_sel:[0,1,0]
	ds_load_2addr_b64 v[91:94], v107 offset0:64 offset1:96
	v_pk_fma_f16 v103, v97, v100, v103 op_sel_hi:[1,0,1]
	v_pk_fma_f16 v104, v97, v100, v95 op_sel:[0,1,0]
	v_pk_fma_f16 v100, v98, v100, v96 op_sel_hi:[1,0,1]
	ds_load_2addr_b64 v[95:98], v107 offset0:128 offset1:160
	s_waitcnt lgkmcnt(4)
	v_pk_fma_f16 v99, v65, v101, v99 op_sel:[0,1,0]
	v_pk_fma_f16 v108, v64, v101, v103 op_sel_hi:[1,0,1]
	v_pk_fma_f16 v64, v64, v101, v104 op_sel:[0,1,0]
	ds_load_b128 v[103:106], v52 offset:176
	v_pk_fma_f16 v65, v65, v101, v100 op_sel_hi:[1,0,1]
	v_pk_fma_f16 v99, v67, v102, v99 op_sel:[0,1,0]
	v_pk_fma_f16 v100, v66, v102, v108 op_sel_hi:[1,0,1]
	v_pk_fma_f16 v64, v66, v102, v64 op_sel:[0,1,0]
	v_add_nc_u32_e32 v108, 0x3000, v60
	v_pk_fma_f16 v65, v67, v102, v65 op_sel_hi:[1,0,1]
	s_waitcnt lgkmcnt(3)
	v_pk_fma_f16 v66, v84, v87, v99 op_sel:[0,1,0]
	v_pk_fma_f16 v67, v83, v87, v100 op_sel_hi:[1,0,1]
	v_pk_fma_f16 v64, v83, v87, v64 op_sel:[0,1,0]
	v_pk_fma_f16 v65, v84, v87, v65 op_sel_hi:[1,0,1]
	s_delay_alu instid0(VALU_DEP_4) | instskip(NEXT) | instid1(VALU_DEP_4)
	v_pk_fma_f16 v66, v86, v88, v66 op_sel:[0,1,0]
	v_pk_fma_f16 v83, v85, v88, v67 op_sel_hi:[1,0,1]
	s_delay_alu instid0(VALU_DEP_4) | instskip(NEXT) | instid1(VALU_DEP_4)
	v_pk_fma_f16 v84, v85, v88, v64 op_sel:[0,1,0]
	v_pk_fma_f16 v85, v86, v88, v65 op_sel_hi:[1,0,1]
	s_waitcnt lgkmcnt(2)
	v_pk_fma_f16 v86, v92, v89, v66 op_sel:[0,1,0]
	ds_load_2addr_b64 v[64:67], v107 offset0:192 offset1:224
	v_pk_fma_f16 v87, v91, v89, v83 op_sel_hi:[1,0,1]
	v_pk_fma_f16 v88, v91, v89, v84 op_sel:[0,1,0]
	v_pk_fma_f16 v89, v92, v89, v85 op_sel_hi:[1,0,1]
	v_pk_fma_f16 v91, v94, v90, v86 op_sel:[0,1,0]
	ds_load_2addr_b64 v[83:86], v108 offset1:32
	v_pk_fma_f16 v92, v93, v90, v87 op_sel_hi:[1,0,1]
	v_pk_fma_f16 v93, v93, v90, v88 op_sel:[0,1,0]
	v_pk_fma_f16 v94, v94, v90, v89 op_sel_hi:[1,0,1]
	s_waitcnt lgkmcnt(2)
	v_pk_fma_f16 v91, v96, v103, v91 op_sel:[0,1,0]
	ds_load_b128 v[87:90], v52 offset:192
	v_pk_fma_f16 v99, v95, v103, v92 op_sel_hi:[1,0,1]
	v_pk_fma_f16 v95, v95, v103, v93 op_sel:[0,1,0]
	v_pk_fma_f16 v96, v96, v103, v94 op_sel_hi:[1,0,1]
	v_pk_fma_f16 v100, v98, v104, v91 op_sel:[0,1,0]
	ds_load_2addr_b64 v[91:94], v108 offset0:64 offset1:96
	v_pk_fma_f16 v99, v97, v104, v99 op_sel_hi:[1,0,1]
	v_pk_fma_f16 v101, v97, v104, v95 op_sel:[0,1,0]
	v_pk_fma_f16 v102, v98, v104, v96 op_sel_hi:[1,0,1]
	ds_load_2addr_b64 v[95:98], v108 offset0:128 offset1:160
	s_waitcnt lgkmcnt(4)
	v_pk_fma_f16 v100, v65, v105, v100 op_sel:[0,1,0]
	v_pk_fma_f16 v103, v64, v105, v99 op_sel_hi:[1,0,1]
	v_pk_fma_f16 v64, v64, v105, v101 op_sel:[0,1,0]
	v_pk_fma_f16 v65, v65, v105, v102 op_sel_hi:[1,0,1]
	v_add_nc_u32_e32 v107, 0x3800, v60
	v_pk_fma_f16 v104, v67, v106, v100 op_sel:[0,1,0]
	ds_load_b128 v[99:102], v52 offset:208
	v_pk_fma_f16 v103, v66, v106, v103 op_sel_hi:[1,0,1]
	v_pk_fma_f16 v64, v66, v106, v64 op_sel:[0,1,0]
	v_pk_fma_f16 v65, v67, v106, v65 op_sel_hi:[1,0,1]
	s_waitcnt lgkmcnt(3)
	v_pk_fma_f16 v66, v84, v87, v104 op_sel:[0,1,0]
	v_pk_fma_f16 v67, v83, v87, v103 op_sel_hi:[1,0,1]
	v_pk_fma_f16 v64, v83, v87, v64 op_sel:[0,1,0]
	v_pk_fma_f16 v65, v84, v87, v65 op_sel_hi:[1,0,1]
	s_delay_alu instid0(VALU_DEP_4) | instskip(NEXT) | instid1(VALU_DEP_4)
	v_pk_fma_f16 v66, v86, v88, v66 op_sel:[0,1,0]
	v_pk_fma_f16 v83, v85, v88, v67 op_sel_hi:[1,0,1]
	s_delay_alu instid0(VALU_DEP_4) | instskip(NEXT) | instid1(VALU_DEP_4)
	v_pk_fma_f16 v84, v85, v88, v64 op_sel:[0,1,0]
	v_pk_fma_f16 v85, v86, v88, v65 op_sel_hi:[1,0,1]
	s_waitcnt lgkmcnt(2)
	v_pk_fma_f16 v86, v92, v89, v66 op_sel:[0,1,0]
	ds_load_2addr_b64 v[64:67], v108 offset0:192 offset1:224
	v_pk_fma_f16 v87, v91, v89, v83 op_sel_hi:[1,0,1]
	v_pk_fma_f16 v88, v91, v89, v84 op_sel:[0,1,0]
	v_pk_fma_f16 v89, v92, v89, v85 op_sel_hi:[1,0,1]
	v_pk_fma_f16 v91, v94, v90, v86 op_sel:[0,1,0]
	ds_load_2addr_b64 v[83:86], v107 offset1:32
	v_pk_fma_f16 v92, v93, v90, v87 op_sel_hi:[1,0,1]
	v_pk_fma_f16 v93, v93, v90, v88 op_sel:[0,1,0]
	v_pk_fma_f16 v94, v94, v90, v89 op_sel_hi:[1,0,1]
	s_waitcnt lgkmcnt(2)
	v_pk_fma_f16 v91, v96, v99, v91 op_sel:[0,1,0]
	ds_load_b128 v[87:90], v52 offset:224
	v_pk_fma_f16 v103, v95, v99, v92 op_sel_hi:[1,0,1]
	v_pk_fma_f16 v95, v95, v99, v93 op_sel:[0,1,0]
	v_pk_fma_f16 v96, v96, v99, v94 op_sel_hi:[1,0,1]
	v_pk_fma_f16 v99, v98, v100, v91 op_sel:[0,1,0]
	ds_load_2addr_b64 v[91:94], v107 offset0:64 offset1:96
	v_pk_fma_f16 v103, v97, v100, v103 op_sel_hi:[1,0,1]
	v_pk_fma_f16 v104, v97, v100, v95 op_sel:[0,1,0]
	v_pk_fma_f16 v100, v98, v100, v96 op_sel_hi:[1,0,1]
	ds_load_2addr_b64 v[95:98], v107 offset0:128 offset1:160
	s_waitcnt lgkmcnt(4)
	v_pk_fma_f16 v99, v65, v101, v99 op_sel:[0,1,0]
	v_pk_fma_f16 v108, v64, v101, v103 op_sel_hi:[1,0,1]
	v_pk_fma_f16 v64, v64, v101, v104 op_sel:[0,1,0]
	ds_load_b128 v[103:106], v52 offset:240
	v_pk_fma_f16 v65, v65, v101, v100 op_sel_hi:[1,0,1]
	v_pk_fma_f16 v99, v67, v102, v99 op_sel:[0,1,0]
	v_pk_fma_f16 v100, v66, v102, v108 op_sel_hi:[1,0,1]
	v_pk_fma_f16 v64, v66, v102, v64 op_sel:[0,1,0]
	v_add_nc_u32_e32 v108, 0x4000, v60
	v_pk_fma_f16 v65, v67, v102, v65 op_sel_hi:[1,0,1]
	s_waitcnt lgkmcnt(3)
	v_pk_fma_f16 v66, v84, v87, v99 op_sel:[0,1,0]
	v_pk_fma_f16 v67, v83, v87, v100 op_sel_hi:[1,0,1]
	v_pk_fma_f16 v64, v83, v87, v64 op_sel:[0,1,0]
	v_pk_fma_f16 v65, v84, v87, v65 op_sel_hi:[1,0,1]
	s_delay_alu instid0(VALU_DEP_4) | instskip(NEXT) | instid1(VALU_DEP_4)
	v_pk_fma_f16 v66, v86, v88, v66 op_sel:[0,1,0]
	v_pk_fma_f16 v83, v85, v88, v67 op_sel_hi:[1,0,1]
	s_delay_alu instid0(VALU_DEP_4) | instskip(NEXT) | instid1(VALU_DEP_4)
	v_pk_fma_f16 v84, v85, v88, v64 op_sel:[0,1,0]
	v_pk_fma_f16 v85, v86, v88, v65 op_sel_hi:[1,0,1]
	s_waitcnt lgkmcnt(2)
	v_pk_fma_f16 v86, v92, v89, v66 op_sel:[0,1,0]
	ds_load_2addr_b64 v[64:67], v107 offset0:192 offset1:224
	v_pk_fma_f16 v87, v91, v89, v83 op_sel_hi:[1,0,1]
	v_pk_fma_f16 v88, v91, v89, v84 op_sel:[0,1,0]
	v_pk_fma_f16 v89, v92, v89, v85 op_sel_hi:[1,0,1]
	v_pk_fma_f16 v91, v94, v90, v86 op_sel:[0,1,0]
	ds_load_2addr_b64 v[83:86], v108 offset1:32
	v_pk_fma_f16 v92, v93, v90, v87 op_sel_hi:[1,0,1]
	v_pk_fma_f16 v93, v93, v90, v88 op_sel:[0,1,0]
	v_pk_fma_f16 v94, v94, v90, v89 op_sel_hi:[1,0,1]
	s_waitcnt lgkmcnt(2)
	v_pk_fma_f16 v91, v96, v103, v91 op_sel:[0,1,0]
	ds_load_b128 v[87:90], v52 offset:256
	v_pk_fma_f16 v99, v95, v103, v92 op_sel_hi:[1,0,1]
	v_pk_fma_f16 v95, v95, v103, v93 op_sel:[0,1,0]
	v_pk_fma_f16 v96, v96, v103, v94 op_sel_hi:[1,0,1]
	v_pk_fma_f16 v100, v98, v104, v91 op_sel:[0,1,0]
	ds_load_2addr_b64 v[91:94], v108 offset0:64 offset1:96
	v_pk_fma_f16 v99, v97, v104, v99 op_sel_hi:[1,0,1]
	v_pk_fma_f16 v101, v97, v104, v95 op_sel:[0,1,0]
	v_pk_fma_f16 v102, v98, v104, v96 op_sel_hi:[1,0,1]
	ds_load_2addr_b64 v[95:98], v108 offset0:128 offset1:160
	s_waitcnt lgkmcnt(4)
	v_pk_fma_f16 v100, v65, v105, v100 op_sel:[0,1,0]
	v_pk_fma_f16 v103, v64, v105, v99 op_sel_hi:[1,0,1]
	v_pk_fma_f16 v64, v64, v105, v101 op_sel:[0,1,0]
	v_pk_fma_f16 v65, v65, v105, v102 op_sel_hi:[1,0,1]
	v_add_nc_u32_e32 v107, 0x4800, v60
	v_pk_fma_f16 v104, v67, v106, v100 op_sel:[0,1,0]
	ds_load_b128 v[99:102], v52 offset:272
	v_pk_fma_f16 v103, v66, v106, v103 op_sel_hi:[1,0,1]
	v_pk_fma_f16 v64, v66, v106, v64 op_sel:[0,1,0]
	v_pk_fma_f16 v65, v67, v106, v65 op_sel_hi:[1,0,1]
	s_waitcnt lgkmcnt(3)
	v_pk_fma_f16 v66, v84, v87, v104 op_sel:[0,1,0]
	v_pk_fma_f16 v67, v83, v87, v103 op_sel_hi:[1,0,1]
	v_pk_fma_f16 v64, v83, v87, v64 op_sel:[0,1,0]
	v_pk_fma_f16 v65, v84, v87, v65 op_sel_hi:[1,0,1]
	s_delay_alu instid0(VALU_DEP_4) | instskip(NEXT) | instid1(VALU_DEP_4)
	v_pk_fma_f16 v66, v86, v88, v66 op_sel:[0,1,0]
	v_pk_fma_f16 v83, v85, v88, v67 op_sel_hi:[1,0,1]
	s_delay_alu instid0(VALU_DEP_4) | instskip(NEXT) | instid1(VALU_DEP_4)
	v_pk_fma_f16 v84, v85, v88, v64 op_sel:[0,1,0]
	v_pk_fma_f16 v85, v86, v88, v65 op_sel_hi:[1,0,1]
	s_waitcnt lgkmcnt(2)
	v_pk_fma_f16 v86, v92, v89, v66 op_sel:[0,1,0]
	ds_load_2addr_b64 v[64:67], v108 offset0:192 offset1:224
	v_pk_fma_f16 v87, v91, v89, v83 op_sel_hi:[1,0,1]
	v_pk_fma_f16 v88, v91, v89, v84 op_sel:[0,1,0]
	v_pk_fma_f16 v89, v92, v89, v85 op_sel_hi:[1,0,1]
	v_pk_fma_f16 v91, v94, v90, v86 op_sel:[0,1,0]
	ds_load_2addr_b64 v[83:86], v107 offset1:32
	v_pk_fma_f16 v92, v93, v90, v87 op_sel_hi:[1,0,1]
	v_pk_fma_f16 v93, v93, v90, v88 op_sel:[0,1,0]
	v_pk_fma_f16 v94, v94, v90, v89 op_sel_hi:[1,0,1]
	s_waitcnt lgkmcnt(2)
	v_pk_fma_f16 v91, v96, v99, v91 op_sel:[0,1,0]
	ds_load_b128 v[87:90], v52 offset:288
	v_pk_fma_f16 v103, v95, v99, v92 op_sel_hi:[1,0,1]
	v_pk_fma_f16 v95, v95, v99, v93 op_sel:[0,1,0]
	v_pk_fma_f16 v96, v96, v99, v94 op_sel_hi:[1,0,1]
	v_pk_fma_f16 v99, v98, v100, v91 op_sel:[0,1,0]
	ds_load_2addr_b64 v[91:94], v107 offset0:64 offset1:96
	v_pk_fma_f16 v103, v97, v100, v103 op_sel_hi:[1,0,1]
	v_pk_fma_f16 v104, v97, v100, v95 op_sel:[0,1,0]
	v_pk_fma_f16 v100, v98, v100, v96 op_sel_hi:[1,0,1]
	ds_load_2addr_b64 v[95:98], v107 offset0:128 offset1:160
	s_waitcnt lgkmcnt(4)
	v_pk_fma_f16 v99, v65, v101, v99 op_sel:[0,1,0]
	v_pk_fma_f16 v108, v64, v101, v103 op_sel_hi:[1,0,1]
	v_pk_fma_f16 v64, v64, v101, v104 op_sel:[0,1,0]
	ds_load_b128 v[103:106], v52 offset:304
	v_pk_fma_f16 v65, v65, v101, v100 op_sel_hi:[1,0,1]
	v_pk_fma_f16 v99, v67, v102, v99 op_sel:[0,1,0]
	v_pk_fma_f16 v100, v66, v102, v108 op_sel_hi:[1,0,1]
	v_pk_fma_f16 v64, v66, v102, v64 op_sel:[0,1,0]
	v_add_nc_u32_e32 v108, 0x5000, v60
	v_pk_fma_f16 v65, v67, v102, v65 op_sel_hi:[1,0,1]
	s_waitcnt lgkmcnt(3)
	v_pk_fma_f16 v66, v84, v87, v99 op_sel:[0,1,0]
	v_pk_fma_f16 v67, v83, v87, v100 op_sel_hi:[1,0,1]
	v_pk_fma_f16 v64, v83, v87, v64 op_sel:[0,1,0]
	v_pk_fma_f16 v65, v84, v87, v65 op_sel_hi:[1,0,1]
	s_delay_alu instid0(VALU_DEP_4) | instskip(NEXT) | instid1(VALU_DEP_4)
	v_pk_fma_f16 v66, v86, v88, v66 op_sel:[0,1,0]
	v_pk_fma_f16 v83, v85, v88, v67 op_sel_hi:[1,0,1]
	s_delay_alu instid0(VALU_DEP_4) | instskip(NEXT) | instid1(VALU_DEP_4)
	v_pk_fma_f16 v84, v85, v88, v64 op_sel:[0,1,0]
	v_pk_fma_f16 v85, v86, v88, v65 op_sel_hi:[1,0,1]
	s_waitcnt lgkmcnt(2)
	v_pk_fma_f16 v86, v92, v89, v66 op_sel:[0,1,0]
	ds_load_2addr_b64 v[64:67], v107 offset0:192 offset1:224
	v_pk_fma_f16 v87, v91, v89, v83 op_sel_hi:[1,0,1]
	v_pk_fma_f16 v88, v91, v89, v84 op_sel:[0,1,0]
	v_pk_fma_f16 v89, v92, v89, v85 op_sel_hi:[1,0,1]
	v_pk_fma_f16 v91, v94, v90, v86 op_sel:[0,1,0]
	ds_load_2addr_b64 v[83:86], v108 offset1:32
	v_pk_fma_f16 v92, v93, v90, v87 op_sel_hi:[1,0,1]
	v_pk_fma_f16 v93, v93, v90, v88 op_sel:[0,1,0]
	v_pk_fma_f16 v94, v94, v90, v89 op_sel_hi:[1,0,1]
	s_waitcnt lgkmcnt(2)
	v_pk_fma_f16 v91, v96, v103, v91 op_sel:[0,1,0]
	ds_load_b128 v[87:90], v52 offset:320
	v_pk_fma_f16 v99, v95, v103, v92 op_sel_hi:[1,0,1]
	v_pk_fma_f16 v95, v95, v103, v93 op_sel:[0,1,0]
	v_pk_fma_f16 v96, v96, v103, v94 op_sel_hi:[1,0,1]
	v_pk_fma_f16 v100, v98, v104, v91 op_sel:[0,1,0]
	ds_load_2addr_b64 v[91:94], v108 offset0:64 offset1:96
	v_pk_fma_f16 v99, v97, v104, v99 op_sel_hi:[1,0,1]
	v_pk_fma_f16 v101, v97, v104, v95 op_sel:[0,1,0]
	v_pk_fma_f16 v102, v98, v104, v96 op_sel_hi:[1,0,1]
	ds_load_2addr_b64 v[95:98], v108 offset0:128 offset1:160
	s_waitcnt lgkmcnt(4)
	v_pk_fma_f16 v100, v65, v105, v100 op_sel:[0,1,0]
	v_pk_fma_f16 v103, v64, v105, v99 op_sel_hi:[1,0,1]
	v_pk_fma_f16 v64, v64, v105, v101 op_sel:[0,1,0]
	v_pk_fma_f16 v65, v65, v105, v102 op_sel_hi:[1,0,1]
	v_add_nc_u32_e32 v107, 0x5800, v60
	v_pk_fma_f16 v104, v67, v106, v100 op_sel:[0,1,0]
	ds_load_b128 v[99:102], v52 offset:336
	v_pk_fma_f16 v103, v66, v106, v103 op_sel_hi:[1,0,1]
	v_pk_fma_f16 v64, v66, v106, v64 op_sel:[0,1,0]
	v_pk_fma_f16 v65, v67, v106, v65 op_sel_hi:[1,0,1]
	s_waitcnt lgkmcnt(3)
	v_pk_fma_f16 v66, v84, v87, v104 op_sel:[0,1,0]
	v_pk_fma_f16 v67, v83, v87, v103 op_sel_hi:[1,0,1]
	v_pk_fma_f16 v64, v83, v87, v64 op_sel:[0,1,0]
	v_pk_fma_f16 v65, v84, v87, v65 op_sel_hi:[1,0,1]
	s_delay_alu instid0(VALU_DEP_4) | instskip(NEXT) | instid1(VALU_DEP_4)
	v_pk_fma_f16 v66, v86, v88, v66 op_sel:[0,1,0]
	v_pk_fma_f16 v83, v85, v88, v67 op_sel_hi:[1,0,1]
	s_delay_alu instid0(VALU_DEP_4) | instskip(NEXT) | instid1(VALU_DEP_4)
	v_pk_fma_f16 v84, v85, v88, v64 op_sel:[0,1,0]
	v_pk_fma_f16 v85, v86, v88, v65 op_sel_hi:[1,0,1]
	s_waitcnt lgkmcnt(2)
	v_pk_fma_f16 v86, v92, v89, v66 op_sel:[0,1,0]
	ds_load_2addr_b64 v[64:67], v108 offset0:192 offset1:224
	v_pk_fma_f16 v87, v91, v89, v83 op_sel_hi:[1,0,1]
	v_pk_fma_f16 v88, v91, v89, v84 op_sel:[0,1,0]
	v_pk_fma_f16 v89, v92, v89, v85 op_sel_hi:[1,0,1]
	v_pk_fma_f16 v91, v94, v90, v86 op_sel:[0,1,0]
	ds_load_2addr_b64 v[83:86], v107 offset1:32
	v_pk_fma_f16 v92, v93, v90, v87 op_sel_hi:[1,0,1]
	v_pk_fma_f16 v93, v93, v90, v88 op_sel:[0,1,0]
	v_pk_fma_f16 v94, v94, v90, v89 op_sel_hi:[1,0,1]
	s_waitcnt lgkmcnt(2)
	v_pk_fma_f16 v91, v96, v99, v91 op_sel:[0,1,0]
	ds_load_b128 v[87:90], v52 offset:352
	v_pk_fma_f16 v103, v95, v99, v92 op_sel_hi:[1,0,1]
	v_pk_fma_f16 v95, v95, v99, v93 op_sel:[0,1,0]
	v_pk_fma_f16 v96, v96, v99, v94 op_sel_hi:[1,0,1]
	v_pk_fma_f16 v99, v98, v100, v91 op_sel:[0,1,0]
	ds_load_2addr_b64 v[91:94], v107 offset0:64 offset1:96
	v_pk_fma_f16 v103, v97, v100, v103 op_sel_hi:[1,0,1]
	v_pk_fma_f16 v104, v97, v100, v95 op_sel:[0,1,0]
	v_pk_fma_f16 v100, v98, v100, v96 op_sel_hi:[1,0,1]
	ds_load_2addr_b64 v[95:98], v107 offset0:128 offset1:160
	s_waitcnt lgkmcnt(4)
	v_pk_fma_f16 v99, v65, v101, v99 op_sel:[0,1,0]
	v_pk_fma_f16 v108, v64, v101, v103 op_sel_hi:[1,0,1]
	v_pk_fma_f16 v64, v64, v101, v104 op_sel:[0,1,0]
	ds_load_b128 v[103:106], v52 offset:368
	v_pk_fma_f16 v65, v65, v101, v100 op_sel_hi:[1,0,1]
	v_pk_fma_f16 v99, v67, v102, v99 op_sel:[0,1,0]
	v_pk_fma_f16 v100, v66, v102, v108 op_sel_hi:[1,0,1]
	v_pk_fma_f16 v64, v66, v102, v64 op_sel:[0,1,0]
	v_add_nc_u32_e32 v108, 0x6000, v60
	v_pk_fma_f16 v65, v67, v102, v65 op_sel_hi:[1,0,1]
	s_waitcnt lgkmcnt(3)
	v_pk_fma_f16 v66, v84, v87, v99 op_sel:[0,1,0]
	v_pk_fma_f16 v67, v83, v87, v100 op_sel_hi:[1,0,1]
	v_pk_fma_f16 v64, v83, v87, v64 op_sel:[0,1,0]
	v_pk_fma_f16 v65, v84, v87, v65 op_sel_hi:[1,0,1]
	s_delay_alu instid0(VALU_DEP_4) | instskip(NEXT) | instid1(VALU_DEP_4)
	v_pk_fma_f16 v66, v86, v88, v66 op_sel:[0,1,0]
	v_pk_fma_f16 v83, v85, v88, v67 op_sel_hi:[1,0,1]
	s_delay_alu instid0(VALU_DEP_4) | instskip(NEXT) | instid1(VALU_DEP_4)
	v_pk_fma_f16 v84, v85, v88, v64 op_sel:[0,1,0]
	v_pk_fma_f16 v85, v86, v88, v65 op_sel_hi:[1,0,1]
	s_waitcnt lgkmcnt(2)
	v_pk_fma_f16 v86, v92, v89, v66 op_sel:[0,1,0]
	ds_load_2addr_b64 v[64:67], v107 offset0:192 offset1:224
	v_pk_fma_f16 v87, v91, v89, v83 op_sel_hi:[1,0,1]
	v_pk_fma_f16 v88, v91, v89, v84 op_sel:[0,1,0]
	v_pk_fma_f16 v89, v92, v89, v85 op_sel_hi:[1,0,1]
	v_pk_fma_f16 v91, v94, v90, v86 op_sel:[0,1,0]
	ds_load_2addr_b64 v[83:86], v108 offset1:32
	v_pk_fma_f16 v92, v93, v90, v87 op_sel_hi:[1,0,1]
	v_pk_fma_f16 v93, v93, v90, v88 op_sel:[0,1,0]
	v_pk_fma_f16 v94, v94, v90, v89 op_sel_hi:[1,0,1]
	s_waitcnt lgkmcnt(2)
	v_pk_fma_f16 v91, v96, v103, v91 op_sel:[0,1,0]
	ds_load_b128 v[87:90], v52 offset:384
	v_pk_fma_f16 v99, v95, v103, v92 op_sel_hi:[1,0,1]
	v_pk_fma_f16 v95, v95, v103, v93 op_sel:[0,1,0]
	v_pk_fma_f16 v96, v96, v103, v94 op_sel_hi:[1,0,1]
	v_pk_fma_f16 v100, v98, v104, v91 op_sel:[0,1,0]
	ds_load_2addr_b64 v[91:94], v108 offset0:64 offset1:96
	v_pk_fma_f16 v99, v97, v104, v99 op_sel_hi:[1,0,1]
	v_pk_fma_f16 v101, v97, v104, v95 op_sel:[0,1,0]
	v_pk_fma_f16 v102, v98, v104, v96 op_sel_hi:[1,0,1]
	ds_load_2addr_b64 v[95:98], v108 offset0:128 offset1:160
	s_waitcnt lgkmcnt(4)
	v_pk_fma_f16 v100, v65, v105, v100 op_sel:[0,1,0]
	v_pk_fma_f16 v103, v64, v105, v99 op_sel_hi:[1,0,1]
	v_pk_fma_f16 v64, v64, v105, v101 op_sel:[0,1,0]
	v_pk_fma_f16 v65, v65, v105, v102 op_sel_hi:[1,0,1]
	v_add_nc_u32_e32 v107, 0x6800, v60
	v_pk_fma_f16 v104, v67, v106, v100 op_sel:[0,1,0]
	ds_load_b128 v[99:102], v52 offset:400
	v_pk_fma_f16 v103, v66, v106, v103 op_sel_hi:[1,0,1]
	v_pk_fma_f16 v64, v66, v106, v64 op_sel:[0,1,0]
	v_pk_fma_f16 v65, v67, v106, v65 op_sel_hi:[1,0,1]
	s_waitcnt lgkmcnt(3)
	v_pk_fma_f16 v66, v84, v87, v104 op_sel:[0,1,0]
	v_pk_fma_f16 v67, v83, v87, v103 op_sel_hi:[1,0,1]
	v_pk_fma_f16 v64, v83, v87, v64 op_sel:[0,1,0]
	v_pk_fma_f16 v65, v84, v87, v65 op_sel_hi:[1,0,1]
	s_delay_alu instid0(VALU_DEP_4) | instskip(NEXT) | instid1(VALU_DEP_4)
	v_pk_fma_f16 v66, v86, v88, v66 op_sel:[0,1,0]
	v_pk_fma_f16 v83, v85, v88, v67 op_sel_hi:[1,0,1]
	s_delay_alu instid0(VALU_DEP_4) | instskip(NEXT) | instid1(VALU_DEP_4)
	v_pk_fma_f16 v84, v85, v88, v64 op_sel:[0,1,0]
	v_pk_fma_f16 v85, v86, v88, v65 op_sel_hi:[1,0,1]
	s_waitcnt lgkmcnt(2)
	v_pk_fma_f16 v86, v92, v89, v66 op_sel:[0,1,0]
	ds_load_2addr_b64 v[64:67], v108 offset0:192 offset1:224
	v_pk_fma_f16 v87, v91, v89, v83 op_sel_hi:[1,0,1]
	v_pk_fma_f16 v88, v91, v89, v84 op_sel:[0,1,0]
	v_pk_fma_f16 v89, v92, v89, v85 op_sel_hi:[1,0,1]
	v_pk_fma_f16 v91, v94, v90, v86 op_sel:[0,1,0]
	ds_load_2addr_b64 v[83:86], v107 offset1:32
	v_pk_fma_f16 v92, v93, v90, v87 op_sel_hi:[1,0,1]
	v_pk_fma_f16 v93, v93, v90, v88 op_sel:[0,1,0]
	v_pk_fma_f16 v94, v94, v90, v89 op_sel_hi:[1,0,1]
	s_waitcnt lgkmcnt(2)
	v_pk_fma_f16 v91, v96, v99, v91 op_sel:[0,1,0]
	ds_load_b128 v[87:90], v52 offset:416
	v_pk_fma_f16 v79, v95, v99, v92 op_sel_hi:[1,0,1]
	v_pk_fma_f16 v95, v95, v99, v93 op_sel:[0,1,0]
	v_pk_fma_f16 v96, v96, v99, v94 op_sel_hi:[1,0,1]
	v_pk_fma_f16 v99, v98, v100, v91 op_sel:[0,1,0]
	ds_load_2addr_b64 v[91:94], v107 offset0:64 offset1:96
	v_pk_fma_f16 v79, v97, v100, v79 op_sel_hi:[1,0,1]
	v_pk_fma_f16 v103, v97, v100, v95 op_sel:[0,1,0]
	v_pk_fma_f16 v100, v98, v100, v96 op_sel_hi:[1,0,1]
	ds_load_2addr_b64 v[95:98], v107 offset0:128 offset1:160
	s_waitcnt lgkmcnt(4)
	v_pk_fma_f16 v99, v65, v101, v99 op_sel:[0,1,0]
	v_pk_fma_f16 v79, v64, v101, v79 op_sel_hi:[1,0,1]
	v_pk_fma_f16 v64, v64, v101, v103 op_sel:[0,1,0]
	ds_load_b128 v[103:106], v52 offset:432
	v_pk_fma_f16 v65, v65, v101, v100 op_sel_hi:[1,0,1]
	v_pk_fma_f16 v99, v67, v102, v99 op_sel:[0,1,0]
	v_pk_fma_f16 v79, v66, v102, v79 op_sel_hi:[1,0,1]
	v_pk_fma_f16 v64, v66, v102, v64 op_sel:[0,1,0]
	s_delay_alu instid0(VALU_DEP_4)
	v_pk_fma_f16 v65, v67, v102, v65 op_sel_hi:[1,0,1]
	s_waitcnt lgkmcnt(3)
	v_pk_fma_f16 v66, v84, v87, v99 op_sel:[0,1,0]
	v_add_f32_e32 v67, v72, v73
	v_pk_fma_f16 v72, v83, v87, v79 op_sel_hi:[1,0,1]
	v_pk_fma_f16 v64, v83, v87, v64 op_sel:[0,1,0]
	v_pk_fma_f16 v65, v84, v87, v65 op_sel_hi:[1,0,1]
	v_pk_fma_f16 v66, v86, v88, v66 op_sel:[0,1,0]
	v_add_f32_e32 v71, v71, v67
	v_pk_fma_f16 v72, v85, v88, v72 op_sel_hi:[1,0,1]
	v_pk_fma_f16 v73, v85, v88, v64 op_sel:[0,1,0]
	v_pk_fma_f16 v79, v86, v88, v65 op_sel_hi:[1,0,1]
	s_waitcnt lgkmcnt(2)
	v_pk_fma_f16 v83, v92, v89, v66 op_sel:[0,1,0]
	ds_load_2addr_b64 v[64:67], v107 offset0:192 offset1:224
	v_pk_fma_f16 v72, v91, v89, v72 op_sel_hi:[1,0,1]
	v_pk_fma_f16 v73, v91, v89, v73 op_sel:[0,1,0]
	v_pk_fma_f16 v79, v92, v89, v79 op_sel_hi:[1,0,1]
	v_pk_fma_f16 v87, v94, v90, v83 op_sel:[0,1,0]
	ds_load_2addr_b64 v[83:86], v109 offset1:32
	v_pk_fma_f16 v72, v93, v90, v72 op_sel_hi:[1,0,1]
	v_pk_fma_f16 v73, v93, v90, v73 op_sel:[0,1,0]
	v_pk_fma_f16 v79, v94, v90, v79 op_sel_hi:[1,0,1]
	s_waitcnt lgkmcnt(2)
	v_pk_fma_f16 v91, v96, v103, v87 op_sel:[0,1,0]
	ds_load_b128 v[87:90], v52 offset:448
	ds_load_b128 v[99:102], v52 offset:464
	v_fmac_f32_e32 v71, v63, v82
	v_pk_fma_f16 v63, v95, v103, v72 op_sel_hi:[1,0,1]
	v_pk_fma_f16 v72, v95, v103, v73 op_sel:[0,1,0]
	v_pk_fma_f16 v73, v96, v103, v79 op_sel_hi:[1,0,1]
	v_pk_fma_f16 v79, v98, v104, v91 op_sel:[0,1,0]
	ds_load_2addr_b64 v[91:94], v109 offset0:64 offset1:96
	v_pk_fma_f16 v63, v97, v104, v63 op_sel_hi:[1,0,1]
	v_pk_fma_f16 v72, v97, v104, v72 op_sel:[0,1,0]
	v_pk_fma_f16 v73, v98, v104, v73 op_sel_hi:[1,0,1]
	s_waitcnt lgkmcnt(4)
	v_pk_fma_f16 v79, v65, v105, v79 op_sel:[0,1,0]
	ds_load_2addr_b64 v[95:98], v109 offset0:128 offset1:160
	v_pk_fma_f16 v63, v64, v105, v63 op_sel_hi:[1,0,1]
	v_pk_fma_f16 v64, v64, v105, v72 op_sel:[0,1,0]
	v_pk_fma_f16 v65, v65, v105, v73 op_sel_hi:[1,0,1]
	v_pk_fma_f16 v72, v67, v106, v79 op_sel:[0,1,0]
	s_delay_alu instid0(VALU_DEP_4) | instskip(NEXT) | instid1(VALU_DEP_4)
	v_pk_fma_f16 v63, v66, v106, v63 op_sel_hi:[1,0,1]
	v_pk_fma_f16 v64, v66, v106, v64 op_sel:[0,1,0]
	s_delay_alu instid0(VALU_DEP_4)
	v_pk_fma_f16 v65, v67, v106, v65 op_sel_hi:[1,0,1]
	s_waitcnt lgkmcnt(3)
	v_pk_fma_f16 v66, v84, v87, v72 op_sel:[0,1,0]
	v_add_f32_e32 v67, v80, v81
	v_pk_fma_f16 v72, v83, v87, v63 op_sel_hi:[1,0,1]
	v_pk_fma_f16 v73, v83, v87, v64 op_sel:[0,1,0]
	v_pk_fma_f16 v79, v84, v87, v65 op_sel_hi:[1,0,1]
	v_pk_fma_f16 v80, v86, v88, v66 op_sel:[0,1,0]
	ds_load_2addr_b64 v[63:66], v109 offset0:192 offset1:224
	v_pk_fma_f16 v72, v85, v88, v72 op_sel_hi:[1,0,1]
	v_pk_fma_f16 v73, v85, v88, v73 op_sel:[0,1,0]
	v_pk_fma_f16 v83, v86, v88, v79 op_sel_hi:[1,0,1]
	s_waitcnt lgkmcnt(2)
	v_pk_fma_f16 v84, v92, v89, v80 op_sel:[0,1,0]
	ds_load_2addr_b64 v[79:82], v110 offset1:32
	v_pk_fma_f16 v72, v91, v89, v72 op_sel_hi:[1,0,1]
	v_pk_fma_f16 v73, v91, v89, v73 op_sel:[0,1,0]
	v_pk_fma_f16 v87, v92, v89, v83 op_sel_hi:[1,0,1]
	v_pk_fma_f16 v88, v94, v90, v84 op_sel:[0,1,0]
	ds_load_2addr_b64 v[83:86], v110 offset0:64 offset1:96
	v_pk_fma_f16 v72, v93, v90, v72 op_sel_hi:[1,0,1]
	v_pk_fma_f16 v73, v93, v90, v73 op_sel:[0,1,0]
	v_pk_fma_f16 v91, v94, v90, v87 op_sel_hi:[1,0,1]
	s_waitcnt lgkmcnt(3)
	v_pk_fma_f16 v103, v96, v99, v88 op_sel:[0,1,0]
	ds_load_b128 v[87:90], v52 offset:480
	v_pk_fma_f16 v72, v95, v99, v72 op_sel_hi:[1,0,1]
	v_pk_fma_f16 v73, v95, v99, v73 op_sel:[0,1,0]
	v_pk_fma_f16 v95, v96, v99, v91 op_sel_hi:[1,0,1]
	v_pk_fma_f16 v99, v98, v100, v103 op_sel:[0,1,0]
	ds_load_2addr_b64 v[91:94], v110 offset0:128 offset1:160
	v_pk_fma_f16 v72, v97, v100, v72 op_sel_hi:[1,0,1]
	v_pk_fma_f16 v73, v97, v100, v73 op_sel:[0,1,0]
	v_pk_fma_f16 v100, v98, v100, v95 op_sel_hi:[1,0,1]
	ds_load_b128 v[95:98], v52 offset:496
	s_waitcnt lgkmcnt(5)
	v_pk_fma_f16 v99, v64, v101, v99 op_sel:[0,1,0]
	v_pk_fma_f16 v72, v63, v101, v72 op_sel_hi:[1,0,1]
	v_pk_fma_f16 v63, v63, v101, v73 op_sel:[0,1,0]
	v_pk_fma_f16 v64, v64, v101, v100 op_sel_hi:[1,0,1]
	ds_load_2addr_b64 v[103:106], v110 offset0:192 offset1:224
	v_pk_fma_f16 v73, v66, v102, v99 op_sel:[0,1,0]
	v_pk_fma_f16 v72, v65, v102, v72 op_sel_hi:[1,0,1]
	v_pk_fma_f16 v63, v65, v102, v63 op_sel:[0,1,0]
	v_pk_fma_f16 v64, v66, v102, v64 op_sel_hi:[1,0,1]
	s_waitcnt lgkmcnt(0)
	v_pk_fma_f16 v65, v80, v87, v73 op_sel:[0,1,0]
	v_pk_fma_f16 v66, v79, v87, v72 op_sel_hi:[1,0,1]
	v_pk_fma_f16 v63, v79, v87, v63 op_sel:[0,1,0]
	v_pk_fma_f16 v64, v80, v87, v64 op_sel_hi:[1,0,1]
	s_barrier
	v_pk_fma_f16 v65, v82, v88, v65 op_sel:[0,1,0]
	v_pk_fma_f16 v66, v81, v88, v66 op_sel_hi:[1,0,1]
	v_pk_fma_f16 v63, v81, v88, v63 op_sel:[0,1,0]
	v_pk_fma_f16 v64, v82, v88, v64 op_sel_hi:[1,0,1]
	buffer_gl0_inv
	v_pk_fma_f16 v65, v84, v89, v65 op_sel:[0,1,0]
	v_pk_fma_f16 v66, v83, v89, v66 op_sel_hi:[1,0,1]
	v_pk_fma_f16 v63, v83, v89, v63 op_sel:[0,1,0]
	v_pk_fma_f16 v64, v84, v89, v64 op_sel_hi:[1,0,1]
	s_load_b32 s19, s[4:5], 0x4
	v_pk_fma_f16 v65, v86, v90, v65 op_sel:[0,1,0]
	v_pk_fma_f16 v66, v85, v90, v66 op_sel_hi:[1,0,1]
	v_pk_fma_f16 v63, v85, v90, v63 op_sel:[0,1,0]
	v_pk_fma_f16 v64, v86, v90, v64 op_sel_hi:[1,0,1]
	v_add_f32_e32 v67, v69, v67
	v_pk_fma_f16 v65, v92, v95, v65 op_sel:[0,1,0]
	v_pk_fma_f16 v66, v91, v95, v66 op_sel_hi:[1,0,1]
	v_pk_fma_f16 v63, v91, v95, v63 op_sel:[0,1,0]
	v_pk_fma_f16 v64, v92, v95, v64 op_sel_hi:[1,0,1]
	v_add_f32_e32 v72, v68, v67
	v_pk_fma_f16 v65, v94, v96, v65 op_sel:[0,1,0]
	v_pk_fma_f16 v66, v93, v96, v66 op_sel_hi:[1,0,1]
	v_pk_fma_f16 v63, v93, v96, v63 op_sel:[0,1,0]
	v_pk_fma_f16 v64, v94, v96, v64 op_sel_hi:[1,0,1]
	v_fmac_f32_e32 v72, v62, v70
	v_pk_fma_f16 v62, v104, v97, v65 op_sel:[0,1,0]
	v_pk_fma_f16 v65, v103, v97, v66 op_sel_hi:[1,0,1]
	v_pk_fma_f16 v63, v103, v97, v63 op_sel:[0,1,0]
	v_pk_fma_f16 v67, v104, v97, v64 op_sel_hi:[1,0,1]
	s_waitcnt lgkmcnt(0)
	s_lshl_b32 s19, s19, 7
	v_pk_fma_f16 v64, v106, v98, v62 op_sel:[0,1,0]
	v_pk_fma_f16 v66, v105, v98, v65 op_sel_hi:[1,0,1]
	v_pk_fma_f16 v65, v105, v98, v63 op_sel:[0,1,0]
	v_pk_fma_f16 v67, v106, v98, v67 op_sel_hi:[1,0,1]
	s_add_i32 s3, s19, s3
	s_delay_alu instid0(SALU_CYCLE_1)
	s_cmp_ge_i32 s3, s2
	s_cbranch_scc1 .LBB73_43
; %bb.42:                               ;   in Loop: Header=BB73_9 Depth=1
	v_dual_mov_b32 v69, v35 :: v_dual_mov_b32 v68, v36
	v_dual_mov_b32 v63, v71 :: v_dual_mov_b32 v62, v72
	s_branch .LBB73_9
.LBB73_43:
	v_mov_b32_e32 v5, v39
.LBB73_44:
	v_cmp_lt_i32_e32 vcc_lo, v78, v40
	s_cmp_lg_u64 s[24:25], 0
	s_cselect_b32 s2, -1, 0
	s_cmp_eq_u32 s14, 0
	v_cndmask_b32_e32 v2, v5, v78, vcc_lo
	v_cmp_lt_i32_e32 vcc_lo, v74, v40
	s_cselect_b32 s3, -1, 0
	s_delay_alu instid0(SALU_CYCLE_1)
	s_and_b32 s2, s3, s2
	v_cndmask_b32_e32 v4, v5, v74, vcc_lo
	v_cmp_lt_i32_e32 vcc_lo, v75, v40
	v_dual_cndmask_b32 v7, v5, v75 :: v_dual_lshlrev_b32 v2, 2, v2
	ds_bpermute_b32 v3, v2, v71
	ds_bpermute_b32 v2, v2, v72
	v_cmp_lt_i32_e32 vcc_lo, v76, v40
	v_lshlrev_b32_e32 v7, 2, v7
	s_waitcnt lgkmcnt(1)
	v_dual_add_f32 v3, v71, v3 :: v_dual_lshlrev_b32 v4, 2, v4
	s_waitcnt lgkmcnt(0)
	v_add_f32_e32 v2, v72, v2
	ds_bpermute_b32 v6, v4, v3
	s_waitcnt lgkmcnt(0)
	v_add_f32_e32 v3, v3, v6
	ds_bpermute_b32 v4, v4, v2
	;; [unrolled: 3-line block ×3, first 2 shown]
	ds_bpermute_b32 v6, v7, v2
	v_cndmask_b32_e32 v7, v5, v76, vcc_lo
	v_cmp_lt_i32_e32 vcc_lo, v77, v40
	s_delay_alu instid0(VALU_DEP_2)
	v_lshlrev_b32_e32 v7, 2, v7
	s_waitcnt lgkmcnt(0)
	v_dual_add_f32 v3, v3, v4 :: v_dual_add_f32 v2, v2, v6
	ds_bpermute_b32 v4, v7, v3
	ds_bpermute_b32 v6, v7, v2
	v_cndmask_b32_e32 v5, v5, v77, vcc_lo
	s_and_b32 vcc_lo, exec_lo, s2
	s_waitcnt lgkmcnt(0)
	v_dual_add_f32 v3, v3, v4 :: v_dual_add_f32 v4, v2, v6
	s_delay_alu instid0(VALU_DEP_2)
	v_lshlrev_b32_e32 v5, 2, v5
	ds_bpermute_b32 v2, v5, v3
	s_waitcnt lgkmcnt(0)
	v_add_f32_e32 v2, v3, v2
	ds_bpermute_b32 v5, v5, v4
	s_waitcnt lgkmcnt(0)
	v_add_f32_e32 v3, v4, v5
	s_cbranch_vccz .LBB73_47
; %bb.45:
	v_add_nc_u32_e32 v4, s15, v37
	s_delay_alu instid0(VALU_DEP_1) | instskip(NEXT) | instid1(VALU_DEP_1)
	v_ashrrev_i32_e32 v5, 31, v4
	v_lshlrev_b64 v[4:5], 2, v[4:5]
	s_delay_alu instid0(VALU_DEP_1) | instskip(NEXT) | instid1(VALU_DEP_2)
	v_add_co_u32 v4, vcc_lo, s24, v4
	v_add_co_ci_u32_e32 v5, vcc_lo, s25, v5, vcc_lo
	global_load_b64 v[4:5], v[4:5], off
	v_max_f32_e32 v6, v35, v35
	s_waitcnt vmcnt(0)
	v_dual_max_f32 v8, v36, v36 :: v_dual_max_f32 v9, v5, v5
	v_max_f32_e32 v7, v4, v4
	s_delay_alu instid0(VALU_DEP_1) | instskip(NEXT) | instid1(VALU_DEP_1)
	v_dual_max_f32 v6, v6, v7 :: v_dual_max_f32 v7, v8, v9
	v_dual_sub_f32 v8, v35, v6 :: v_dual_sub_f32 v5, v5, v7
	v_sub_f32_e32 v4, v4, v6
	v_dual_sub_f32 v9, v36, v7 :: v_dual_mov_b32 v36, v7
	s_delay_alu instid0(VALU_DEP_3) | instskip(NEXT) | instid1(VALU_DEP_4)
	v_cmp_ngt_f32_e32 vcc_lo, 0xc2ce8ed0, v8
	v_mul_f32_e32 v13, 0x3fb8aa3b, v5
	s_delay_alu instid0(VALU_DEP_3) | instskip(SKIP_1) | instid1(VALU_DEP_3)
	v_dual_mul_f32 v11, 0x3fb8aa3b, v4 :: v_dual_mul_f32 v12, 0x3fb8aa3b, v9
	v_mov_b32_e32 v35, v6
	v_fma_f32 v20, 0x3fb8aa3b, v5, -v13
	s_delay_alu instid0(VALU_DEP_3)
	v_rndne_f32_e32 v17, v11
	v_mul_f32_e32 v10, 0x3fb8aa3b, v8
	v_fma_f32 v16, 0x3fb8aa3b, v4, -v11
	v_rndne_f32_e32 v21, v13
	v_fma_f32 v18, 0x3fb8aa3b, v9, -v12
	v_sub_f32_e32 v11, v11, v17
	v_fma_f32 v14, 0x3fb8aa3b, v8, -v10
	v_fmac_f32_e32 v20, 0x32a5705f, v5
	v_sub_f32_e32 v13, v13, v21
	v_rndne_f32_e32 v15, v10
	v_fmac_f32_e32 v18, 0x32a5705f, v9
	v_fmac_f32_e32 v14, 0x32a5705f, v8
	;; [unrolled: 1-line block ×3, first 2 shown]
	s_delay_alu instid0(VALU_DEP_4) | instskip(SKIP_1) | instid1(VALU_DEP_3)
	v_dual_add_f32 v13, v13, v20 :: v_dual_sub_f32 v10, v10, v15
	v_rndne_f32_e32 v19, v12
	v_add_f32_e32 v11, v11, v16
	s_delay_alu instid0(VALU_DEP_3) | instskip(NEXT) | instid1(VALU_DEP_3)
	v_exp_f32_e32 v13, v13
	v_add_f32_e32 v10, v10, v14
	v_cvt_i32_f32_e32 v14, v15
	v_cvt_i32_f32_e32 v15, v17
	;; [unrolled: 1-line block ×3, first 2 shown]
	v_exp_f32_e32 v11, v11
	v_exp_f32_e32 v10, v10
	v_cvt_i32_f32_e32 v16, v19
	s_delay_alu instid0(TRANS32_DEP_3) | instid1(VALU_DEP_2)
	v_ldexp_f32 v13, v13, v17
	v_sub_f32_e32 v12, v12, v19
	s_waitcnt_depctr 0xfff
	v_ldexp_f32 v11, v11, v15
	v_add_f32_e32 v12, v12, v18
	v_ldexp_f32 v10, v10, v14
	s_delay_alu instid0(VALU_DEP_2) | instskip(NEXT) | instid1(VALU_DEP_1)
	v_exp_f32_e32 v12, v12
	v_cndmask_b32_e32 v10, 0, v10, vcc_lo
	v_cmp_ngt_f32_e32 vcc_lo, 0xc2ce8ed0, v4
	v_cndmask_b32_e32 v11, 0, v11, vcc_lo
	v_cmp_ngt_f32_e32 vcc_lo, 0xc2ce8ed0, v9
	s_waitcnt_depctr 0xfff
	v_ldexp_f32 v12, v12, v16
	s_delay_alu instid0(VALU_DEP_1)
	v_cndmask_b32_e32 v12, 0, v12, vcc_lo
	v_cmp_ngt_f32_e32 vcc_lo, 0xc2ce8ed0, v5
	v_cndmask_b32_e32 v13, 0, v13, vcc_lo
	v_cmp_nlt_f32_e32 vcc_lo, 0x42b17218, v8
	v_cndmask_b32_e32 v8, 0x7f800000, v10, vcc_lo
	v_cmp_nlt_f32_e32 vcc_lo, 0x42b17218, v4
	s_delay_alu instid0(VALU_DEP_2) | instskip(SKIP_2) | instid1(VALU_DEP_3)
	v_cvt_f16_f32_e32 v10, v8
	v_cndmask_b32_e32 v4, 0x7f800000, v11, vcc_lo
	v_cmp_nlt_f32_e32 vcc_lo, 0x42b17218, v9
	v_pk_mul_f16 v66, v10, v66 op_sel_hi:[0,1]
	s_delay_alu instid0(VALU_DEP_3) | instskip(SKIP_3) | instid1(VALU_DEP_4)
	v_fmac_f32_e32 v4, v2, v8
	v_cndmask_b32_e32 v9, 0x7f800000, v12, vcc_lo
	v_cmp_nlt_f32_e32 vcc_lo, 0x42b17218, v5
	v_pk_mul_f16 v67, v10, v67 op_sel_hi:[0,1]
	v_mov_b32_e32 v2, v4
	s_delay_alu instid0(VALU_DEP_4) | instskip(SKIP_1) | instid1(VALU_DEP_2)
	v_cvt_f16_f32_e32 v6, v9
	v_cndmask_b32_e32 v5, 0x7f800000, v13, vcc_lo
	v_pk_mul_f16 v65, v6, v65 op_sel_hi:[0,1]
	s_delay_alu instid0(VALU_DEP_2) | instskip(SKIP_1) | instid1(VALU_DEP_2)
	v_fmac_f32_e32 v5, v3, v9
	v_pk_mul_f16 v64, v6, v64 op_sel_hi:[0,1]
	v_mov_b32_e32 v3, v5
	s_mov_b32 s2, exec_lo
	v_cmpx_gt_i32_e64 s6, v1
	s_cbranch_execnz .LBB73_48
.LBB73_46:
	s_nop 0
	s_sendmsg sendmsg(MSG_DEALLOC_VGPRS)
	s_endpgm
.LBB73_47:
	s_delay_alu instid0(VALU_DEP_1)
	v_dual_mov_b32 v5, v3 :: v_dual_mov_b32 v4, v2
	s_mov_b32 s2, exec_lo
	v_cmpx_gt_i32_e64 s6, v1
	s_cbranch_execz .LBB73_46
.LBB73_48:
	s_load_b32 s1, s[0:1], 0xd4
	v_mov_b32_e32 v6, 1.0
	s_waitcnt lgkmcnt(0)
	s_cmp_lg_u32 s1, 1
	s_cselect_b32 s3, -1, 0
	s_cmp_eq_u32 s1, 1
	s_cselect_b32 s2, -1, 0
	s_and_b32 vcc_lo, exec_lo, s3
	s_cbranch_vccnz .LBB73_50
; %bb.49:
	v_div_scale_f32 v6, null, v2, v2, 1.0
	s_delay_alu instid0(VALU_DEP_1) | instskip(SKIP_2) | instid1(VALU_DEP_1)
	v_rcp_f32_e32 v7, v6
	s_waitcnt_depctr 0xfff
	v_fma_f32 v8, -v6, v7, 1.0
	v_fmac_f32_e32 v7, v8, v7
	v_div_scale_f32 v8, vcc_lo, 1.0, v2, 1.0
	s_delay_alu instid0(VALU_DEP_1) | instskip(NEXT) | instid1(VALU_DEP_1)
	v_mul_f32_e32 v9, v8, v7
	v_fma_f32 v10, -v6, v9, v8
	s_delay_alu instid0(VALU_DEP_1) | instskip(NEXT) | instid1(VALU_DEP_1)
	v_fmac_f32_e32 v9, v10, v7
	v_fma_f32 v6, -v6, v9, v8
	s_delay_alu instid0(VALU_DEP_1) | instskip(NEXT) | instid1(VALU_DEP_1)
	v_div_fmas_f32 v6, v6, v7, v9
	v_div_fixup_f32 v6, v6, v2, 1.0
.LBB73_50:
	v_mad_u64_u32 v[7:8], null, s12, s6, v[1:2]
	v_cvt_f32_f16_e32 v9, v66
	v_mov_b32_e32 v8, 0
	v_cmp_eq_u32_e32 vcc_lo, 0, v0
	v_lshrrev_b32_e32 v0, 16, v66
	v_cvt_f32_f16_e32 v10, v67
	v_mul_lo_u32 v1, v7, s7
	s_delay_alu instid0(VALU_DEP_3) | instskip(NEXT) | instid1(VALU_DEP_2)
	v_cvt_f32_f16_e32 v0, v0
	v_add3_u32 v7, s15, v37, v1
	s_delay_alu instid0(VALU_DEP_1) | instskip(SKIP_1) | instid1(VALU_DEP_1)
	v_mad_u64_u32 v[1:2], null, s1, v7, s[14:15]
	v_lshrrev_b32_e32 v2, 16, v67
	v_cvt_f32_f16_e32 v2, v2
	s_delay_alu instid0(VALU_DEP_3) | instskip(NEXT) | instid1(VALU_DEP_1)
	v_lshl_add_u32 v7, v1, 7, v38
	v_lshlrev_b64 v[11:12], 2, v[7:8]
	v_mul_f32_e32 v7, v6, v9
	v_mul_f32_e32 v9, v6, v10
	;; [unrolled: 1-line block ×4, first 2 shown]
	v_add_co_u32 v11, s0, s28, v11
	s_delay_alu instid0(VALU_DEP_1)
	v_add_co_ci_u32_e64 v12, s0, s29, v12, s0
	s_and_b32 s0, vcc_lo, s3
	global_store_b128 v[11:12], v[7:10], off
	s_and_saveexec_b32 s3, s0
	s_cbranch_execz .LBB73_52
; %bb.51:
	v_ashrrev_i32_e32 v2, 31, v1
	v_dual_mov_b32 v8, v35 :: v_dual_mov_b32 v9, v4
	s_delay_alu instid0(VALU_DEP_2) | instskip(NEXT) | instid1(VALU_DEP_1)
	v_lshlrev_b64 v[6:7], 3, v[1:2]
	v_add_co_u32 v6, vcc_lo, s30, v6
	s_delay_alu instid0(VALU_DEP_2)
	v_add_co_ci_u32_e32 v7, vcc_lo, s31, v7, vcc_lo
	global_store_b64 v[6:7], v[8:9], off
.LBB73_52:
	s_or_b32 exec_lo, exec_lo, s3
	v_mov_b32_e32 v2, 1.0
	s_and_not1_b32 vcc_lo, exec_lo, s2
	s_cbranch_vccnz .LBB73_54
; %bb.53:
	v_div_scale_f32 v0, null, v3, v3, 1.0
	s_delay_alu instid0(VALU_DEP_1) | instskip(SKIP_2) | instid1(VALU_DEP_1)
	v_rcp_f32_e32 v2, v0
	s_waitcnt_depctr 0xfff
	v_fma_f32 v4, -v0, v2, 1.0
	v_fmac_f32_e32 v2, v4, v2
	v_div_scale_f32 v4, vcc_lo, 1.0, v3, 1.0
	s_delay_alu instid0(VALU_DEP_1) | instskip(NEXT) | instid1(VALU_DEP_1)
	v_mul_f32_e32 v6, v4, v2
	v_fma_f32 v7, -v0, v6, v4
	s_delay_alu instid0(VALU_DEP_1) | instskip(NEXT) | instid1(VALU_DEP_1)
	v_fmac_f32_e32 v6, v7, v2
	v_fma_f32 v0, -v0, v6, v4
	s_delay_alu instid0(VALU_DEP_1) | instskip(NEXT) | instid1(VALU_DEP_1)
	v_div_fmas_f32 v0, v0, v2, v6
	v_div_fixup_f32 v2, v0, v3, 1.0
.LBB73_54:
	v_add_nc_u32_e32 v0, s1, v1
	v_lshrrev_b32_e32 v1, 16, v65
	v_lshrrev_b32_e32 v6, 16, v64
	v_cvt_f32_f16_e32 v7, v65
	v_cvt_f32_f16_e32 v8, v64
	v_lshl_add_u32 v3, v0, 7, v38
	v_cvt_f32_f16_e32 v1, v1
	v_mov_b32_e32 v4, 0
	v_cvt_f32_f16_e32 v9, v6
	v_mul_f32_e32 v6, v2, v7
	v_mul_f32_e32 v8, v2, v8
	;; [unrolled: 1-line block ×3, first 2 shown]
	v_lshlrev_b64 v[3:4], 2, v[3:4]
	v_mul_f32_e32 v9, v2, v9
	s_delay_alu instid0(VALU_DEP_2) | instskip(NEXT) | instid1(VALU_DEP_3)
	v_add_co_u32 v1, vcc_lo, s28, v3
	v_add_co_ci_u32_e32 v2, vcc_lo, s29, v4, vcc_lo
	global_store_b128 v[1:2], v[6:9], off
	s_and_b32 exec_lo, exec_lo, s0
	s_cbranch_execz .LBB73_46
; %bb.55:
	v_ashrrev_i32_e32 v1, 31, v0
	v_mov_b32_e32 v4, v36
	s_delay_alu instid0(VALU_DEP_2) | instskip(NEXT) | instid1(VALU_DEP_1)
	v_lshlrev_b64 v[0:1], 3, v[0:1]
	v_add_co_u32 v0, vcc_lo, s30, v0
	s_delay_alu instid0(VALU_DEP_2)
	v_add_co_ci_u32_e32 v1, vcc_lo, s31, v1, vcc_lo
	global_store_b64 v[0:1], v[4:5], off
	s_nop 0
	s_sendmsg sendmsg(MSG_DEALLOC_VGPRS)
	s_endpgm
	.section	.rodata,"a",@progbits
	.p2align	6, 0x0
	.amdhsa_kernel _ZL15flash_attn_tileILi128ELi128ELi2ELi8ELb1EEvPKcS1_S1_S1_S1_PKiPfP15HIP_vector_typeIfLj2EEffffjfiS5_IjLj3EEiiiiiiiiiiiliiliiiiil
		.amdhsa_group_segment_fixed_size 43008
		.amdhsa_private_segment_fixed_size 0
		.amdhsa_kernarg_size 464
		.amdhsa_user_sgpr_count 13
		.amdhsa_user_sgpr_dispatch_ptr 0
		.amdhsa_user_sgpr_queue_ptr 0
		.amdhsa_user_sgpr_kernarg_segment_ptr 1
		.amdhsa_user_sgpr_dispatch_id 0
		.amdhsa_user_sgpr_private_segment_size 0
		.amdhsa_wavefront_size32 1
		.amdhsa_uses_dynamic_stack 0
		.amdhsa_enable_private_segment 0
		.amdhsa_system_sgpr_workgroup_id_x 1
		.amdhsa_system_sgpr_workgroup_id_y 1
		.amdhsa_system_sgpr_workgroup_id_z 1
		.amdhsa_system_sgpr_workgroup_info 0
		.amdhsa_system_vgpr_workitem_id 1
		.amdhsa_next_free_vgpr 137
		.amdhsa_next_free_sgpr 40
		.amdhsa_reserve_vcc 1
		.amdhsa_float_round_mode_32 0
		.amdhsa_float_round_mode_16_64 0
		.amdhsa_float_denorm_mode_32 3
		.amdhsa_float_denorm_mode_16_64 3
		.amdhsa_dx10_clamp 1
		.amdhsa_ieee_mode 1
		.amdhsa_fp16_overflow 0
		.amdhsa_workgroup_processor_mode 1
		.amdhsa_memory_ordered 1
		.amdhsa_forward_progress 0
		.amdhsa_shared_vgpr_count 0
		.amdhsa_exception_fp_ieee_invalid_op 0
		.amdhsa_exception_fp_denorm_src 0
		.amdhsa_exception_fp_ieee_div_zero 0
		.amdhsa_exception_fp_ieee_overflow 0
		.amdhsa_exception_fp_ieee_underflow 0
		.amdhsa_exception_fp_ieee_inexact 0
		.amdhsa_exception_int_div_zero 0
	.end_amdhsa_kernel
	.section	.text._ZL15flash_attn_tileILi128ELi128ELi2ELi8ELb1EEvPKcS1_S1_S1_S1_PKiPfP15HIP_vector_typeIfLj2EEffffjfiS5_IjLj3EEiiiiiiiiiiiliiliiiiil,"axG",@progbits,_ZL15flash_attn_tileILi128ELi128ELi2ELi8ELb1EEvPKcS1_S1_S1_S1_PKiPfP15HIP_vector_typeIfLj2EEffffjfiS5_IjLj3EEiiiiiiiiiiiliiliiiiil,comdat
.Lfunc_end73:
	.size	_ZL15flash_attn_tileILi128ELi128ELi2ELi8ELb1EEvPKcS1_S1_S1_S1_PKiPfP15HIP_vector_typeIfLj2EEffffjfiS5_IjLj3EEiiiiiiiiiiiliiliiiiil, .Lfunc_end73-_ZL15flash_attn_tileILi128ELi128ELi2ELi8ELb1EEvPKcS1_S1_S1_S1_PKiPfP15HIP_vector_typeIfLj2EEffffjfiS5_IjLj3EEiiiiiiiiiiiliiliiiiil
                                        ; -- End function
	.section	.AMDGPU.csdata,"",@progbits
; Kernel info:
; codeLenInByte = 24780
; NumSgprs: 42
; NumVgprs: 137
; ScratchSize: 0
; MemoryBound: 0
; FloatMode: 240
; IeeeMode: 1
; LDSByteSize: 43008 bytes/workgroup (compile time only)
; SGPRBlocks: 5
; VGPRBlocks: 17
; NumSGPRsForWavesPerEU: 42
; NumVGPRsForWavesPerEU: 137
; Occupancy: 6
; WaveLimiterHint : 1
; COMPUTE_PGM_RSRC2:SCRATCH_EN: 0
; COMPUTE_PGM_RSRC2:USER_SGPR: 13
; COMPUTE_PGM_RSRC2:TRAP_HANDLER: 0
; COMPUTE_PGM_RSRC2:TGID_X_EN: 1
; COMPUTE_PGM_RSRC2:TGID_Y_EN: 1
; COMPUTE_PGM_RSRC2:TGID_Z_EN: 1
; COMPUTE_PGM_RSRC2:TIDIG_COMP_CNT: 1
	.section	.text._ZL15flash_attn_tileILi128ELi128ELi1ELi8ELb1EEvPKcS1_S1_S1_S1_PKiPfP15HIP_vector_typeIfLj2EEffffjfiS5_IjLj3EEiiiiiiiiiiiliiliiiiil,"axG",@progbits,_ZL15flash_attn_tileILi128ELi128ELi1ELi8ELb1EEvPKcS1_S1_S1_S1_PKiPfP15HIP_vector_typeIfLj2EEffffjfiS5_IjLj3EEiiiiiiiiiiiliiliiiiil,comdat
	.globl	_ZL15flash_attn_tileILi128ELi128ELi1ELi8ELb1EEvPKcS1_S1_S1_S1_PKiPfP15HIP_vector_typeIfLj2EEffffjfiS5_IjLj3EEiiiiiiiiiiiliiliiiiil ; -- Begin function _ZL15flash_attn_tileILi128ELi128ELi1ELi8ELb1EEvPKcS1_S1_S1_S1_PKiPfP15HIP_vector_typeIfLj2EEffffjfiS5_IjLj3EEiiiiiiiiiiiliiliiiiil
	.p2align	8
	.type	_ZL15flash_attn_tileILi128ELi128ELi1ELi8ELb1EEvPKcS1_S1_S1_S1_PKiPfP15HIP_vector_typeIfLj2EEffffjfiS5_IjLj3EEiiiiiiiiiiiliiliiiiil,@function
_ZL15flash_attn_tileILi128ELi128ELi1ELi8ELb1EEvPKcS1_S1_S1_S1_PKiPfP15HIP_vector_typeIfLj2EEffffjfiS5_IjLj3EEiiiiiiiiiiiliiliiiiil: ; @_ZL15flash_attn_tileILi128ELi128ELi1ELi8ELb1EEvPKcS1_S1_S1_S1_PKiPfP15HIP_vector_typeIfLj2EEffffjfiS5_IjLj3EEiiiiiiiiiiiliiliiiiil
; %bb.0:
	s_clause 0x1
	s_load_b128 s[4:7], s[0:1], 0x5c
	s_load_b64 s[2:3], s[0:1], 0x80
	s_mov_b64 s[34:35], 0
	s_waitcnt lgkmcnt(0)
	s_ashr_i32 s8, s7, 31
	s_delay_alu instid0(SALU_CYCLE_1) | instskip(NEXT) | instid1(SALU_CYCLE_1)
	s_lshr_b32 s8, s8, 29
	s_add_i32 s8, s7, s8
	s_delay_alu instid0(SALU_CYCLE_1) | instskip(NEXT) | instid1(SALU_CYCLE_1)
	s_ashr_i32 s8, s8, 3
	v_cvt_f32_u32_e32 v1, s8
	s_sub_i32 s10, 0, s8
	s_delay_alu instid0(VALU_DEP_1) | instskip(SKIP_2) | instid1(VALU_DEP_1)
	v_rcp_iflag_f32_e32 v1, v1
	s_waitcnt_depctr 0xfff
	v_mul_f32_e32 v1, 0x4f7ffffe, v1
	v_cvt_u32_f32_e32 v1, v1
	s_delay_alu instid0(VALU_DEP_1) | instskip(NEXT) | instid1(VALU_DEP_1)
	v_readfirstlane_b32 s9, v1
	s_mul_i32 s10, s10, s9
	s_delay_alu instid0(SALU_CYCLE_1) | instskip(NEXT) | instid1(SALU_CYCLE_1)
	s_mul_hi_u32 s10, s9, s10
	s_add_i32 s9, s9, s10
	s_delay_alu instid0(SALU_CYCLE_1) | instskip(NEXT) | instid1(SALU_CYCLE_1)
	s_mul_hi_u32 s9, s15, s9
	s_mul_i32 s10, s9, s8
	s_add_i32 s11, s9, 1
	s_sub_i32 s10, s15, s10
	s_delay_alu instid0(SALU_CYCLE_1)
	s_sub_i32 s12, s10, s8
	s_cmp_ge_u32 s10, s8
	s_cselect_b32 s9, s11, s9
	s_cselect_b32 s10, s12, s10
	s_add_i32 s11, s9, 1
	s_cmp_ge_u32 s10, s8
	s_cselect_b32 s12, s11, s9
	s_abs_i32 s8, s3
	s_abs_i32 s16, s7
	v_cvt_f32_u32_e32 v1, s8
	s_sub_i32 s10, 0, s8
	s_lshl_b32 s11, s15, 3
	s_mul_i32 s15, s12, s7
	s_xor_b32 s3, s7, s3
	v_rcp_iflag_f32_e32 v1, v1
	s_sub_i32 s15, s11, s15
	s_ashr_i32 s3, s3, 31
	s_waitcnt_depctr 0xfff
	v_mul_f32_e32 v1, 0x4f7ffffe, v1
	s_delay_alu instid0(VALU_DEP_1) | instskip(NEXT) | instid1(VALU_DEP_1)
	v_cvt_u32_f32_e32 v1, v1
	v_readfirstlane_b32 s9, v1
	s_delay_alu instid0(VALU_DEP_1) | instskip(NEXT) | instid1(SALU_CYCLE_1)
	s_mul_i32 s10, s10, s9
	s_mul_hi_u32 s10, s9, s10
	s_delay_alu instid0(SALU_CYCLE_1) | instskip(NEXT) | instid1(SALU_CYCLE_1)
	s_add_i32 s9, s9, s10
	s_mul_hi_u32 s9, s16, s9
	s_delay_alu instid0(SALU_CYCLE_1) | instskip(SKIP_2) | instid1(SALU_CYCLE_1)
	s_mul_i32 s10, s9, s8
	s_add_i32 s11, s9, 1
	s_sub_i32 s10, s16, s10
	s_sub_i32 s16, s10, s8
	s_cmp_ge_u32 s10, s8
	s_cselect_b32 s9, s11, s9
	s_cselect_b32 s10, s16, s10
	s_add_i32 s11, s9, 1
	s_cmp_ge_u32 s10, s8
	s_clause 0x1
	s_load_b512 s[16:31], s[0:1], 0x0
	s_load_b64 s[36:37], s[0:1], 0xb8
	s_cselect_b32 s8, s11, s9
	s_delay_alu instid0(SALU_CYCLE_1) | instskip(NEXT) | instid1(SALU_CYCLE_1)
	s_xor_b32 s8, s8, s3
	s_sub_i32 s38, s8, s3
	s_delay_alu instid0(SALU_CYCLE_1) | instskip(NEXT) | instid1(SALU_CYCLE_1)
	s_abs_i32 s33, s38
	v_cvt_f32_u32_e32 v1, s33
	s_delay_alu instid0(VALU_DEP_1) | instskip(SKIP_4) | instid1(VALU_DEP_1)
	v_rcp_iflag_f32_e32 v1, v1
	s_waitcnt lgkmcnt(0)
	s_cmp_eq_u64 s[22:23], 0
	s_waitcnt_depctr 0xfff
	v_mul_f32_e32 v1, 0x4f7ffffe, v1
	v_cvt_u32_f32_e32 v1, v1
	s_delay_alu instid0(VALU_DEP_1)
	v_readfirstlane_b32 s39, v1
	s_cbranch_scc1 .LBB74_2
; %bb.1:
	s_abs_i32 s3, s36
	s_abs_i32 s10, s12
	v_cvt_f32_u32_e32 v1, s3
	s_sub_i32 s9, 0, s3
	s_delay_alu instid0(VALU_DEP_1) | instskip(SKIP_2) | instid1(VALU_DEP_1)
	v_rcp_iflag_f32_e32 v1, v1
	s_waitcnt_depctr 0xfff
	v_mul_f32_e32 v1, 0x4f7ffffe, v1
	v_cvt_u32_f32_e32 v1, v1
	s_delay_alu instid0(VALU_DEP_1) | instskip(NEXT) | instid1(VALU_DEP_1)
	v_readfirstlane_b32 s8, v1
	s_mul_i32 s9, s9, s8
	s_delay_alu instid0(SALU_CYCLE_1) | instskip(NEXT) | instid1(SALU_CYCLE_1)
	s_mul_hi_u32 s9, s8, s9
	s_add_i32 s11, s8, s9
	s_load_b64 s[8:9], s[0:1], 0xc8
	s_mul_hi_u32 s11, s10, s11
	s_delay_alu instid0(SALU_CYCLE_1) | instskip(NEXT) | instid1(SALU_CYCLE_1)
	s_mul_i32 s11, s11, s3
	s_sub_i32 s10, s10, s11
	s_ashr_i32 s11, s12, 31
	s_sub_i32 s34, s10, s3
	s_cmp_ge_u32 s10, s3
	s_cselect_b32 s10, s34, s10
	s_delay_alu instid0(SALU_CYCLE_1) | instskip(SKIP_2) | instid1(SALU_CYCLE_1)
	s_sub_i32 s34, s10, s3
	s_cmp_ge_u32 s10, s3
	s_cselect_b32 s3, s34, s10
	s_xor_b32 s3, s3, s11
	s_delay_alu instid0(SALU_CYCLE_1)
	s_sub_i32 s3, s3, s11
	s_waitcnt lgkmcnt(0)
	s_mul_i32 s9, s3, s9
	s_mul_hi_u32 s10, s3, s8
	s_ashr_i32 s11, s3, 31
	s_add_i32 s9, s10, s9
	s_mul_i32 s11, s11, s8
	s_mul_i32 s3, s3, s8
	s_add_i32 s9, s9, s11
	s_add_u32 s34, s22, s3
	s_addc_u32 s35, s23, s9
.LBB74_2:
	v_bfe_u32 v1, v0, 10, 10
	s_load_b128 s[8:11], s[0:1], 0x70
	v_and_b32_e32 v17, 0x3ff, v0
	s_delay_alu instid0(VALU_DEP_2) | instskip(SKIP_1) | instid1(VALU_DEP_3)
	v_lshrrev_b32_e32 v2, 2, v1
	v_lshlrev_b32_e32 v3, 1, v1
	v_lshlrev_b32_e32 v0, 4, v17
	s_delay_alu instid0(VALU_DEP_3) | instskip(NEXT) | instid1(VALU_DEP_3)
	v_add_nc_u32_e32 v16, s13, v2
	v_and_b32_e32 v38, 6, v3
	v_or_b32_e32 v13, 1, v3
	s_delay_alu instid0(VALU_DEP_3) | instskip(NEXT) | instid1(VALU_DEP_2)
	v_mul_hi_u32 v2, s4, v16
	v_and_b32_e32 v14, 7, v13
	v_lshlrev_b32_e32 v19, 6, v13
	s_waitcnt lgkmcnt(0)
	s_mul_i32 s3, s12, s10
	s_mul_i32 s4, s15, s9
	s_delay_alu instid0(VALU_DEP_3) | instskip(NEXT) | instid1(VALU_DEP_1)
	v_add_nc_u32_e32 v2, v16, v2
	v_lshrrev_b32_e32 v2, s5, v2
	s_ashr_i32 s5, s3, 31
	s_add_u32 s3, s16, s3
	s_addc_u32 s5, s17, s5
	s_ashr_i32 s10, s4, 31
	v_mul_lo_u32 v2, v2, s6
	s_add_u32 s3, s3, s4
	s_addc_u32 s4, s5, s10
	s_ashr_i32 s5, s8, 31
	s_delay_alu instid0(SALU_CYCLE_1) | instskip(SKIP_2) | instid1(VALU_DEP_2)
	v_alignbit_b32 v6, s5, s8, 2
	s_ashr_i32 s8, s9, 31
	s_lshr_b32 s5, s5, 2
	v_sub_nc_u32_e32 v2, v16, v2
	v_alignbit_b32 v10, s8, s9, 2
	s_delay_alu instid0(VALU_DEP_2) | instskip(NEXT) | instid1(VALU_DEP_2)
	v_mad_u64_u32 v[4:5], null, v6, v2, 0
	v_mad_u64_u32 v[6:7], null, v10, v38, 0
	;; [unrolled: 1-line block ×3, first 2 shown]
	s_delay_alu instid0(VALU_DEP_2) | instskip(NEXT) | instid1(VALU_DEP_3)
	v_mad_u64_u32 v[10:11], null, s5, v2, v[5:6]
	v_mov_b32_e32 v5, v7
	s_delay_alu instid0(VALU_DEP_3) | instskip(SKIP_2) | instid1(VALU_DEP_2)
	v_mov_b32_e32 v7, v9
	s_lshr_b32 s5, s8, 2
	s_cmp_eq_u64 s[26:27], 0
	v_mad_u64_u32 v[11:12], null, s5, v38, v[5:6]
	s_delay_alu instid0(VALU_DEP_4) | instskip(SKIP_2) | instid1(VALU_DEP_3)
	v_mov_b32_e32 v5, v10
	v_mad_u64_u32 v[9:10], null, s5, v14, v[7:8]
	v_lshlrev_b32_e32 v12, 7, v1
	v_lshlrev_b64 v[4:5], 2, v[4:5]
	v_mov_b32_e32 v7, v11
	s_delay_alu instid0(VALU_DEP_2) | instskip(NEXT) | instid1(VALU_DEP_3)
	v_add_co_u32 v10, vcc_lo, s3, v4
	v_add_co_ci_u32_e32 v11, vcc_lo, s4, v5, vcc_lo
	s_delay_alu instid0(VALU_DEP_3) | instskip(NEXT) | instid1(VALU_DEP_3)
	v_lshlrev_b64 v[4:5], 2, v[6:7]
	v_add_co_u32 v0, vcc_lo, v10, v0
	s_delay_alu instid0(VALU_DEP_3) | instskip(SKIP_1) | instid1(VALU_DEP_3)
	v_add_co_ci_u32_e32 v10, vcc_lo, 0, v11, vcc_lo
	v_lshlrev_b64 v[6:7], 2, v[8:9]
	v_add_co_u32 v4, vcc_lo, v0, v4
	s_delay_alu instid0(VALU_DEP_3) | instskip(SKIP_1) | instid1(VALU_DEP_3)
	v_add_co_ci_u32_e32 v5, vcc_lo, v10, v5, vcc_lo
	s_load_b32 s3, s[0:1], 0x40
	v_add_co_u32 v8, vcc_lo, v0, v6
	s_delay_alu instid0(VALU_DEP_4) | instskip(SKIP_4) | instid1(VALU_DEP_1)
	v_add_co_ci_u32_e32 v9, vcc_lo, v10, v7, vcc_lo
	s_clause 0x1
	global_load_b128 v[4:7], v[4:5], off
	global_load_b128 v[8:11], v[8:9], off
	v_lshlrev_b32_e32 v0, 1, v17
	v_add_lshl_u32 v18, v12, v0, 2
	v_add_lshl_u32 v0, v19, v0, 2
	s_waitcnt vmcnt(1) lgkmcnt(0)
	v_fma_mixlo_f16 v13, v6, s3, 0
	v_fma_mixlo_f16 v12, v4, s3, 0
	s_waitcnt vmcnt(0)
	v_fma_mixlo_f16 v15, v10, s3, 0
	v_fma_mixlo_f16 v14, v8, s3, 0
	v_fma_mixhi_f16 v13, v7, s3, 0
	v_fma_mixhi_f16 v12, v5, s3, 0
	s_delay_alu instid0(VALU_DEP_4) | instskip(NEXT) | instid1(VALU_DEP_4)
	v_fma_mixhi_f16 v15, v11, s3, 0
	v_fma_mixhi_f16 v14, v9, s3, 0
	ds_store_b64 v18, v[12:13] offset:9216
	ds_store_b64 v0, v[14:15] offset:9216
	s_waitcnt lgkmcnt(0)
	s_barrier
	buffer_gl0_inv
	s_cbranch_scc1 .LBB74_4
; %bb.3:
	s_load_b32 s2, s[0:1], 0xd0
	s_mov_b32 s3, 0
	s_waitcnt lgkmcnt(0)
	s_mul_i32 s2, s2, s12
	s_delay_alu instid0(SALU_CYCLE_1) | instskip(NEXT) | instid1(SALU_CYCLE_1)
	s_add_i32 s2, s2, s13
	s_lshl_b64 s[2:3], s[2:3], 2
	s_delay_alu instid0(SALU_CYCLE_1)
	s_add_u32 s2, s26, s2
	s_addc_u32 s3, s27, s3
	s_load_b32 s2, s[2:3], 0x0
.LBB74_4:
	v_mbcnt_lo_u32_b32 v39, -1, 0
	s_lshl_b32 s3, s14, 6
	s_waitcnt lgkmcnt(0)
	s_cmp_lt_i32 s3, s2
	s_cbranch_scc1 .LBB74_6
; %bb.5:
	v_mbcnt_lo_u32_b32 v0, -1, 0
	v_mov_b32_e32 v40, 32
	s_mov_b32 s4, 0
	s_mov_b32 s5, 0xfeffffff
	s_delay_alu instid0(VALU_DEP_2)
	v_xor_b32_e32 v67, 16, v0
	v_xor_b32_e32 v63, 8, v0
	;; [unrolled: 1-line block ×5, first 2 shown]
	s_branch .LBB74_7
.LBB74_6:
	s_mov_b32 s4, -1
                                        ; implicit-def: $sgpr5
                                        ; implicit-def: $vgpr0
                                        ; implicit-def: $vgpr40
                                        ; implicit-def: $vgpr67
                                        ; implicit-def: $vgpr63
                                        ; implicit-def: $vgpr64
                                        ; implicit-def: $vgpr65
                                        ; implicit-def: $vgpr66
.LBB74_7:
	s_delay_alu instid0(SALU_CYCLE_1) | instskip(SKIP_3) | instid1(VALU_DEP_4)
	v_cndmask_b32_e64 v4, 0, 1, s4
	v_dual_mov_b32 v36, s5 :: v_dual_mov_b32 v5, s4
	v_mov_b32_e32 v59, s4
	v_dual_mov_b32 v60, s4 :: v_dual_lshlrev_b32 v37, 2, v17
	v_cmp_ne_u32_e32 vcc_lo, 1, v4
	v_dual_mov_b32 v35, s5 :: v_dual_mov_b32 v56, s4
	v_mov_b32_e32 v4, s4
	v_mov_b32_e32 v48, s4
	s_cbranch_vccnz .LBB74_28
; %bb.8:
	s_clause 0x1
	s_load_b128 s[8:11], s[0:1], 0x98
	s_load_b64 s[4:5], s[0:1], 0x8c
	s_sub_i32 s13, 0, s33
	s_abs_i32 s16, s15
	s_mul_i32 s13, s13, s39
	s_ashr_i32 s27, s37, 1
	s_mul_hi_u32 s13, s39, s13
	s_ashr_i32 s37, s12, 31
	s_add_i32 s39, s39, s13
	s_ashr_i32 s17, s15, 31
	s_mul_hi_u32 s36, s16, s39
	s_ashr_i32 s26, s38, 31
	s_load_b64 s[22:23], s[0:1], 0xa8
	s_mul_i32 s38, s36, s33
	v_lshrrev_b32_e32 v0, 3, v17
	v_dual_mov_b32 v48, 0 :: v_dual_and_b32 v21, 28, v37
	v_lshrrev_b32_e32 v7, 4, v17
	v_mov_b32_e32 v40, 32
	s_delay_alu instid0(VALU_DEP_4)
	v_lshl_add_u32 v0, v1, 2, v0
	s_waitcnt lgkmcnt(0)
	s_mul_i32 s39, s37, s8
	s_ashr_i32 s13, s4, 2
	s_mul_i32 s4, s12, s9
	s_mul_hi_u32 s9, s12, s8
	s_mul_i32 s8, s12, s8
	s_add_i32 s4, s9, s4
	s_ashr_i32 s10, s10, 2
	s_add_i32 s4, s4, s39
	s_add_u32 s9, s18, s8
	s_addc_u32 s4, s19, s4
	s_sub_i32 s8, s16, s38
	s_xor_b32 s17, s17, s26
	s_add_i32 s16, s36, 1
	s_sub_i32 s18, s8, s33
	s_cmp_ge_u32 s8, s33
	v_mul_lo_u32 v4, s13, v0
	s_cselect_b32 s16, s16, s36
	s_cselect_b32 s8, s18, s8
	s_add_i32 s18, s16, 1
	s_cmp_ge_u32 s8, s33
	s_load_b32 s8, s[0:1], 0x54
	s_cselect_b32 s16, s18, s16
	s_mul_i32 s18, s12, s23
	s_xor_b32 s16, s16, s17
	s_mul_hi_u32 s19, s12, s22
	s_sub_i32 s17, s16, s17
	s_mul_i32 s37, s37, s22
	s_mul_i32 s5, s17, s5
	s_mul_i32 s17, s17, s11
	s_ashr_i32 s16, s5, 31
	s_add_u32 s9, s9, s5
	s_addc_u32 s16, s4, s16
	s_add_i32 s4, s19, s18
	s_mul_i32 s5, s12, s22
	s_add_i32 s4, s4, s37
	s_add_u32 s5, s20, s5
	s_addc_u32 s4, s21, s4
	s_ashr_i32 s18, s17, 31
	s_add_u32 s11, s5, s17
	s_addc_u32 s17, s4, s18
	s_lshl_b32 s4, s13, 4
	v_lshlrev_b32_e32 v5, 2, v21
	v_dual_mov_b32 v56, 0 :: v_dual_add_nc_u32 v3, v7, v3
	v_dual_mov_b32 v61, 0xfeffffff :: v_dual_add_nc_u32 v6, s4, v4
	s_delay_alu instid0(VALU_DEP_3) | instskip(NEXT) | instid1(VALU_DEP_3)
	v_mad_u32_u24 v41, 0x90, v0, v5
	v_mul_lo_u32 v0, s10, v3
	s_delay_alu instid0(VALU_DEP_3) | instskip(SKIP_2) | instid1(VALU_DEP_3)
	v_dual_mov_b32 v57, 0 :: v_dual_add_nc_u32 v8, s4, v6
	v_dual_mov_b32 v62, 0xfeffffff :: v_dual_and_b32 v29, 60, v37
	v_mad_u64_u32 v[18:19], null, v2, s27, v[17:18]
	v_add_nc_u32_e32 v10, s4, v8
	s_lshl_b32 s4, s10, 3
	s_delay_alu instid0(VALU_DEP_3)
	v_dual_mov_b32 v58, 0 :: v_dual_lshlrev_b32 v13, 2, v29
	v_add_nc_u32_e32 v12, s4, v0
	v_ashrrev_i32_e32 v5, 31, v4
	v_ashrrev_i32_e32 v7, 31, v6
	;; [unrolled: 1-line block ×4, first 2 shown]
	v_add_nc_u32_e32 v14, s4, v12
	v_lshl_add_u32 v46, v1, 9, 0x2400
	v_lshl_or_b32 v47, v3, 8, v13
	v_lshl_add_u32 v49, v1, 8, 0x2c00
	v_ashrrev_i32_e32 v1, 31, v0
	v_add_nc_u32_e32 v2, s4, v14
	v_ashrrev_i32_e32 v13, 31, v12
	v_ashrrev_i32_e32 v15, 31, v14
	v_lshlrev_b64 v[19:20], 2, v[4:5]
	v_lshlrev_b32_e32 v54, 2, v21
	v_ashrrev_i32_e32 v3, 31, v2
	v_lshlrev_b64 v[21:22], 2, v[6:7]
	v_lshlrev_b64 v[23:24], 2, v[8:9]
	;; [unrolled: 1-line block ×4, first 2 shown]
	v_lshlrev_b32_e32 v55, 2, v29
	v_lshlrev_b64 v[29:30], 2, v[12:13]
	v_lshlrev_b64 v[31:32], 2, v[14:15]
	v_lshlrev_b64 v[33:34], 2, v[2:3]
	v_dual_mov_b32 v59, 0 :: v_dual_add_nc_u32 v42, 0x900, v41
	v_dual_mov_b32 v60, 0 :: v_dual_add_nc_u32 v43, 0x1200, v41
	v_add_nc_u32_e32 v44, 0x1b00, v41
	v_mul_u32_u24_e32 v45, 0x90, v17
	v_add_nc_u32_e32 v50, 0x800, v47
	v_add_nc_u32_e32 v51, 0x1000, v47
	;; [unrolled: 1-line block ×3, first 2 shown]
	v_lshlrev_b32_e32 v53, 3, v17
	s_add_u32 s4, s0, 0xd0
	s_addc_u32 s5, s1, 0
	s_mov_b32 s18, 0xbbbac73d
.LBB74_9:                               ; =>This Inner Loop Header: Depth=1
	s_mul_hi_i32 s21, s3, s13
	s_mul_i32 s20, s3, s13
	v_mov_b32_e32 v35, 0
	s_lshl_b64 s[20:21], s[20:21], 2
	v_mov_b32_e32 v36, 0
	s_add_u32 s19, s9, s20
	s_addc_u32 s20, s16, s21
	v_add_co_u32 v0, vcc_lo, s19, v19
	v_add_co_ci_u32_e32 v1, vcc_lo, s20, v20, vcc_lo
	v_add_co_u32 v2, vcc_lo, s19, v21
	v_add_co_ci_u32_e32 v3, vcc_lo, s20, v22, vcc_lo
	s_delay_alu instid0(VALU_DEP_4) | instskip(NEXT) | instid1(VALU_DEP_4)
	v_add_co_u32 v0, vcc_lo, v0, v54
	v_add_co_ci_u32_e32 v1, vcc_lo, 0, v1, vcc_lo
	s_delay_alu instid0(VALU_DEP_4) | instskip(NEXT) | instid1(VALU_DEP_4)
	v_add_co_u32 v2, vcc_lo, v2, v54
	v_add_co_ci_u32_e32 v3, vcc_lo, 0, v3, vcc_lo
	v_add_co_u32 v4, vcc_lo, s19, v23
	v_add_co_ci_u32_e32 v5, vcc_lo, s20, v24, vcc_lo
	;; [unrolled: 2-line block ×3, first 2 shown]
	s_delay_alu instid0(VALU_DEP_4) | instskip(NEXT) | instid1(VALU_DEP_4)
	v_add_co_u32 v4, vcc_lo, v4, v54
	v_add_co_ci_u32_e32 v5, vcc_lo, 0, v5, vcc_lo
	s_delay_alu instid0(VALU_DEP_4) | instskip(NEXT) | instid1(VALU_DEP_4)
	v_add_co_u32 v6, vcc_lo, v6, v54
	v_add_co_ci_u32_e32 v7, vcc_lo, 0, v7, vcc_lo
	s_clause 0x3
	global_load_b128 v[8:11], v[0:1], off
	global_load_b128 v[12:15], v[2:3], off
	;; [unrolled: 1-line block ×4, first 2 shown]
	s_waitcnt vmcnt(3)
	ds_store_b128 v41, v[8:11]
	s_waitcnt vmcnt(2)
	ds_store_b128 v42, v[12:15]
	;; [unrolled: 2-line block ×4, first 2 shown]
	s_waitcnt lgkmcnt(0)
	s_barrier
	buffer_gl0_inv
	ds_load_b128 v[10:13], v45
	ds_load_b128 v[63:66], v46
	ds_load_b128 v[67:70], v46 offset:256
	ds_load_b128 v[71:74], v45 offset:4608
	v_dual_mov_b32 v8, 0 :: v_dual_mov_b32 v9, 0
	s_waitcnt lgkmcnt(2)
	;;#ASMSTART
	v_dot2_f32_f16 v8, v10, v63, v8
	;;#ASMEND
	;;#ASMSTART
	v_dot2_f32_f16 v8, v11, v64, v8
	;;#ASMEND
	;;#ASMSTART
	v_dot2_f32_f16 v8, v12, v65, v8
	;;#ASMEND
	;;#ASMSTART
	v_dot2_f32_f16 v8, v13, v66, v8
	;;#ASMEND
	s_waitcnt lgkmcnt(1)
	;;#ASMSTART
	v_dot2_f32_f16 v35, v10, v67, v35
	;;#ASMEND
	;;#ASMSTART
	v_dot2_f32_f16 v35, v11, v68, v35
	;;#ASMEND
	;;#ASMSTART
	v_dot2_f32_f16 v35, v12, v69, v35
	;;#ASMEND
	;;#ASMSTART
	v_dot2_f32_f16 v35, v13, v70, v35
	;;#ASMEND
	s_waitcnt lgkmcnt(0)
	;;#ASMSTART
	v_dot2_f32_f16 v9, v71, v63, v9
	;;#ASMEND
	;;#ASMSTART
	v_dot2_f32_f16 v9, v72, v64, v9
	;;#ASMEND
	;;#ASMSTART
	v_dot2_f32_f16 v9, v73, v65, v9
	;;#ASMEND
	;;#ASMSTART
	v_dot2_f32_f16 v9, v74, v66, v9
	;;#ASMEND
	;;#ASMSTART
	v_dot2_f32_f16 v36, v71, v67, v36
	;;#ASMEND
	;;#ASMSTART
	v_dot2_f32_f16 v36, v72, v68, v36
	;;#ASMEND
	;;#ASMSTART
	v_dot2_f32_f16 v36, v73, v69, v36
	;;#ASMEND
	;;#ASMSTART
	v_dot2_f32_f16 v36, v74, v70, v36
	;;#ASMEND
	ds_load_b128 v[10:13], v45 offset:16
	ds_load_b128 v[63:66], v46 offset:16
	ds_load_b128 v[67:70], v46 offset:272
	ds_load_b128 v[71:74], v45 offset:4624
	s_waitcnt lgkmcnt(2)
	;;#ASMSTART
	v_dot2_f32_f16 v8, v10, v63, v8
	;;#ASMEND
	;;#ASMSTART
	v_dot2_f32_f16 v8, v11, v64, v8
	;;#ASMEND
	;;#ASMSTART
	v_dot2_f32_f16 v8, v12, v65, v8
	;;#ASMEND
	;;#ASMSTART
	v_dot2_f32_f16 v8, v13, v66, v8
	;;#ASMEND
	s_waitcnt lgkmcnt(1)
	;;#ASMSTART
	v_dot2_f32_f16 v35, v10, v67, v35
	;;#ASMEND
	;;#ASMSTART
	v_dot2_f32_f16 v35, v11, v68, v35
	;;#ASMEND
	;;#ASMSTART
	v_dot2_f32_f16 v35, v12, v69, v35
	;;#ASMEND
	;;#ASMSTART
	v_dot2_f32_f16 v35, v13, v70, v35
	;;#ASMEND
	s_waitcnt lgkmcnt(0)
	;;#ASMSTART
	v_dot2_f32_f16 v9, v71, v63, v9
	;;#ASMEND
	;;#ASMSTART
	v_dot2_f32_f16 v9, v72, v64, v9
	;;#ASMEND
	;;#ASMSTART
	v_dot2_f32_f16 v9, v73, v65, v9
	;;#ASMEND
	;;#ASMSTART
	v_dot2_f32_f16 v9, v74, v66, v9
	;;#ASMEND
	;;#ASMSTART
	v_dot2_f32_f16 v36, v71, v67, v36
	;;#ASMEND
	;;#ASMSTART
	v_dot2_f32_f16 v36, v72, v68, v36
	;;#ASMEND
	;;#ASMSTART
	v_dot2_f32_f16 v36, v73, v69, v36
	;;#ASMEND
	;;#ASMSTART
	v_dot2_f32_f16 v36, v74, v70, v36
	;;#ASMEND
	ds_load_b128 v[10:13], v45 offset:32
	ds_load_b128 v[63:66], v46 offset:32
	ds_load_b128 v[67:70], v46 offset:288
	ds_load_b128 v[71:74], v45 offset:4640
	;; [unrolled: 55-line block ×7, first 2 shown]
	s_waitcnt lgkmcnt(2)
	;;#ASMSTART
	v_dot2_f32_f16 v8, v10, v63, v8
	;;#ASMEND
	;;#ASMSTART
	v_dot2_f32_f16 v8, v11, v64, v8
	;;#ASMEND
	;;#ASMSTART
	v_dot2_f32_f16 v8, v12, v65, v8
	;;#ASMEND
	;;#ASMSTART
	v_dot2_f32_f16 v8, v13, v66, v8
	;;#ASMEND
	s_waitcnt lgkmcnt(1)
	;;#ASMSTART
	v_dot2_f32_f16 v35, v10, v67, v35
	;;#ASMEND
	;;#ASMSTART
	v_dot2_f32_f16 v35, v11, v68, v35
	;;#ASMEND
	;;#ASMSTART
	v_dot2_f32_f16 v35, v12, v69, v35
	;;#ASMEND
	;;#ASMSTART
	v_dot2_f32_f16 v35, v13, v70, v35
	;;#ASMEND
	;; [unrolled: 13-line block ×3, first 2 shown]
	;;#ASMSTART
	v_dot2_f32_f16 v36, v71, v67, v36
	;;#ASMEND
	;;#ASMSTART
	v_dot2_f32_f16 v36, v72, v68, v36
	;;#ASMEND
	;; [unrolled: 3-line block ×4, first 2 shown]
	s_barrier
	buffer_gl0_inv
	s_clause 0x3
	global_load_b128 v[10:13], v[0:1], off offset:128
	global_load_b128 v[0:3], v[2:3], off offset:128
	;; [unrolled: 1-line block ×4, first 2 shown]
	s_waitcnt vmcnt(3)
	ds_store_b128 v41, v[10:13]
	s_waitcnt vmcnt(2)
	ds_store_b128 v42, v[0:3]
	;; [unrolled: 2-line block ×4, first 2 shown]
	s_waitcnt lgkmcnt(0)
	s_barrier
	buffer_gl0_inv
	ds_load_b128 v[0:3], v45
	ds_load_b128 v[4:7], v46 offset:128
	ds_load_b128 v[10:13], v46 offset:384
	ds_load_b128 v[63:66], v45 offset:4608
	s_waitcnt lgkmcnt(2)
	;;#ASMSTART
	v_dot2_f32_f16 v8, v0, v4, v8
	;;#ASMEND
	;;#ASMSTART
	v_dot2_f32_f16 v8, v1, v5, v8
	;;#ASMEND
	;;#ASMSTART
	v_dot2_f32_f16 v8, v2, v6, v8
	;;#ASMEND
	;;#ASMSTART
	v_dot2_f32_f16 v8, v3, v7, v8
	;;#ASMEND
	s_waitcnt lgkmcnt(1)
	;;#ASMSTART
	v_dot2_f32_f16 v35, v0, v10, v35
	;;#ASMEND
	;;#ASMSTART
	v_dot2_f32_f16 v35, v1, v11, v35
	;;#ASMEND
	;;#ASMSTART
	v_dot2_f32_f16 v35, v2, v12, v35
	;;#ASMEND
	;;#ASMSTART
	v_dot2_f32_f16 v35, v3, v13, v35
	;;#ASMEND
	s_waitcnt lgkmcnt(0)
	;;#ASMSTART
	v_dot2_f32_f16 v9, v63, v4, v9
	;;#ASMEND
	;;#ASMSTART
	v_dot2_f32_f16 v9, v64, v5, v9
	;;#ASMEND
	;;#ASMSTART
	v_dot2_f32_f16 v9, v65, v6, v9
	;;#ASMEND
	;;#ASMSTART
	v_dot2_f32_f16 v9, v66, v7, v9
	;;#ASMEND
	;;#ASMSTART
	v_dot2_f32_f16 v36, v63, v10, v36
	;;#ASMEND
	;;#ASMSTART
	v_dot2_f32_f16 v36, v64, v11, v36
	;;#ASMEND
	;;#ASMSTART
	v_dot2_f32_f16 v36, v65, v12, v36
	;;#ASMEND
	;;#ASMSTART
	v_dot2_f32_f16 v36, v66, v13, v36
	;;#ASMEND
	ds_load_b128 v[0:3], v45 offset:16
	ds_load_b128 v[4:7], v46 offset:144
	ds_load_b128 v[10:13], v46 offset:400
	ds_load_b128 v[63:66], v45 offset:4624
	s_waitcnt lgkmcnt(2)
	;;#ASMSTART
	v_dot2_f32_f16 v8, v0, v4, v8
	;;#ASMEND
	;;#ASMSTART
	v_dot2_f32_f16 v8, v1, v5, v8
	;;#ASMEND
	;;#ASMSTART
	v_dot2_f32_f16 v8, v2, v6, v8
	;;#ASMEND
	;;#ASMSTART
	v_dot2_f32_f16 v8, v3, v7, v8
	;;#ASMEND
	s_waitcnt lgkmcnt(1)
	;;#ASMSTART
	v_dot2_f32_f16 v35, v0, v10, v35
	;;#ASMEND
	;;#ASMSTART
	v_dot2_f32_f16 v35, v1, v11, v35
	;;#ASMEND
	;;#ASMSTART
	v_dot2_f32_f16 v35, v2, v12, v35
	;;#ASMEND
	;;#ASMSTART
	v_dot2_f32_f16 v35, v3, v13, v35
	;;#ASMEND
	s_waitcnt lgkmcnt(0)
	;;#ASMSTART
	v_dot2_f32_f16 v9, v63, v4, v9
	;;#ASMEND
	;;#ASMSTART
	v_dot2_f32_f16 v9, v64, v5, v9
	;;#ASMEND
	;;#ASMSTART
	v_dot2_f32_f16 v9, v65, v6, v9
	;;#ASMEND
	;;#ASMSTART
	v_dot2_f32_f16 v9, v66, v7, v9
	;;#ASMEND
	;;#ASMSTART
	v_dot2_f32_f16 v36, v63, v10, v36
	;;#ASMEND
	;;#ASMSTART
	v_dot2_f32_f16 v36, v64, v11, v36
	;;#ASMEND
	;;#ASMSTART
	v_dot2_f32_f16 v36, v65, v12, v36
	;;#ASMEND
	;;#ASMSTART
	v_dot2_f32_f16 v36, v66, v13, v36
	;;#ASMEND
	ds_load_b128 v[0:3], v45 offset:32
	;; [unrolled: 55-line block ×7, first 2 shown]
	ds_load_b128 v[4:7], v46 offset:240
	ds_load_b128 v[10:13], v46 offset:496
	;; [unrolled: 1-line block ×3, first 2 shown]
	s_waitcnt lgkmcnt(2)
	;;#ASMSTART
	v_dot2_f32_f16 v8, v0, v4, v8
	;;#ASMEND
	;;#ASMSTART
	v_dot2_f32_f16 v8, v1, v5, v8
	;;#ASMEND
	;; [unrolled: 3-line block ×4, first 2 shown]
	s_waitcnt lgkmcnt(1)
	;;#ASMSTART
	v_dot2_f32_f16 v35, v0, v10, v35
	;;#ASMEND
	;;#ASMSTART
	v_dot2_f32_f16 v35, v1, v11, v35
	;;#ASMEND
	;; [unrolled: 3-line block ×4, first 2 shown]
	s_waitcnt lgkmcnt(0)
	;;#ASMSTART
	v_dot2_f32_f16 v9, v63, v4, v9
	;;#ASMEND
	v_cmp_ngt_f32_e64 s19, 0x3f200000, |v8|
	;;#ASMSTART
	v_dot2_f32_f16 v9, v64, v5, v9
	;;#ASMEND
	;;#ASMSTART
	v_dot2_f32_f16 v9, v65, v6, v9
	;;#ASMEND
	;; [unrolled: 3-line block ×7, first 2 shown]
                                        ; implicit-def: $vgpr2
	s_and_saveexec_b32 s20, s19
	s_delay_alu instid0(SALU_CYCLE_1)
	s_xor_b32 s19, exec_lo, s20
	s_cbranch_execz .LBB74_11
; %bb.10:                               ;   in Loop: Header=BB74_9 Depth=1
	v_add_f32_e64 v0, |v8|, |v8|
	s_delay_alu instid0(VALU_DEP_1) | instskip(SKIP_1) | instid1(VALU_DEP_2)
	v_mul_f32_e32 v1, 0x3fb8aa3b, v0
	v_cmp_ngt_f32_e32 vcc_lo, 0xc2ce8ed0, v0
	v_rndne_f32_e32 v2, v1
	v_fma_f32 v3, 0x3fb8aa3b, v0, -v1
	s_delay_alu instid0(VALU_DEP_2) | instskip(NEXT) | instid1(VALU_DEP_2)
	v_sub_f32_e32 v1, v1, v2
	v_fmac_f32_e32 v3, 0x32a5705f, v0
	v_cvt_i32_f32_e32 v2, v2
	s_delay_alu instid0(VALU_DEP_2) | instskip(NEXT) | instid1(VALU_DEP_1)
	v_add_f32_e32 v1, v1, v3
	v_exp_f32_e32 v1, v1
	s_waitcnt_depctr 0xfff
	v_ldexp_f32 v1, v1, v2
	s_delay_alu instid0(VALU_DEP_1) | instskip(SKIP_1) | instid1(VALU_DEP_2)
	v_cndmask_b32_e32 v1, 0, v1, vcc_lo
	v_cmp_nlt_f32_e32 vcc_lo, 0x42b17218, v0
	v_cndmask_b32_e32 v0, 0x7f800000, v1, vcc_lo
	s_delay_alu instid0(VALU_DEP_1) | instskip(NEXT) | instid1(VALU_DEP_1)
	v_add_f32_e32 v0, 1.0, v0
	v_rcp_f32_e32 v0, v0
	s_waitcnt_depctr 0xfff
	v_fma_f32 v2, v0, -2.0, 1.0
.LBB74_11:                              ;   in Loop: Header=BB74_9 Depth=1
	s_and_not1_saveexec_b32 s19, s19
; %bb.12:                               ;   in Loop: Header=BB74_9 Depth=1
	v_mul_f32_e32 v0, v8, v8
	s_delay_alu instid0(VALU_DEP_1) | instskip(NEXT) | instid1(VALU_DEP_1)
	v_fmaak_f32 v1, s18, v0, 0x3ca908c9
	v_fmaak_f32 v1, v0, v1, 0xbd5c1c4e
	s_delay_alu instid0(VALU_DEP_1) | instskip(NEXT) | instid1(VALU_DEP_1)
	v_fmaak_f32 v1, v0, v1, 0x3e088382
	v_fmaak_f32 v1, v0, v1, 0xbeaaaa99
	s_delay_alu instid0(VALU_DEP_1) | instskip(NEXT) | instid1(VALU_DEP_1)
	v_mul_f32_e64 v1, |v8|, v1
	v_fma_f32 v2, v0, v1, |v8|
; %bb.13:                               ;   in Loop: Header=BB74_9 Depth=1
	s_or_b32 exec_lo, exec_lo, s19
	v_add_nc_u32_e32 v0, s3, v18
	v_cmp_ngt_f32_e64 s19, 0x3f200000, |v9|
                                        ; implicit-def: $vgpr3
	s_delay_alu instid0(VALU_DEP_2) | instskip(NEXT) | instid1(VALU_DEP_1)
	v_ashrrev_i32_e32 v1, 31, v0
	v_lshlrev_b64 v[0:1], 1, v[0:1]
	s_delay_alu instid0(VALU_DEP_1) | instskip(NEXT) | instid1(VALU_DEP_2)
	v_add_co_u32 v0, vcc_lo, s34, v0
	v_add_co_ci_u32_e32 v1, vcc_lo, s35, v1, vcc_lo
	flat_load_u16 v74, v[0:1]
	s_and_saveexec_b32 s20, s19
	s_delay_alu instid0(SALU_CYCLE_1)
	s_xor_b32 s19, exec_lo, s20
	s_cbranch_execz .LBB74_15
; %bb.14:                               ;   in Loop: Header=BB74_9 Depth=1
	v_add_f32_e64 v3, |v9|, |v9|
	s_delay_alu instid0(VALU_DEP_1) | instskip(SKIP_1) | instid1(VALU_DEP_2)
	v_mul_f32_e32 v4, 0x3fb8aa3b, v3
	v_cmp_ngt_f32_e32 vcc_lo, 0xc2ce8ed0, v3
	v_rndne_f32_e32 v5, v4
	v_fma_f32 v6, 0x3fb8aa3b, v3, -v4
	s_delay_alu instid0(VALU_DEP_2) | instskip(NEXT) | instid1(VALU_DEP_2)
	v_sub_f32_e32 v4, v4, v5
	v_fmac_f32_e32 v6, 0x32a5705f, v3
	v_cvt_i32_f32_e32 v5, v5
	s_delay_alu instid0(VALU_DEP_2) | instskip(NEXT) | instid1(VALU_DEP_1)
	v_add_f32_e32 v4, v4, v6
	v_exp_f32_e32 v4, v4
	s_waitcnt_depctr 0xfff
	v_ldexp_f32 v4, v4, v5
	s_delay_alu instid0(VALU_DEP_1) | instskip(SKIP_1) | instid1(VALU_DEP_2)
	v_cndmask_b32_e32 v4, 0, v4, vcc_lo
	v_cmp_nlt_f32_e32 vcc_lo, 0x42b17218, v3
	v_cndmask_b32_e32 v3, 0x7f800000, v4, vcc_lo
	s_delay_alu instid0(VALU_DEP_1) | instskip(NEXT) | instid1(VALU_DEP_1)
	v_add_f32_e32 v3, 1.0, v3
	v_rcp_f32_e32 v3, v3
	s_waitcnt_depctr 0xfff
	v_fma_f32 v3, v3, -2.0, 1.0
.LBB74_15:                              ;   in Loop: Header=BB74_9 Depth=1
	s_and_not1_saveexec_b32 s19, s19
; %bb.16:                               ;   in Loop: Header=BB74_9 Depth=1
	v_mul_f32_e32 v3, v9, v9
	s_delay_alu instid0(VALU_DEP_1) | instskip(NEXT) | instid1(VALU_DEP_1)
	v_fmaak_f32 v4, s18, v3, 0x3ca908c9
	v_fmaak_f32 v4, v3, v4, 0xbd5c1c4e
	s_delay_alu instid0(VALU_DEP_1) | instskip(NEXT) | instid1(VALU_DEP_1)
	v_fmaak_f32 v4, v3, v4, 0x3e088382
	v_fmaak_f32 v4, v3, v4, 0xbeaaaa99
	s_delay_alu instid0(VALU_DEP_1) | instskip(NEXT) | instid1(VALU_DEP_1)
	v_mul_f32_e64 v4, |v9|, v4
	v_fma_f32 v3, v3, v4, |v9|
; %bb.17:                               ;   in Loop: Header=BB74_9 Depth=1
	s_or_b32 exec_lo, exec_lo, s19
	flat_load_u16 v76, v[0:1] offset:64
	v_bfi_b32 v0, 0x7fffffff, v2, v8
	v_bfi_b32 v1, 0x7fffffff, v3, v9
	v_xor_b32_e32 v67, 16, v39
	v_xor_b32_e32 v63, 8, v39
	;; [unrolled: 1-line block ×3, first 2 shown]
	s_waitcnt vmcnt(1) lgkmcnt(1)
	v_fma_mix_f32 v69, v0, s8, v74 op_sel_hi:[0,0,1]
	v_xor_b32_e32 v65, 2, v39
	v_cmp_gt_i32_e32 vcc_lo, 32, v67
	v_xor_b32_e32 v66, 1, v39
	v_cmp_ngt_f32_e64 s19, 0x3f200000, |v35|
	v_add_f32_e32 v0, 0x40051340, v69
                                        ; implicit-def: $vgpr80
	s_waitcnt vmcnt(0) lgkmcnt(0)
	v_fma_mix_f32 v70, v1, s8, v76 op_sel_hi:[0,0,1]
	v_cndmask_b32_e32 v1, v39, v67, vcc_lo
	v_cmp_gt_i32_e32 vcc_lo, 32, v63
	s_delay_alu instid0(VALU_DEP_2) | instskip(NEXT) | instid1(VALU_DEP_1)
	v_dual_add_f32 v2, 0x40051340, v70 :: v_dual_lshlrev_b32 v77, 2, v1
	v_max3_f32 v0, v61, v0, v2
	ds_bpermute_b32 v1, v77, v0
	v_cndmask_b32_e32 v2, v39, v63, vcc_lo
	v_cmp_gt_i32_e32 vcc_lo, 32, v64
	s_waitcnt lgkmcnt(0)
	s_delay_alu instid0(VALU_DEP_2) | instskip(SKIP_2) | instid1(VALU_DEP_2)
	v_dual_max_f32 v1, v1, v1 :: v_dual_lshlrev_b32 v78, 2, v2
	v_cndmask_b32_e32 v2, v39, v64, vcc_lo
	v_cmp_gt_i32_e32 vcc_lo, 32, v65
	v_dual_max_f32 v0, v0, v1 :: v_dual_lshlrev_b32 v79, 2, v2
	v_cndmask_b32_e32 v2, v39, v65, vcc_lo
	v_cmp_gt_i32_e32 vcc_lo, 32, v66
	ds_bpermute_b32 v1, v78, v0
	s_waitcnt lgkmcnt(0)
	v_dual_max_f32 v1, v1, v1 :: v_dual_lshlrev_b32 v68, 2, v2
	s_delay_alu instid0(VALU_DEP_1) | instskip(SKIP_3) | instid1(VALU_DEP_1)
	v_max_f32_e32 v0, v0, v1
	ds_bpermute_b32 v1, v79, v0
	s_waitcnt lgkmcnt(0)
	v_max_f32_e32 v1, v1, v1
	v_max_f32_e32 v0, v0, v1
	ds_bpermute_b32 v1, v68, v0
	s_waitcnt lgkmcnt(0)
	v_dual_max_f32 v1, v1, v1 :: v_dual_cndmask_b32 v2, v39, v66
	s_delay_alu instid0(VALU_DEP_1) | instskip(SKIP_2) | instid1(SALU_CYCLE_1)
	v_dual_max_f32 v71, v0, v1 :: v_dual_lshlrev_b32 v72, 2, v2
	ds_bpermute_b32 v73, v72, v71
	s_and_saveexec_b32 s20, s19
	s_xor_b32 s19, exec_lo, s20
	s_cbranch_execz .LBB74_19
; %bb.18:                               ;   in Loop: Header=BB74_9 Depth=1
	v_add_f32_e64 v0, |v35|, |v35|
	s_delay_alu instid0(VALU_DEP_1) | instskip(SKIP_1) | instid1(VALU_DEP_2)
	v_mul_f32_e32 v1, 0x3fb8aa3b, v0
	v_cmp_ngt_f32_e32 vcc_lo, 0xc2ce8ed0, v0
	v_rndne_f32_e32 v2, v1
	v_fma_f32 v3, 0x3fb8aa3b, v0, -v1
	s_delay_alu instid0(VALU_DEP_2) | instskip(NEXT) | instid1(VALU_DEP_2)
	v_sub_f32_e32 v1, v1, v2
	v_fmac_f32_e32 v3, 0x32a5705f, v0
	v_cvt_i32_f32_e32 v2, v2
	s_delay_alu instid0(VALU_DEP_2) | instskip(NEXT) | instid1(VALU_DEP_1)
	v_add_f32_e32 v1, v1, v3
	v_exp_f32_e32 v1, v1
	s_waitcnt_depctr 0xfff
	v_ldexp_f32 v1, v1, v2
	s_delay_alu instid0(VALU_DEP_1) | instskip(SKIP_1) | instid1(VALU_DEP_2)
	v_cndmask_b32_e32 v1, 0, v1, vcc_lo
	v_cmp_nlt_f32_e32 vcc_lo, 0x42b17218, v0
	v_cndmask_b32_e32 v0, 0x7f800000, v1, vcc_lo
	s_delay_alu instid0(VALU_DEP_1) | instskip(NEXT) | instid1(VALU_DEP_1)
	v_add_f32_e32 v0, 1.0, v0
	v_rcp_f32_e32 v0, v0
	s_waitcnt_depctr 0xfff
	v_fma_f32 v80, v0, -2.0, 1.0
.LBB74_19:                              ;   in Loop: Header=BB74_9 Depth=1
	s_and_not1_saveexec_b32 s19, s19
; %bb.20:                               ;   in Loop: Header=BB74_9 Depth=1
	v_mul_f32_e32 v0, v35, v35
	s_delay_alu instid0(VALU_DEP_1) | instskip(NEXT) | instid1(VALU_DEP_1)
	v_fmaak_f32 v1, s18, v0, 0x3ca908c9
	v_fmaak_f32 v1, v0, v1, 0xbd5c1c4e
	s_delay_alu instid0(VALU_DEP_1) | instskip(NEXT) | instid1(VALU_DEP_1)
	v_fmaak_f32 v1, v0, v1, 0x3e088382
	v_fmaak_f32 v1, v0, v1, 0xbeaaaa99
	s_delay_alu instid0(VALU_DEP_1) | instskip(NEXT) | instid1(VALU_DEP_1)
	v_mul_f32_e64 v1, |v35|, v1
	v_fma_f32 v80, v0, v1, |v35|
; %bb.21:                               ;   in Loop: Header=BB74_9 Depth=1
	s_or_b32 exec_lo, exec_lo, s19
	v_cmp_ngt_f32_e64 s19, 0x3f200000, |v36|
                                        ; implicit-def: $vgpr81
	s_delay_alu instid0(VALU_DEP_1) | instskip(NEXT) | instid1(SALU_CYCLE_1)
	s_and_saveexec_b32 s20, s19
	s_xor_b32 s19, exec_lo, s20
	s_cbranch_execz .LBB74_23
; %bb.22:                               ;   in Loop: Header=BB74_9 Depth=1
	v_add_f32_e64 v0, |v36|, |v36|
	s_delay_alu instid0(VALU_DEP_1) | instskip(SKIP_1) | instid1(VALU_DEP_2)
	v_mul_f32_e32 v1, 0x3fb8aa3b, v0
	v_cmp_ngt_f32_e32 vcc_lo, 0xc2ce8ed0, v0
	v_rndne_f32_e32 v2, v1
	v_fma_f32 v3, 0x3fb8aa3b, v0, -v1
	s_delay_alu instid0(VALU_DEP_2) | instskip(NEXT) | instid1(VALU_DEP_2)
	v_sub_f32_e32 v1, v1, v2
	v_fmac_f32_e32 v3, 0x32a5705f, v0
	v_cvt_i32_f32_e32 v2, v2
	s_delay_alu instid0(VALU_DEP_2) | instskip(NEXT) | instid1(VALU_DEP_1)
	v_add_f32_e32 v1, v1, v3
	v_exp_f32_e32 v1, v1
	s_waitcnt_depctr 0xfff
	v_ldexp_f32 v1, v1, v2
	s_delay_alu instid0(VALU_DEP_1) | instskip(SKIP_1) | instid1(VALU_DEP_2)
	v_cndmask_b32_e32 v1, 0, v1, vcc_lo
	v_cmp_nlt_f32_e32 vcc_lo, 0x42b17218, v0
	v_cndmask_b32_e32 v0, 0x7f800000, v1, vcc_lo
	s_delay_alu instid0(VALU_DEP_1) | instskip(NEXT) | instid1(VALU_DEP_1)
	v_add_f32_e32 v0, 1.0, v0
	v_rcp_f32_e32 v0, v0
	s_waitcnt_depctr 0xfff
	v_fma_f32 v81, v0, -2.0, 1.0
.LBB74_23:                              ;   in Loop: Header=BB74_9 Depth=1
	s_and_not1_saveexec_b32 s19, s19
; %bb.24:                               ;   in Loop: Header=BB74_9 Depth=1
	v_mul_f32_e32 v0, v36, v36
	s_delay_alu instid0(VALU_DEP_1) | instskip(NEXT) | instid1(VALU_DEP_1)
	v_fmaak_f32 v1, s18, v0, 0x3ca908c9
	v_fmaak_f32 v1, v0, v1, 0xbd5c1c4e
	s_delay_alu instid0(VALU_DEP_1) | instskip(NEXT) | instid1(VALU_DEP_1)
	v_fmaak_f32 v1, v0, v1, 0x3e088382
	v_fmaak_f32 v1, v0, v1, 0xbeaaaa99
	s_delay_alu instid0(VALU_DEP_1) | instskip(NEXT) | instid1(VALU_DEP_1)
	v_mul_f32_e64 v1, |v36|, v1
	v_fma_f32 v81, v0, v1, |v36|
; %bb.25:                               ;   in Loop: Header=BB74_9 Depth=1
	s_or_b32 exec_lo, exec_lo, s19
	s_mul_hi_i32 s21, s3, s10
	s_mul_i32 s20, s3, s10
	s_waitcnt lgkmcnt(0)
	s_lshl_b64 s[20:21], s[20:21], 2
	s_barrier
	s_add_u32 s19, s11, s20
	s_addc_u32 s20, s17, s21
	v_add_co_u32 v0, vcc_lo, s19, v27
	v_add_co_ci_u32_e32 v1, vcc_lo, s20, v28, vcc_lo
	v_add_co_u32 v2, vcc_lo, s19, v29
	v_add_co_ci_u32_e32 v3, vcc_lo, s20, v30, vcc_lo
	s_delay_alu instid0(VALU_DEP_4) | instskip(NEXT) | instid1(VALU_DEP_4)
	v_add_co_u32 v0, vcc_lo, v0, v55
	v_add_co_ci_u32_e32 v1, vcc_lo, 0, v1, vcc_lo
	s_delay_alu instid0(VALU_DEP_4) | instskip(NEXT) | instid1(VALU_DEP_4)
	v_add_co_u32 v4, vcc_lo, v2, v55
	v_add_co_ci_u32_e32 v5, vcc_lo, 0, v3, vcc_lo
	v_add_co_u32 v2, vcc_lo, s19, v31
	v_add_co_ci_u32_e32 v3, vcc_lo, s20, v32, vcc_lo
	;; [unrolled: 2-line block ×3, first 2 shown]
	s_delay_alu instid0(VALU_DEP_4) | instskip(NEXT) | instid1(VALU_DEP_4)
	v_add_co_u32 v8, vcc_lo, v2, v55
	v_add_co_ci_u32_e32 v9, vcc_lo, 0, v3, vcc_lo
	s_delay_alu instid0(VALU_DEP_4) | instskip(NEXT) | instid1(VALU_DEP_4)
	v_add_co_u32 v12, vcc_lo, v6, v55
	v_add_co_ci_u32_e32 v13, vcc_lo, 0, v7, vcc_lo
	buffer_gl0_inv
	s_clause 0x3
	global_load_b128 v[0:3], v[0:1], off
	global_load_b128 v[4:7], v[4:5], off
	global_load_b128 v[8:11], v[8:9], off
	global_load_b128 v[12:15], v[12:13], off
	v_cvt_f32_f16_e32 v75, v74
	v_cvt_f32_f16_e32 v74, v76
	v_bfi_b32 v35, 0x7fffffff, v80, v35
	v_bfi_b32 v36, 0x7fffffff, v81, v36
	v_max_f32_e32 v76, v73, v73
	s_or_b32 s19, s3, 32
	v_add_nc_u32_e32 v73, 0x800, v53
	s_delay_alu instid0(VALU_DEP_3) | instskip(SKIP_2) | instid1(VALU_DEP_1)
	v_dual_fmac_f32 v75, s8, v35 :: v_dual_fmac_f32 v74, s8, v36
	s_mul_hi_i32 s21, s19, s10
	s_mul_i32 s20, s19, s10
	v_dual_add_f32 v35, 0x40051340, v75 :: v_dual_add_f32 v36, 0x40051340, v74
	s_lshl_b64 s[20:21], s[20:21], 2
	s_delay_alu instid0(SALU_CYCLE_1) | instskip(SKIP_1) | instid1(VALU_DEP_1)
	s_add_u32 s19, s11, s20
	s_addc_u32 s20, s17, s21
	v_max3_f32 v35, v62, v35, v36
	ds_bpermute_b32 v36, v77, v35
	v_max_f32_e32 v77, v71, v71
	s_waitcnt lgkmcnt(0)
	v_dual_max_f32 v36, v36, v36 :: v_dual_add_nc_u32 v71, 0x1000, v53
	s_delay_alu instid0(VALU_DEP_1) | instskip(SKIP_4) | instid1(VALU_DEP_1)
	v_max_f32_e32 v35, v35, v36
	ds_bpermute_b32 v36, v78, v35
	v_add_nc_u32_e32 v78, v49, v37
	s_waitcnt lgkmcnt(0)
	v_max_f32_e32 v36, v36, v36
	v_max_f32_e32 v35, v35, v36
	ds_bpermute_b32 v36, v79, v35
	s_waitcnt lgkmcnt(0)
	v_max_f32_e32 v36, v36, v36
	s_delay_alu instid0(VALU_DEP_1) | instskip(SKIP_4) | instid1(VALU_DEP_1)
	v_max_f32_e32 v35, v35, v36
	ds_bpermute_b32 v36, v68, v35
	v_add_nc_u32_e32 v68, 0x1800, v53
	s_waitcnt lgkmcnt(0)
	v_max_f32_e32 v36, v36, v36
	v_max_f32_e32 v36, v35, v36
	;; [unrolled: 1-line block ×3, first 2 shown]
	v_add_co_u32 v76, vcc_lo, s19, v27
	v_add_co_ci_u32_e32 v77, vcc_lo, s20, v28, vcc_lo
	s_delay_alu instid0(VALU_DEP_3) | instskip(SKIP_2) | instid1(VALU_DEP_3)
	v_sub_f32_e32 v69, v69, v35
	v_add_co_u32 v79, vcc_lo, s19, v29
	v_add_co_ci_u32_e32 v80, vcc_lo, s20, v30, vcc_lo
	v_mul_f32_e32 v84, 0x3fb8aa3b, v69
	v_sub_f32_e32 v70, v70, v35
	v_add_co_u32 v81, vcc_lo, s19, v31
	v_add_co_ci_u32_e32 v82, vcc_lo, s20, v32, vcc_lo
	s_delay_alu instid0(VALU_DEP_3)
	v_mul_f32_e32 v83, 0x3fb8aa3b, v70
	ds_bpermute_b32 v72, v72, v36
	v_fma_f32 v88, 0x3fb8aa3b, v69, -v84
	v_rndne_f32_e32 v89, v84
	v_add_co_u32 v85, vcc_lo, s19, v33
	v_rndne_f32_e32 v87, v83
	s_delay_alu instid0(VALU_DEP_4) | instskip(NEXT) | instid1(VALU_DEP_4)
	v_fmac_f32_e32 v88, 0x32a5705f, v69
	v_sub_f32_e32 v84, v84, v89
	v_cvt_i32_f32_e32 v89, v89
	v_add_co_ci_u32_e32 v86, vcc_lo, s20, v34, vcc_lo
	v_add_co_u32 v159, vcc_lo, v76, v55
	s_delay_alu instid0(VALU_DEP_4) | instskip(SKIP_1) | instid1(VALU_DEP_2)
	v_add_f32_e32 v84, v84, v88
	v_add_co_ci_u32_e32 v160, vcc_lo, 0, v77, vcc_lo
	v_exp_f32_e32 v84, v84
	s_waitcnt lgkmcnt(0)
	v_max_f32_e32 v72, v72, v72
	s_delay_alu instid0(VALU_DEP_1) | instskip(SKIP_3) | instid1(VALU_DEP_1)
	v_max_f32_e32 v36, v36, v72
	s_waitcnt_depctr 0xfff
	v_ldexp_f32 v77, v84, v89
	v_sub_f32_e32 v90, v74, v36
	v_mul_f32_e32 v91, 0x3fb8aa3b, v90
	v_sub_f32_e32 v75, v75, v36
	v_fma_f32 v72, 0x3fb8aa3b, v70, -v83
	v_cmp_ngt_f32_e32 vcc_lo, 0xc2ce8ed0, v70
	s_delay_alu instid0(VALU_DEP_4)
	v_fma_f32 v93, 0x3fb8aa3b, v90, -v91
	v_sub_f32_e32 v74, v83, v87
	v_mul_f32_e32 v83, 0x3fb8aa3b, v75
	v_cvt_i32_f32_e32 v87, v87
	v_rndne_f32_e32 v94, v91
	v_fmac_f32_e32 v93, 0x32a5705f, v90
	s_delay_alu instid0(VALU_DEP_4) | instskip(SKIP_1) | instid1(VALU_DEP_4)
	v_rndne_f32_e32 v92, v83
	v_fmac_f32_e32 v72, 0x32a5705f, v70
	v_sub_f32_e32 v88, v91, v94
	v_cvt_i32_f32_e32 v84, v94
	s_delay_alu instid0(VALU_DEP_3) | instskip(SKIP_2) | instid1(VALU_DEP_3)
	v_add_f32_e32 v72, v74, v72
	v_fma_f32 v74, 0x3fb8aa3b, v75, -v83
	v_sub_f32_e32 v83, v83, v92
	v_exp_f32_e32 v72, v72
	s_delay_alu instid0(VALU_DEP_2) | instskip(NEXT) | instid1(VALU_DEP_1)
	v_fmac_f32_e32 v74, 0x32a5705f, v75
	v_dual_add_f32 v74, v83, v74 :: v_dual_add_f32 v83, v88, v93
	s_waitcnt_depctr 0xfff
	v_ldexp_f32 v72, v72, v87
	v_exp_f32_e32 v74, v74
	v_exp_f32_e32 v76, v83
	v_cvt_i32_f32_e32 v83, v92
	s_delay_alu instid0(VALU_DEP_2) | instskip(SKIP_3) | instid1(TRANS32_DEP_2)
	v_cndmask_b32_e32 v72, 0, v72, vcc_lo
	v_cmp_ngt_f32_e32 vcc_lo, 0xc2ce8ed0, v69
	v_cndmask_b32_e32 v77, 0, v77, vcc_lo
	v_cmp_nlt_f32_e32 vcc_lo, 0x42b17218, v70
	v_ldexp_f32 v74, v74, v83
	s_delay_alu instid0(TRANS32_DEP_1) | instskip(SKIP_2) | instid1(VALU_DEP_4)
	v_ldexp_f32 v76, v76, v84
	v_cndmask_b32_e32 v72, 0x7f800000, v72, vcc_lo
	v_cmp_ngt_f32_e32 vcc_lo, 0xc2ce8ed0, v75
	v_cndmask_b32_e32 v70, 0, v74, vcc_lo
	v_cmp_ngt_f32_e32 vcc_lo, 0xc2ce8ed0, v90
	v_cndmask_b32_e32 v76, 0, v76, vcc_lo
	v_cmp_nlt_f32_e32 vcc_lo, 0x42b17218, v69
	v_cndmask_b32_e32 v74, 0x7f800000, v77, vcc_lo
	v_cmp_nlt_f32_e32 vcc_lo, 0x42b17218, v75
	v_cvt_f16_f32_e32 v75, v72
	v_cndmask_b32_e32 v69, 0x7f800000, v70, vcc_lo
	v_cmp_nlt_f32_e32 vcc_lo, 0x42b17218, v90
	s_delay_alu instid0(VALU_DEP_2) | instskip(SKIP_4) | instid1(VALU_DEP_4)
	v_cvt_f16_f32_e32 v77, v69
	v_cndmask_b32_e32 v70, 0x7f800000, v76, vcc_lo
	v_add_co_u32 v163, vcc_lo, v79, v55
	v_cvt_f16_f32_e32 v76, v74
	v_add_co_ci_u32_e32 v164, vcc_lo, 0, v80, vcc_lo
	v_cvt_f16_f32_e32 v79, v70
	v_add_co_u32 v167, vcc_lo, v81, v55
	v_add_co_ci_u32_e32 v168, vcc_lo, 0, v82, vcc_lo
	v_pack_b32_f16 v76, v76, v77
	s_delay_alu instid0(VALU_DEP_4)
	v_pack_b32_f16 v75, v75, v79
	v_add_co_u32 v171, vcc_lo, v85, v55
	v_add_co_ci_u32_e32 v172, vcc_lo, 0, v86, vcc_lo
	ds_store_2addr_b32 v78, v76, v75 offset1:32
	s_waitcnt vmcnt(3)
	ds_store_b128 v47, v[0:3]
	s_waitcnt vmcnt(2)
	ds_store_b128 v50, v[4:7]
	;; [unrolled: 2-line block ×4, first 2 shown]
	s_waitcnt lgkmcnt(0)
	s_barrier
	buffer_gl0_inv
	ds_load_2addr_b64 v[2:5], v53 offset1:32
	ds_load_b128 v[6:9], v49
	ds_load_b128 v[10:13], v49 offset:16
	ds_load_b128 v[75:78], v49 offset:32
	ds_load_b128 v[79:82], v49 offset:48
	ds_load_2addr_b64 v[83:86], v53 offset0:64 offset1:96
	ds_load_2addr_b64 v[87:90], v53 offset0:128 offset1:160
	;; [unrolled: 1-line block ×3, first 2 shown]
	ds_load_2addr_b64 v[95:98], v73 offset1:32
	ds_load_2addr_b64 v[99:102], v73 offset0:64 offset1:96
	ds_load_2addr_b64 v[103:106], v73 offset0:128 offset1:160
	;; [unrolled: 1-line block ×3, first 2 shown]
	ds_load_2addr_b64 v[111:114], v71 offset1:32
	ds_load_2addr_b64 v[115:118], v71 offset0:64 offset1:96
	ds_load_2addr_b64 v[119:122], v71 offset0:128 offset1:160
	ds_load_b128 v[123:126], v49 offset:64
	ds_load_b128 v[127:130], v49 offset:80
	ds_load_2addr_b64 v[131:134], v71 offset0:192 offset1:224
	ds_load_2addr_b64 v[135:138], v68 offset1:32
	ds_load_2addr_b64 v[139:142], v68 offset0:64 offset1:96
	ds_load_2addr_b64 v[143:146], v68 offset0:128 offset1:160
	ds_load_b128 v[147:150], v49 offset:96
	ds_load_b128 v[151:154], v49 offset:112
	ds_load_2addr_b64 v[155:158], v68 offset0:192 offset1:224
	s_waitcnt lgkmcnt(0)
	s_barrier
	buffer_gl0_inv
	s_clause 0x3
	global_load_b128 v[159:162], v[159:160], off
	global_load_b128 v[163:166], v[163:164], off
	;; [unrolled: 1-line block ×4, first 2 shown]
	v_dual_sub_f32 v0, v62, v36 :: v_dual_sub_f32 v1, v61, v35
	s_waitcnt vmcnt(3)
	ds_store_b128 v47, v[159:162]
	s_waitcnt vmcnt(2)
	ds_store_b128 v50, v[163:166]
	;; [unrolled: 2-line block ×4, first 2 shown]
	v_dual_mul_f32 v14, 0x3fb8aa3b, v0 :: v_dual_mul_f32 v15, 0x3fb8aa3b, v1
	v_cmp_ngt_f32_e32 vcc_lo, 0xc2ce8ed0, v0
	s_waitcnt lgkmcnt(0)
	s_barrier
	s_delay_alu instid0(VALU_DEP_2)
	v_fma_f32 v61, 0x3fb8aa3b, v0, -v14
	v_rndne_f32_e32 v62, v14
	v_fma_f32 v175, 0x3fb8aa3b, v1, -v15
	v_rndne_f32_e32 v176, v15
	buffer_gl0_inv
	v_dual_fmac_f32 v61, 0x32a5705f, v0 :: v_dual_sub_f32 v14, v14, v62
	v_fmac_f32_e32 v175, 0x32a5705f, v1
	s_delay_alu instid0(VALU_DEP_2) | instskip(SKIP_1) | instid1(VALU_DEP_2)
	v_dual_sub_f32 v15, v15, v176 :: v_dual_add_f32 v14, v14, v61
	v_cvt_i32_f32_e32 v61, v62
	v_add_f32_e32 v15, v15, v175
	v_cvt_i32_f32_e32 v62, v176
	s_delay_alu instid0(VALU_DEP_4) | instskip(NEXT) | instid1(VALU_DEP_2)
	v_exp_f32_e32 v14, v14
	v_exp_f32_e32 v15, v15
	s_waitcnt_depctr 0xfff
	v_ldexp_f32 v14, v14, v61
	v_pk_mul_f16 v61, v2, v6 op_sel_hi:[1,0]
	v_ldexp_f32 v15, v15, v62
	v_pk_mul_f16 v2, v2, v6 op_sel:[0,1]
	v_pk_mul_f16 v62, v3, v6 op_sel_hi:[1,0]
	v_cndmask_b32_e32 v14, 0, v14, vcc_lo
	v_cmp_ngt_f32_e32 vcc_lo, 0xc2ce8ed0, v1
	v_cndmask_b32_e32 v15, 0, v15, vcc_lo
	v_cmp_nlt_f32_e32 vcc_lo, 0x42b17218, v0
	s_delay_alu instid0(VALU_DEP_4) | instskip(SKIP_1) | instid1(VALU_DEP_2)
	v_cndmask_b32_e32 v0, 0x7f800000, v14, vcc_lo
	v_cmp_nlt_f32_e32 vcc_lo, 0x42b17218, v1
	v_cvt_f16_f32_e32 v14, v0
	v_cndmask_b32_e32 v1, 0x7f800000, v15, vcc_lo
	s_delay_alu instid0(VALU_DEP_2) | instskip(NEXT) | instid1(VALU_DEP_2)
	v_pk_mul_f16 v48, v14, v48 op_sel_hi:[0,1]
	v_cvt_f16_f32_e32 v15, v1
	v_pk_fma_f16 v2, v56, v14, v2 op_sel_hi:[1,0,1]
	s_delay_alu instid0(VALU_DEP_3) | instskip(NEXT) | instid1(VALU_DEP_3)
	v_pk_fma_f16 v3, v3, v6, v48 op_sel:[0,1,0]
	v_pk_fma_f16 v6, v15, v59, v61 op_sel_hi:[0,1,1]
	v_pk_fma_f16 v14, v15, v60, v62 op_sel_hi:[0,1,1]
	s_delay_alu instid0(VALU_DEP_4) | instskip(NEXT) | instid1(VALU_DEP_4)
	v_pk_fma_f16 v2, v4, v7, v2 op_sel:[0,1,0]
	v_pk_fma_f16 v3, v5, v7, v3 op_sel:[0,1,0]
	s_delay_alu instid0(VALU_DEP_4) | instskip(NEXT) | instid1(VALU_DEP_4)
	v_pk_fma_f16 v6, v4, v7, v6 op_sel_hi:[1,0,1]
	v_pk_fma_f16 v4, v5, v7, v14 op_sel_hi:[1,0,1]
	s_delay_alu instid0(VALU_DEP_4) | instskip(NEXT) | instid1(VALU_DEP_4)
	v_pk_fma_f16 v2, v83, v8, v2 op_sel:[0,1,0]
	v_pk_fma_f16 v3, v84, v8, v3 op_sel:[0,1,0]
	s_delay_alu instid0(VALU_DEP_4) | instskip(NEXT) | instid1(VALU_DEP_4)
	;; [unrolled: 6-line block ×27, first 2 shown]
	v_pk_fma_f16 v5, v141, v150, v5 op_sel_hi:[1,0,1]
	v_pk_fma_f16 v11, v142, v150, v4 op_sel_hi:[1,0,1]
	s_delay_alu instid0(VALU_DEP_4) | instskip(NEXT) | instid1(VALU_DEP_4)
	v_pk_fma_f16 v10, v143, v151, v10 op_sel:[0,1,0]
	v_pk_fma_f16 v12, v144, v151, v3 op_sel:[0,1,0]
	s_delay_alu instid0(VALU_DEP_4)
	v_pk_fma_f16 v13, v143, v151, v5 op_sel_hi:[1,0,1]
	ds_load_2addr_b64 v[2:5], v53 offset1:32
	ds_load_b128 v[6:9], v49 offset:128
	v_pk_fma_f16 v11, v144, v151, v11 op_sel_hi:[1,0,1]
	v_pk_fma_f16 v14, v145, v152, v10 op_sel:[0,1,0]
	v_pk_fma_f16 v12, v146, v152, v12 op_sel:[0,1,0]
	v_pk_fma_f16 v13, v145, v152, v13 op_sel_hi:[1,0,1]
	s_delay_alu instid0(VALU_DEP_4) | instskip(NEXT) | instid1(VALU_DEP_4)
	v_pk_fma_f16 v15, v146, v152, v11 op_sel_hi:[1,0,1]
	v_pk_fma_f16 v14, v155, v153, v14 op_sel:[0,1,0]
	s_delay_alu instid0(VALU_DEP_4) | instskip(NEXT) | instid1(VALU_DEP_4)
	v_pk_fma_f16 v48, v156, v153, v12 op_sel:[0,1,0]
	v_pk_fma_f16 v56, v155, v153, v13 op_sel_hi:[1,0,1]
	ds_load_2addr_b64 v[10:13], v53 offset0:64 offset1:96
	v_pk_fma_f16 v15, v156, v153, v15 op_sel_hi:[1,0,1]
	v_pk_fma_f16 v14, v157, v154, v14 op_sel:[0,1,0]
	v_pk_fma_f16 v48, v158, v154, v48 op_sel:[0,1,0]
	v_pk_fma_f16 v56, v157, v154, v56 op_sel_hi:[1,0,1]
	ds_load_b128 v[59:62], v49 offset:144
	ds_load_2addr_b64 v[75:78], v53 offset0:128 offset1:160
	v_pk_fma_f16 v15, v158, v154, v15 op_sel_hi:[1,0,1]
	ds_load_2addr_b64 v[79:82], v73 offset1:32
	ds_load_2addr_b64 v[83:86], v73 offset0:128 offset1:160
	ds_load_2addr_b64 v[87:90], v68 offset0:192 offset1:224
	s_waitcnt lgkmcnt(6)
	v_pk_fma_f16 v56, v2, v6, v56 op_sel_hi:[1,0,1]
	v_pk_fma_f16 v2, v2, v6, v14 op_sel:[0,1,0]
	v_pk_fma_f16 v14, v3, v6, v15 op_sel_hi:[1,0,1]
	v_pk_fma_f16 v3, v3, v6, v48 op_sel:[0,1,0]
	s_delay_alu instid0(VALU_DEP_4) | instskip(NEXT) | instid1(VALU_DEP_4)
	v_pk_fma_f16 v6, v4, v7, v56 op_sel_hi:[1,0,1]
	v_pk_fma_f16 v15, v4, v7, v2 op_sel:[0,1,0]
	s_delay_alu instid0(VALU_DEP_4) | instskip(NEXT) | instid1(VALU_DEP_4)
	v_pk_fma_f16 v14, v5, v7, v14 op_sel_hi:[1,0,1]
	v_pk_fma_f16 v7, v5, v7, v3 op_sel:[0,1,0]
	ds_load_2addr_b64 v[2:5], v53 offset0:192 offset1:224
	s_waitcnt lgkmcnt(6)
	v_pk_fma_f16 v6, v10, v8, v6 op_sel_hi:[1,0,1]
	v_pk_fma_f16 v10, v10, v8, v15 op_sel:[0,1,0]
	v_pk_fma_f16 v14, v11, v8, v14 op_sel_hi:[1,0,1]
	v_pk_fma_f16 v7, v11, v8, v7 op_sel:[0,1,0]
	s_delay_alu instid0(VALU_DEP_4) | instskip(NEXT) | instid1(VALU_DEP_4)
	v_pk_fma_f16 v6, v12, v9, v6 op_sel_hi:[1,0,1]
	v_pk_fma_f16 v10, v12, v9, v10 op_sel:[0,1,0]
	s_delay_alu instid0(VALU_DEP_4) | instskip(NEXT) | instid1(VALU_DEP_4)
	v_pk_fma_f16 v11, v13, v9, v14 op_sel_hi:[1,0,1]
	v_pk_fma_f16 v12, v13, v9, v7 op_sel:[0,1,0]
	s_waitcnt lgkmcnt(4)
	v_pk_fma_f16 v13, v75, v59, v6 op_sel_hi:[1,0,1]
	ds_load_b128 v[6:9], v49 offset:160
	v_pk_fma_f16 v14, v75, v59, v10 op_sel:[0,1,0]
	v_pk_fma_f16 v15, v76, v59, v11 op_sel_hi:[1,0,1]
	v_pk_fma_f16 v48, v76, v59, v12 op_sel:[0,1,0]
	v_pk_fma_f16 v56, v77, v60, v13 op_sel_hi:[1,0,1]
	ds_load_2addr_b64 v[10:13], v73 offset0:64 offset1:96
	v_pk_fma_f16 v14, v77, v60, v14 op_sel:[0,1,0]
	v_pk_fma_f16 v15, v78, v60, v15 op_sel_hi:[1,0,1]
	v_pk_fma_f16 v48, v78, v60, v48 op_sel:[0,1,0]
	ds_load_b128 v[75:78], v49 offset:176
	s_waitcnt lgkmcnt(3)
	v_pk_fma_f16 v56, v2, v61, v56 op_sel_hi:[1,0,1]
	v_pk_fma_f16 v2, v2, v61, v14 op_sel:[0,1,0]
	v_pk_fma_f16 v14, v3, v61, v15 op_sel_hi:[1,0,1]
	v_pk_fma_f16 v3, v3, v61, v48 op_sel:[0,1,0]
	s_delay_alu instid0(VALU_DEP_4) | instskip(NEXT) | instid1(VALU_DEP_4)
	v_pk_fma_f16 v15, v4, v62, v56 op_sel_hi:[1,0,1]
	v_pk_fma_f16 v2, v4, v62, v2 op_sel:[0,1,0]
	s_delay_alu instid0(VALU_DEP_4) | instskip(NEXT) | instid1(VALU_DEP_4)
	v_pk_fma_f16 v4, v5, v62, v14 op_sel_hi:[1,0,1]
	v_pk_fma_f16 v3, v5, v62, v3 op_sel:[0,1,0]
	ds_load_2addr_b64 v[59:62], v71 offset1:32
	s_waitcnt lgkmcnt(3)
	v_pk_fma_f16 v5, v79, v6, v15 op_sel_hi:[1,0,1]
	v_pk_fma_f16 v2, v79, v6, v2 op_sel:[0,1,0]
	v_pk_fma_f16 v4, v80, v6, v4 op_sel_hi:[1,0,1]
	v_pk_fma_f16 v3, v80, v6, v3 op_sel:[0,1,0]
	s_delay_alu instid0(VALU_DEP_4) | instskip(NEXT) | instid1(VALU_DEP_4)
	v_pk_fma_f16 v5, v81, v7, v5 op_sel_hi:[1,0,1]
	v_pk_fma_f16 v6, v81, v7, v2 op_sel:[0,1,0]
	s_delay_alu instid0(VALU_DEP_4) | instskip(NEXT) | instid1(VALU_DEP_4)
	v_pk_fma_f16 v14, v82, v7, v4 op_sel_hi:[1,0,1]
	v_pk_fma_f16 v7, v82, v7, v3 op_sel:[0,1,0]
	ds_load_2addr_b64 v[79:82], v71 offset0:128 offset1:160
	s_waitcnt lgkmcnt(3)
	v_pk_fma_f16 v15, v10, v8, v5 op_sel_hi:[1,0,1]
	ds_load_2addr_b64 v[2:5], v73 offset0:192 offset1:224
	v_pk_fma_f16 v6, v10, v8, v6 op_sel:[0,1,0]
	v_pk_fma_f16 v10, v11, v8, v14 op_sel_hi:[1,0,1]
	v_pk_fma_f16 v7, v11, v8, v7 op_sel:[0,1,0]
	v_pk_fma_f16 v8, v12, v9, v15 op_sel_hi:[1,0,1]
	s_delay_alu instid0(VALU_DEP_4) | instskip(NEXT) | instid1(VALU_DEP_4)
	v_pk_fma_f16 v11, v12, v9, v6 op_sel:[0,1,0]
	v_pk_fma_f16 v10, v13, v9, v10 op_sel_hi:[1,0,1]
	s_delay_alu instid0(VALU_DEP_4)
	v_pk_fma_f16 v12, v13, v9, v7 op_sel:[0,1,0]
	s_waitcnt lgkmcnt(3)
	v_pk_fma_f16 v13, v83, v75, v8 op_sel_hi:[1,0,1]
	ds_load_b128 v[6:9], v49 offset:192
	v_pk_fma_f16 v14, v83, v75, v11 op_sel:[0,1,0]
	v_pk_fma_f16 v15, v84, v75, v10 op_sel_hi:[1,0,1]
	v_pk_fma_f16 v48, v84, v75, v12 op_sel:[0,1,0]
	v_pk_fma_f16 v56, v85, v76, v13 op_sel_hi:[1,0,1]
	ds_load_2addr_b64 v[10:13], v71 offset0:64 offset1:96
	v_pk_fma_f16 v14, v85, v76, v14 op_sel:[0,1,0]
	v_pk_fma_f16 v15, v86, v76, v15 op_sel_hi:[1,0,1]
	v_pk_fma_f16 v48, v86, v76, v48 op_sel:[0,1,0]
	ds_load_b128 v[83:86], v49 offset:208
	s_waitcnt lgkmcnt(3)
	v_pk_fma_f16 v56, v2, v77, v56 op_sel_hi:[1,0,1]
	v_pk_fma_f16 v2, v2, v77, v14 op_sel:[0,1,0]
	v_pk_fma_f16 v14, v3, v77, v15 op_sel_hi:[1,0,1]
	v_pk_fma_f16 v3, v3, v77, v48 op_sel:[0,1,0]
	s_delay_alu instid0(VALU_DEP_4) | instskip(NEXT) | instid1(VALU_DEP_4)
	v_pk_fma_f16 v15, v4, v78, v56 op_sel_hi:[1,0,1]
	v_pk_fma_f16 v2, v4, v78, v2 op_sel:[0,1,0]
	s_delay_alu instid0(VALU_DEP_4) | instskip(NEXT) | instid1(VALU_DEP_4)
	v_pk_fma_f16 v14, v5, v78, v14 op_sel_hi:[1,0,1]
	v_pk_fma_f16 v3, v5, v78, v3 op_sel:[0,1,0]
	v_add_f32_e32 v4, v74, v72
	s_waitcnt lgkmcnt(2)
	v_pk_fma_f16 v5, v59, v6, v15 op_sel_hi:[1,0,1]
	v_pk_fma_f16 v2, v59, v6, v2 op_sel:[0,1,0]
	v_pk_fma_f16 v14, v60, v6, v14 op_sel_hi:[1,0,1]
	v_pk_fma_f16 v3, v60, v6, v3 op_sel:[0,1,0]
	ds_load_2addr_b64 v[71:74], v71 offset0:192 offset1:224
	v_pk_fma_f16 v5, v61, v7, v5 op_sel_hi:[1,0,1]
	v_pk_fma_f16 v2, v61, v7, v2 op_sel:[0,1,0]
	v_pk_fma_f16 v6, v62, v7, v14 op_sel_hi:[1,0,1]
	v_pk_fma_f16 v3, v62, v7, v3 op_sel:[0,1,0]
	ds_load_2addr_b64 v[59:62], v68 offset1:32
	s_waitcnt lgkmcnt(3)
	v_pk_fma_f16 v5, v10, v8, v5 op_sel_hi:[1,0,1]
	v_pk_fma_f16 v2, v10, v8, v2 op_sel:[0,1,0]
	v_pk_fma_f16 v10, v11, v8, v6 op_sel_hi:[1,0,1]
	v_pk_fma_f16 v3, v11, v8, v3 op_sel:[0,1,0]
	ds_load_2addr_b64 v[75:78], v68 offset0:128 offset1:160
	v_pk_fma_f16 v11, v12, v9, v5 op_sel_hi:[1,0,1]
	v_pk_fma_f16 v2, v12, v9, v2 op_sel:[0,1,0]
	v_pk_fma_f16 v14, v13, v9, v10 op_sel_hi:[1,0,1]
	v_pk_fma_f16 v3, v13, v9, v3 op_sel:[0,1,0]
	ds_load_2addr_b64 v[5:8], v68 offset0:64 offset1:96
	s_waitcnt lgkmcnt(4)
	v_pk_fma_f16 v13, v79, v83, v11 op_sel_hi:[1,0,1]
	ds_load_b128 v[9:12], v49 offset:224
	v_pk_fma_f16 v2, v79, v83, v2 op_sel:[0,1,0]
	v_pk_fma_f16 v14, v80, v83, v14 op_sel_hi:[1,0,1]
	v_pk_fma_f16 v3, v80, v83, v3 op_sel:[0,1,0]
	v_pk_fma_f16 v13, v81, v84, v13 op_sel_hi:[1,0,1]
	v_fmac_f32_e32 v4, v58, v1
	v_pk_fma_f16 v2, v81, v84, v2 op_sel:[0,1,0]
	v_pk_fma_f16 v14, v82, v84, v14 op_sel_hi:[1,0,1]
	v_pk_fma_f16 v3, v82, v84, v3 op_sel:[0,1,0]
	ds_load_b128 v[79:82], v49 offset:240
	s_waitcnt lgkmcnt(5)
	v_pk_fma_f16 v13, v71, v85, v13 op_sel_hi:[1,0,1]
	v_pk_fma_f16 v2, v71, v85, v2 op_sel:[0,1,0]
	v_pk_fma_f16 v14, v72, v85, v14 op_sel_hi:[1,0,1]
	v_pk_fma_f16 v3, v72, v85, v3 op_sel:[0,1,0]
	s_waitcnt lgkmcnt(0)
	v_pk_fma_f16 v13, v73, v86, v13 op_sel_hi:[1,0,1]
	v_pk_fma_f16 v2, v73, v86, v2 op_sel:[0,1,0]
	v_pk_fma_f16 v14, v74, v86, v14 op_sel_hi:[1,0,1]
	v_pk_fma_f16 v3, v74, v86, v3 op_sel:[0,1,0]
	s_barrier
	v_pk_fma_f16 v13, v59, v9, v13 op_sel_hi:[1,0,1]
	v_pk_fma_f16 v2, v59, v9, v2 op_sel:[0,1,0]
	v_pk_fma_f16 v14, v60, v9, v14 op_sel_hi:[1,0,1]
	v_pk_fma_f16 v3, v60, v9, v3 op_sel:[0,1,0]
	buffer_gl0_inv
	v_pk_fma_f16 v9, v61, v10, v13 op_sel_hi:[1,0,1]
	v_pk_fma_f16 v2, v61, v10, v2 op_sel:[0,1,0]
	v_pk_fma_f16 v13, v62, v10, v14 op_sel_hi:[1,0,1]
	v_pk_fma_f16 v3, v62, v10, v3 op_sel:[0,1,0]
	s_load_b32 s19, s[4:5], 0x4
	v_pk_fma_f16 v9, v5, v11, v9 op_sel_hi:[1,0,1]
	v_pk_fma_f16 v2, v5, v11, v2 op_sel:[0,1,0]
	v_pk_fma_f16 v5, v6, v11, v13 op_sel_hi:[1,0,1]
	v_pk_fma_f16 v3, v6, v11, v3 op_sel:[0,1,0]
	s_delay_alu instid0(VALU_DEP_4) | instskip(NEXT) | instid1(VALU_DEP_4)
	v_pk_fma_f16 v6, v7, v12, v9 op_sel_hi:[1,0,1]
	v_pk_fma_f16 v2, v7, v12, v2 op_sel:[0,1,0]
	s_delay_alu instid0(VALU_DEP_4) | instskip(NEXT) | instid1(VALU_DEP_4)
	;; [unrolled: 3-line block ×4, first 2 shown]
	v_pk_fma_f16 v6, v76, v79, v5 op_sel_hi:[1,0,1]
	v_pk_fma_f16 v3, v76, v79, v3 op_sel:[0,1,0]
	v_add_f32_e32 v5, v69, v70
	v_pk_fma_f16 v1, v77, v80, v1 op_sel_hi:[1,0,1]
	v_pk_fma_f16 v2, v77, v80, v2 op_sel:[0,1,0]
	v_pk_fma_f16 v6, v78, v80, v6 op_sel_hi:[1,0,1]
	v_pk_fma_f16 v3, v78, v80, v3 op_sel:[0,1,0]
	v_fmac_f32_e32 v5, v57, v0
	v_pk_fma_f16 v0, v87, v81, v1 op_sel_hi:[1,0,1]
	v_pk_fma_f16 v1, v87, v81, v2 op_sel:[0,1,0]
	v_pk_fma_f16 v2, v88, v81, v6 op_sel_hi:[1,0,1]
	v_pk_fma_f16 v3, v88, v81, v3 op_sel:[0,1,0]
	s_waitcnt lgkmcnt(0)
	s_lshl_b32 s19, s19, 6
	v_pk_fma_f16 v59, v89, v82, v0 op_sel_hi:[1,0,1]
	v_pk_fma_f16 v56, v89, v82, v1 op_sel:[0,1,0]
	v_pk_fma_f16 v60, v90, v82, v2 op_sel_hi:[1,0,1]
	v_pk_fma_f16 v48, v90, v82, v3 op_sel:[0,1,0]
	s_add_i32 s3, s19, s3
	s_delay_alu instid0(SALU_CYCLE_1)
	s_cmp_ge_i32 s3, s2
	s_cbranch_scc1 .LBB74_27
; %bb.26:                               ;   in Loop: Header=BB74_9 Depth=1
	v_dual_mov_b32 v61, v35 :: v_dual_mov_b32 v62, v36
	v_dual_mov_b32 v58, v4 :: v_dual_mov_b32 v57, v5
	s_branch .LBB74_9
.LBB74_27:
	v_mov_b32_e32 v0, v39
.LBB74_28:
	v_cmp_lt_i32_e32 vcc_lo, v67, v40
	s_cmp_lg_u64 s[24:25], 0
	s_cselect_b32 s2, -1, 0
	s_cmp_eq_u32 s14, 0
	v_cndmask_b32_e32 v1, v0, v67, vcc_lo
	v_cmp_lt_i32_e32 vcc_lo, v63, v40
	s_cselect_b32 s3, -1, 0
	s_delay_alu instid0(SALU_CYCLE_1) | instskip(NEXT) | instid1(VALU_DEP_2)
	s_and_b32 s2, s3, s2
	v_lshlrev_b32_e32 v1, 2, v1
	v_cndmask_b32_e32 v3, v0, v63, vcc_lo
	v_cmp_lt_i32_e32 vcc_lo, v64, v40
	ds_bpermute_b32 v2, v1, v4
	s_waitcnt lgkmcnt(0)
	v_dual_add_f32 v2, v4, v2 :: v_dual_lshlrev_b32 v3, 2, v3
	ds_bpermute_b32 v1, v1, v5
	ds_bpermute_b32 v4, v3, v2
	s_waitcnt lgkmcnt(0)
	v_dual_add_f32 v2, v2, v4 :: v_dual_add_f32 v1, v5, v1
	v_cndmask_b32_e32 v5, v0, v64, vcc_lo
	v_cmp_lt_i32_e32 vcc_lo, v65, v40
	ds_bpermute_b32 v3, v3, v1
	v_lshlrev_b32_e32 v5, 2, v5
	s_waitcnt lgkmcnt(0)
	v_add_f32_e32 v1, v1, v3
	ds_bpermute_b32 v3, v5, v2
	ds_bpermute_b32 v4, v5, v1
	v_cndmask_b32_e32 v5, v0, v65, vcc_lo
	v_cmp_lt_i32_e32 vcc_lo, v66, v40
	s_delay_alu instid0(VALU_DEP_2) | instskip(SKIP_2) | instid1(VALU_DEP_1)
	v_dual_cndmask_b32 v0, v0, v66 :: v_dual_lshlrev_b32 v5, 2, v5
	s_and_b32 vcc_lo, exec_lo, s2
	s_mov_b32 s2, 0
	v_lshlrev_b32_e32 v0, 2, v0
	s_waitcnt lgkmcnt(0)
	v_dual_add_f32 v2, v2, v3 :: v_dual_add_f32 v1, v1, v4
	ds_bpermute_b32 v3, v5, v2
	ds_bpermute_b32 v4, v5, v1
	s_waitcnt lgkmcnt(0)
	v_dual_add_f32 v2, v2, v3 :: v_dual_add_f32 v1, v1, v4
	ds_bpermute_b32 v3, v0, v2
	ds_bpermute_b32 v4, v0, v1
	s_waitcnt lgkmcnt(0)
	v_dual_add_f32 v0, v2, v3 :: v_dual_add_f32 v1, v1, v4
	v_add_nc_u32_e32 v4, s15, v38
	s_cbranch_vccnz .LBB74_30
; %bb.29:
	s_delay_alu instid0(VALU_DEP_2) | instskip(NEXT) | instid1(VALU_DEP_3)
	v_mov_b32_e32 v3, v1
	v_dual_mov_b32 v2, v0 :: v_dual_add_nc_u32 v5, s15, v38
	s_and_not1_b32 vcc_lo, exec_lo, s2
	s_cbranch_vccz .LBB74_31
	s_branch .LBB74_32
.LBB74_30:
                                        ; implicit-def: $vgpr5
                                        ; implicit-def: $vgpr2_vgpr3
.LBB74_31:
	s_delay_alu instid0(VALU_DEP_1) | instskip(NEXT) | instid1(VALU_DEP_1)
	v_ashrrev_i32_e32 v5, 31, v4
	v_lshlrev_b64 v[2:3], 2, v[4:5]
	s_delay_alu instid0(VALU_DEP_1) | instskip(NEXT) | instid1(VALU_DEP_2)
	v_add_co_u32 v2, vcc_lo, s24, v2
	v_add_co_ci_u32_e32 v3, vcc_lo, s25, v3, vcc_lo
	global_load_b64 v[2:3], v[2:3], off
	v_max_f32_e32 v5, v35, v35
	s_waitcnt vmcnt(0)
	v_dual_max_f32 v7, v36, v36 :: v_dual_max_f32 v8, v3, v3
	s_delay_alu instid0(VALU_DEP_1) | instskip(NEXT) | instid1(VALU_DEP_1)
	v_dual_max_f32 v6, v2, v2 :: v_dual_max_f32 v7, v7, v8
	v_dual_max_f32 v6, v5, v6 :: v_dual_sub_f32 v9, v36, v7
	s_delay_alu instid0(VALU_DEP_1) | instskip(SKIP_1) | instid1(VALU_DEP_3)
	v_sub_f32_e32 v8, v35, v6
	v_dual_sub_f32 v2, v2, v6 :: v_dual_sub_f32 v3, v3, v7
	v_dual_mov_b32 v36, v7 :: v_dual_mul_f32 v11, 0x3fb8aa3b, v9
	s_delay_alu instid0(VALU_DEP_2) | instskip(NEXT) | instid1(VALU_DEP_3)
	v_dual_mul_f32 v5, 0x3fb8aa3b, v8 :: v_dual_mul_f32 v10, 0x3fb8aa3b, v2
	v_mul_f32_e32 v12, 0x3fb8aa3b, v3
	v_cmp_ngt_f32_e32 vcc_lo, 0xc2ce8ed0, v8
	s_delay_alu instid0(VALU_DEP_4) | instskip(NEXT) | instid1(VALU_DEP_4)
	v_fma_f32 v19, 0x3fb8aa3b, v9, -v11
	v_fma_f32 v13, 0x3fb8aa3b, v8, -v5
	v_rndne_f32_e32 v14, v5
	v_fma_f32 v21, 0x3fb8aa3b, v3, -v12
	v_rndne_f32_e32 v22, v12
	v_fma_f32 v15, 0x3fb8aa3b, v2, -v10
	v_rndne_f32_e32 v18, v10
	v_fmac_f32_e32 v19, 0x32a5705f, v9
	s_delay_alu instid0(VALU_DEP_4) | instskip(NEXT) | instid1(VALU_DEP_3)
	v_dual_fmac_f32 v21, 0x32a5705f, v3 :: v_dual_sub_f32 v12, v12, v22
	v_dual_fmac_f32 v13, 0x32a5705f, v8 :: v_dual_sub_f32 v10, v10, v18
	v_fmac_f32_e32 v15, 0x32a5705f, v2
	v_rndne_f32_e32 v20, v11
	s_delay_alu instid0(VALU_DEP_4) | instskip(SKIP_1) | instid1(VALU_DEP_4)
	v_dual_add_f32 v12, v12, v21 :: v_dual_sub_f32 v5, v5, v14
	v_cvt_i32_f32_e32 v14, v14
	v_add_f32_e32 v10, v10, v15
	v_cvt_i32_f32_e32 v15, v18
	s_delay_alu instid0(VALU_DEP_4) | instskip(SKIP_4) | instid1(VALU_DEP_3)
	v_exp_f32_e32 v12, v12
	v_add_f32_e32 v5, v5, v13
	v_cvt_i32_f32_e32 v18, v20
	v_exp_f32_e32 v10, v10
	v_mov_b32_e32 v35, v6
	v_exp_f32_e32 v13, v5
	v_mov_b32_e32 v5, v4
	s_waitcnt_depctr 0xfff
	v_ldexp_f32 v10, v10, v15
	v_ldexp_f32 v4, v13, v14
	s_delay_alu instid0(VALU_DEP_1) | instskip(SKIP_1) | instid1(VALU_DEP_4)
	v_cndmask_b32_e32 v4, 0, v4, vcc_lo
	v_cmp_ngt_f32_e32 vcc_lo, 0xc2ce8ed0, v2
	v_dual_sub_f32 v11, v11, v20 :: v_dual_cndmask_b32 v10, 0, v10
	s_delay_alu instid0(VALU_DEP_1) | instskip(SKIP_2) | instid1(VALU_DEP_3)
	v_add_f32_e32 v11, v11, v19
	v_cvt_i32_f32_e32 v19, v22
	v_cmp_ngt_f32_e32 vcc_lo, 0xc2ce8ed0, v9
	v_exp_f32_e32 v11, v11
	s_delay_alu instid0(VALU_DEP_2) | instskip(SKIP_2) | instid1(VALU_DEP_1)
	v_ldexp_f32 v12, v12, v19
	s_waitcnt_depctr 0xfff
	v_ldexp_f32 v11, v11, v18
	v_cndmask_b32_e32 v11, 0, v11, vcc_lo
	v_cmp_ngt_f32_e32 vcc_lo, 0xc2ce8ed0, v3
	v_cndmask_b32_e32 v12, 0, v12, vcc_lo
	v_cmp_nlt_f32_e32 vcc_lo, 0x42b17218, v8
	v_cndmask_b32_e32 v4, 0x7f800000, v4, vcc_lo
	v_cmp_nlt_f32_e32 vcc_lo, 0x42b17218, v2
	;; [unrolled: 2-line block ×3, first 2 shown]
	s_delay_alu instid0(VALU_DEP_4) | instskip(NEXT) | instid1(VALU_DEP_3)
	v_cvt_f16_f32_e32 v9, v4
	v_fmac_f32_e32 v2, v0, v4
	v_cndmask_b32_e32 v8, 0x7f800000, v11, vcc_lo
	v_cmp_nlt_f32_e32 vcc_lo, 0x42b17218, v3
	s_delay_alu instid0(VALU_DEP_4) | instskip(SKIP_4) | instid1(VALU_DEP_2)
	v_pk_mul_f16 v59, v9, v59 op_sel_hi:[0,1]
	v_pk_mul_f16 v60, v9, v60 op_sel_hi:[0,1]
	v_mov_b32_e32 v0, v2
	v_cvt_f16_f32_e32 v6, v8
	v_cndmask_b32_e32 v3, 0x7f800000, v12, vcc_lo
	v_pk_mul_f16 v56, v6, v56 op_sel_hi:[0,1]
	s_delay_alu instid0(VALU_DEP_2) | instskip(SKIP_1) | instid1(VALU_DEP_2)
	v_fmac_f32_e32 v3, v1, v8
	v_pk_mul_f16 v48, v6, v48 op_sel_hi:[0,1]
	v_mov_b32_e32 v1, v3
.LBB74_32:
	s_load_b32 s1, s[0:1], 0xd4
	v_mov_b32_e32 v6, 1.0
	s_waitcnt lgkmcnt(0)
	s_cmp_lg_u32 s1, 1
	s_cselect_b32 s3, -1, 0
	s_cmp_eq_u32 s1, 1
	s_cselect_b32 s2, -1, 0
	s_and_b32 vcc_lo, exec_lo, s3
	s_cbranch_vccnz .LBB74_34
; %bb.33:
	v_div_scale_f32 v4, null, v0, v0, 1.0
	s_delay_alu instid0(VALU_DEP_1) | instskip(SKIP_2) | instid1(VALU_DEP_1)
	v_rcp_f32_e32 v6, v4
	s_waitcnt_depctr 0xfff
	v_fma_f32 v7, -v4, v6, 1.0
	v_fmac_f32_e32 v6, v7, v6
	v_div_scale_f32 v7, vcc_lo, 1.0, v0, 1.0
	s_delay_alu instid0(VALU_DEP_1) | instskip(NEXT) | instid1(VALU_DEP_1)
	v_mul_f32_e32 v8, v7, v6
	v_fma_f32 v9, -v4, v8, v7
	s_delay_alu instid0(VALU_DEP_1) | instskip(NEXT) | instid1(VALU_DEP_1)
	v_fmac_f32_e32 v8, v9, v6
	v_fma_f32 v4, -v4, v8, v7
	s_delay_alu instid0(VALU_DEP_1) | instskip(NEXT) | instid1(VALU_DEP_1)
	v_div_fmas_f32 v4, v4, v6, v8
	v_div_fixup_f32 v6, v4, v0, 1.0
.LBB74_34:
	v_mad_u64_u32 v[7:8], null, s12, s6, v[16:17]
	v_lshrrev_b32_e32 v0, 16, v59
	v_cvt_f32_f16_e32 v10, v60
	v_cmp_eq_u32_e32 vcc_lo, 0, v17
	s_delay_alu instid0(VALU_DEP_3) | instskip(SKIP_2) | instid1(VALU_DEP_2)
	v_cvt_f32_f16_e32 v0, v0
	v_mad_u64_u32 v[8:9], null, v7, s7, v[5:6]
	v_cvt_f32_f16_e32 v9, v59
	v_mad_u64_u32 v[4:5], null, s1, v8, s[14:15]
	v_mov_b32_e32 v8, 0
	v_lshrrev_b32_e32 v5, 16, v60
	s_delay_alu instid0(VALU_DEP_1) | instskip(NEXT) | instid1(VALU_DEP_4)
	v_cvt_f32_f16_e32 v5, v5
	v_lshl_add_u32 v7, v4, 7, v37
	s_delay_alu instid0(VALU_DEP_1)
	v_lshlrev_b64 v[11:12], 2, v[7:8]
	v_mul_f32_e32 v7, v6, v9
	v_mul_f32_e32 v9, v6, v10
	;; [unrolled: 1-line block ×4, first 2 shown]
	v_add_co_u32 v5, s0, s28, v11
	s_delay_alu instid0(VALU_DEP_1)
	v_add_co_ci_u32_e64 v6, s0, s29, v12, s0
	s_and_b32 s0, vcc_lo, s3
	global_store_b128 v[5:6], v[7:10], off
	s_and_saveexec_b32 s3, s0
	s_cbranch_execz .LBB74_36
; %bb.35:
	v_ashrrev_i32_e32 v5, 31, v4
	v_dual_mov_b32 v7, v35 :: v_dual_mov_b32 v8, v2
	s_delay_alu instid0(VALU_DEP_2) | instskip(NEXT) | instid1(VALU_DEP_1)
	v_lshlrev_b64 v[5:6], 3, v[4:5]
	v_add_co_u32 v5, vcc_lo, s30, v5
	s_delay_alu instid0(VALU_DEP_2)
	v_add_co_ci_u32_e32 v6, vcc_lo, s31, v6, vcc_lo
	global_store_b64 v[5:6], v[7:8], off
.LBB74_36:
	s_or_b32 exec_lo, exec_lo, s3
	v_mov_b32_e32 v2, 1.0
	s_and_not1_b32 vcc_lo, exec_lo, s2
	s_cbranch_vccnz .LBB74_38
; %bb.37:
	v_div_scale_f32 v0, null, v1, v1, 1.0
	s_delay_alu instid0(VALU_DEP_1) | instskip(SKIP_2) | instid1(VALU_DEP_1)
	v_rcp_f32_e32 v2, v0
	s_waitcnt_depctr 0xfff
	v_fma_f32 v5, -v0, v2, 1.0
	v_fmac_f32_e32 v2, v5, v2
	v_div_scale_f32 v5, vcc_lo, 1.0, v1, 1.0
	s_delay_alu instid0(VALU_DEP_1) | instskip(NEXT) | instid1(VALU_DEP_1)
	v_mul_f32_e32 v6, v5, v2
	v_fma_f32 v7, -v0, v6, v5
	s_delay_alu instid0(VALU_DEP_1) | instskip(NEXT) | instid1(VALU_DEP_1)
	v_fmac_f32_e32 v6, v7, v2
	v_fma_f32 v0, -v0, v6, v5
	s_delay_alu instid0(VALU_DEP_1) | instskip(NEXT) | instid1(VALU_DEP_1)
	v_div_fmas_f32 v0, v0, v2, v6
	v_div_fixup_f32 v2, v0, v1, 1.0
.LBB74_38:
	v_dual_mov_b32 v5, 0 :: v_dual_add_nc_u32 v0, s1, v4
	v_lshrrev_b32_e32 v1, 16, v56
	v_lshrrev_b32_e32 v6, 16, v48
	v_cvt_f32_f16_e32 v7, v56
	s_delay_alu instid0(VALU_DEP_4) | instskip(SKIP_3) | instid1(VALU_DEP_4)
	v_lshl_add_u32 v4, v0, 7, v37
	v_cvt_f32_f16_e32 v10, v48
	v_cvt_f32_f16_e32 v1, v1
	;; [unrolled: 1-line block ×3, first 2 shown]
	v_lshlrev_b64 v[8:9], 2, v[4:5]
	v_mul_f32_e32 v4, v2, v7
	s_delay_alu instid0(VALU_DEP_4)
	v_mul_f32_e32 v5, v2, v1
	v_mul_f32_e32 v6, v2, v10
	;; [unrolled: 1-line block ×3, first 2 shown]
	v_add_co_u32 v1, vcc_lo, s28, v8
	v_add_co_ci_u32_e32 v2, vcc_lo, s29, v9, vcc_lo
	global_store_b128 v[1:2], v[4:7], off
	s_and_saveexec_b32 s1, s0
	s_cbranch_execz .LBB74_40
; %bb.39:
	v_ashrrev_i32_e32 v1, 31, v0
	v_mov_b32_e32 v2, v36
	s_delay_alu instid0(VALU_DEP_2) | instskip(NEXT) | instid1(VALU_DEP_1)
	v_lshlrev_b64 v[0:1], 3, v[0:1]
	v_add_co_u32 v0, vcc_lo, s30, v0
	s_delay_alu instid0(VALU_DEP_2)
	v_add_co_ci_u32_e32 v1, vcc_lo, s31, v1, vcc_lo
	global_store_b64 v[0:1], v[2:3], off
.LBB74_40:
	s_nop 0
	s_sendmsg sendmsg(MSG_DEALLOC_VGPRS)
	s_endpgm
	.section	.rodata,"a",@progbits
	.p2align	6, 0x0
	.amdhsa_kernel _ZL15flash_attn_tileILi128ELi128ELi1ELi8ELb1EEvPKcS1_S1_S1_S1_PKiPfP15HIP_vector_typeIfLj2EEffffjfiS5_IjLj3EEiiiiiiiiiiiliiliiiiil
		.amdhsa_group_segment_fixed_size 12288
		.amdhsa_private_segment_fixed_size 0
		.amdhsa_kernarg_size 464
		.amdhsa_user_sgpr_count 13
		.amdhsa_user_sgpr_dispatch_ptr 0
		.amdhsa_user_sgpr_queue_ptr 0
		.amdhsa_user_sgpr_kernarg_segment_ptr 1
		.amdhsa_user_sgpr_dispatch_id 0
		.amdhsa_user_sgpr_private_segment_size 0
		.amdhsa_wavefront_size32 1
		.amdhsa_uses_dynamic_stack 0
		.amdhsa_enable_private_segment 0
		.amdhsa_system_sgpr_workgroup_id_x 1
		.amdhsa_system_sgpr_workgroup_id_y 1
		.amdhsa_system_sgpr_workgroup_id_z 1
		.amdhsa_system_sgpr_workgroup_info 0
		.amdhsa_system_vgpr_workitem_id 1
		.amdhsa_next_free_vgpr 177
		.amdhsa_next_free_sgpr 40
		.amdhsa_reserve_vcc 1
		.amdhsa_float_round_mode_32 0
		.amdhsa_float_round_mode_16_64 0
		.amdhsa_float_denorm_mode_32 3
		.amdhsa_float_denorm_mode_16_64 3
		.amdhsa_dx10_clamp 1
		.amdhsa_ieee_mode 1
		.amdhsa_fp16_overflow 0
		.amdhsa_workgroup_processor_mode 1
		.amdhsa_memory_ordered 1
		.amdhsa_forward_progress 0
		.amdhsa_shared_vgpr_count 0
		.amdhsa_exception_fp_ieee_invalid_op 0
		.amdhsa_exception_fp_denorm_src 0
		.amdhsa_exception_fp_ieee_div_zero 0
		.amdhsa_exception_fp_ieee_overflow 0
		.amdhsa_exception_fp_ieee_underflow 0
		.amdhsa_exception_fp_ieee_inexact 0
		.amdhsa_exception_int_div_zero 0
	.end_amdhsa_kernel
	.section	.text._ZL15flash_attn_tileILi128ELi128ELi1ELi8ELb1EEvPKcS1_S1_S1_S1_PKiPfP15HIP_vector_typeIfLj2EEffffjfiS5_IjLj3EEiiiiiiiiiiiliiliiiiil,"axG",@progbits,_ZL15flash_attn_tileILi128ELi128ELi1ELi8ELb1EEvPKcS1_S1_S1_S1_PKiPfP15HIP_vector_typeIfLj2EEffffjfiS5_IjLj3EEiiiiiiiiiiiliiliiiiil,comdat
.Lfunc_end74:
	.size	_ZL15flash_attn_tileILi128ELi128ELi1ELi8ELb1EEvPKcS1_S1_S1_S1_PKiPfP15HIP_vector_typeIfLj2EEffffjfiS5_IjLj3EEiiiiiiiiiiiliiliiiiil, .Lfunc_end74-_ZL15flash_attn_tileILi128ELi128ELi1ELi8ELb1EEvPKcS1_S1_S1_S1_PKiPfP15HIP_vector_typeIfLj2EEffffjfiS5_IjLj3EEiiiiiiiiiiiliiliiiiil
                                        ; -- End function
	.section	.AMDGPU.csdata,"",@progbits
; Kernel info:
; codeLenInByte = 14960
; NumSgprs: 42
; NumVgprs: 177
; ScratchSize: 0
; MemoryBound: 0
; FloatMode: 240
; IeeeMode: 1
; LDSByteSize: 12288 bytes/workgroup (compile time only)
; SGPRBlocks: 5
; VGPRBlocks: 22
; NumSGPRsForWavesPerEU: 42
; NumVGPRsForWavesPerEU: 177
; Occupancy: 8
; WaveLimiterHint : 1
; COMPUTE_PGM_RSRC2:SCRATCH_EN: 0
; COMPUTE_PGM_RSRC2:USER_SGPR: 13
; COMPUTE_PGM_RSRC2:TRAP_HANDLER: 0
; COMPUTE_PGM_RSRC2:TGID_X_EN: 1
; COMPUTE_PGM_RSRC2:TGID_Y_EN: 1
; COMPUTE_PGM_RSRC2:TGID_Z_EN: 1
; COMPUTE_PGM_RSRC2:TIDIG_COMP_CNT: 1
	.section	.text._ZL15flash_attn_tileILi128ELi128ELi16ELi4ELb1EEvPKcS1_S1_S1_S1_PKiPfP15HIP_vector_typeIfLj2EEffffjfiS5_IjLj3EEiiiiiiiiiiiliiliiiiil,"axG",@progbits,_ZL15flash_attn_tileILi128ELi128ELi16ELi4ELb1EEvPKcS1_S1_S1_S1_PKiPfP15HIP_vector_typeIfLj2EEffffjfiS5_IjLj3EEiiiiiiiiiiiliiliiiiil,comdat
	.globl	_ZL15flash_attn_tileILi128ELi128ELi16ELi4ELb1EEvPKcS1_S1_S1_S1_PKiPfP15HIP_vector_typeIfLj2EEffffjfiS5_IjLj3EEiiiiiiiiiiiliiliiiiil ; -- Begin function _ZL15flash_attn_tileILi128ELi128ELi16ELi4ELb1EEvPKcS1_S1_S1_S1_PKiPfP15HIP_vector_typeIfLj2EEffffjfiS5_IjLj3EEiiiiiiiiiiiliiliiiiil
	.p2align	8
	.type	_ZL15flash_attn_tileILi128ELi128ELi16ELi4ELb1EEvPKcS1_S1_S1_S1_PKiPfP15HIP_vector_typeIfLj2EEffffjfiS5_IjLj3EEiiiiiiiiiiiliiliiiiil,@function
_ZL15flash_attn_tileILi128ELi128ELi16ELi4ELb1EEvPKcS1_S1_S1_S1_PKiPfP15HIP_vector_typeIfLj2EEffffjfiS5_IjLj3EEiiiiiiiiiiiliiliiiiil: ; @_ZL15flash_attn_tileILi128ELi128ELi16ELi4ELb1EEvPKcS1_S1_S1_S1_PKiPfP15HIP_vector_typeIfLj2EEffffjfiS5_IjLj3EEiiiiiiiiiiiliiliiiiil
; %bb.0:
	s_clause 0x3
	s_load_b128 s[4:7], s[0:1], 0x5c
	s_load_b64 s[34:35], s[0:1], 0x80
	s_load_b512 s[16:31], s[0:1], 0x0
	s_load_b64 s[38:39], s[0:1], 0xb8
	s_mov_b64 s[36:37], 0
	s_waitcnt lgkmcnt(0)
	s_ashr_i32 s2, s7, 31
	s_delay_alu instid0(SALU_CYCLE_1) | instskip(NEXT) | instid1(SALU_CYCLE_1)
	s_lshr_b32 s2, s2, 30
	s_add_i32 s2, s7, s2
	s_delay_alu instid0(SALU_CYCLE_1) | instskip(NEXT) | instid1(SALU_CYCLE_1)
	s_ashr_i32 s2, s2, 2
	v_cvt_f32_u32_e32 v1, s2
	s_sub_i32 s8, 0, s2
	s_delay_alu instid0(VALU_DEP_1) | instskip(SKIP_2) | instid1(VALU_DEP_1)
	v_rcp_iflag_f32_e32 v1, v1
	s_waitcnt_depctr 0xfff
	v_mul_f32_e32 v1, 0x4f7ffffe, v1
	v_cvt_u32_f32_e32 v1, v1
	s_delay_alu instid0(VALU_DEP_1) | instskip(NEXT) | instid1(VALU_DEP_1)
	v_readfirstlane_b32 s3, v1
	s_mul_i32 s8, s8, s3
	s_delay_alu instid0(SALU_CYCLE_1) | instskip(NEXT) | instid1(SALU_CYCLE_1)
	s_mul_hi_u32 s8, s3, s8
	s_add_i32 s3, s3, s8
	s_delay_alu instid0(SALU_CYCLE_1) | instskip(NEXT) | instid1(SALU_CYCLE_1)
	s_mul_hi_u32 s3, s15, s3
	s_mul_i32 s8, s3, s2
	s_add_i32 s9, s3, 1
	s_sub_i32 s8, s15, s8
	s_delay_alu instid0(SALU_CYCLE_1)
	s_sub_i32 s10, s8, s2
	s_cmp_ge_u32 s8, s2
	s_cselect_b32 s3, s9, s3
	s_cselect_b32 s8, s10, s8
	s_add_i32 s9, s3, 1
	s_cmp_ge_u32 s8, s2
	s_cselect_b32 s12, s9, s3
	s_abs_i32 s3, s35
	s_abs_i32 s11, s7
	v_cvt_f32_u32_e32 v1, s3
	s_sub_i32 s8, 0, s3
	s_lshl_b32 s9, s15, 2
	s_mul_i32 s10, s12, s7
	s_delay_alu instid0(VALU_DEP_1) | instskip(SKIP_2) | instid1(VALU_DEP_1)
	v_rcp_iflag_f32_e32 v1, v1
	s_waitcnt_depctr 0xfff
	v_mul_f32_e32 v1, 0x4f7ffffe, v1
	v_cvt_u32_f32_e32 v1, v1
	s_delay_alu instid0(VALU_DEP_1) | instskip(NEXT) | instid1(VALU_DEP_1)
	v_readfirstlane_b32 s2, v1
	s_mul_i32 s8, s8, s2
	s_delay_alu instid0(SALU_CYCLE_1) | instskip(NEXT) | instid1(SALU_CYCLE_1)
	s_mul_hi_u32 s8, s2, s8
	s_add_i32 s8, s2, s8
	s_sub_i32 s2, s9, s10
	s_mul_hi_u32 s8, s11, s8
	s_xor_b32 s9, s7, s35
	s_mul_i32 s10, s8, s3
	s_ashr_i32 s9, s9, 31
	s_sub_i32 s10, s11, s10
	s_add_i32 s11, s8, 1
	s_sub_i32 s15, s10, s3
	s_cmp_ge_u32 s10, s3
	s_cselect_b32 s8, s11, s8
	s_cselect_b32 s10, s15, s10
	s_add_i32 s11, s8, 1
	s_cmp_ge_u32 s10, s3
	s_cselect_b32 s3, s11, s8
	s_delay_alu instid0(SALU_CYCLE_1) | instskip(NEXT) | instid1(SALU_CYCLE_1)
	s_xor_b32 s3, s3, s9
	s_sub_i32 s35, s3, s9
	s_delay_alu instid0(SALU_CYCLE_1) | instskip(SKIP_2) | instid1(VALU_DEP_1)
	s_abs_i32 s33, s35
	s_cmp_eq_u64 s[22:23], 0
	v_cvt_f32_u32_e32 v1, s33
	v_rcp_iflag_f32_e32 v1, v1
	s_waitcnt_depctr 0xfff
	v_mul_f32_e32 v1, 0x4f7ffffe, v1
	s_delay_alu instid0(VALU_DEP_1) | instskip(NEXT) | instid1(VALU_DEP_1)
	v_cvt_u32_f32_e32 v1, v1
	v_readfirstlane_b32 s40, v1
	s_cbranch_scc1 .LBB75_2
; %bb.1:
	s_abs_i32 s3, s38
	s_abs_i32 s10, s12
	v_cvt_f32_u32_e32 v1, s3
	s_sub_i32 s9, 0, s3
	s_delay_alu instid0(VALU_DEP_1) | instskip(SKIP_2) | instid1(VALU_DEP_1)
	v_rcp_iflag_f32_e32 v1, v1
	s_waitcnt_depctr 0xfff
	v_mul_f32_e32 v1, 0x4f7ffffe, v1
	v_cvt_u32_f32_e32 v1, v1
	s_delay_alu instid0(VALU_DEP_1) | instskip(NEXT) | instid1(VALU_DEP_1)
	v_readfirstlane_b32 s8, v1
	s_mul_i32 s9, s9, s8
	s_delay_alu instid0(SALU_CYCLE_1) | instskip(NEXT) | instid1(SALU_CYCLE_1)
	s_mul_hi_u32 s9, s8, s9
	s_add_i32 s11, s8, s9
	s_load_b64 s[8:9], s[0:1], 0xc8
	s_mul_hi_u32 s11, s10, s11
	s_delay_alu instid0(SALU_CYCLE_1) | instskip(NEXT) | instid1(SALU_CYCLE_1)
	s_mul_i32 s11, s11, s3
	s_sub_i32 s10, s10, s11
	s_ashr_i32 s11, s12, 31
	s_sub_i32 s15, s10, s3
	s_cmp_ge_u32 s10, s3
	s_cselect_b32 s10, s15, s10
	s_delay_alu instid0(SALU_CYCLE_1) | instskip(SKIP_2) | instid1(SALU_CYCLE_1)
	s_sub_i32 s15, s10, s3
	s_cmp_ge_u32 s10, s3
	s_cselect_b32 s3, s15, s10
	s_xor_b32 s3, s3, s11
	s_delay_alu instid0(SALU_CYCLE_1)
	s_sub_i32 s3, s3, s11
	s_waitcnt lgkmcnt(0)
	s_mul_i32 s9, s3, s9
	s_mul_hi_u32 s10, s3, s8
	s_ashr_i32 s11, s3, 31
	s_add_i32 s9, s10, s9
	s_mul_i32 s11, s11, s8
	s_mul_i32 s3, s3, s8
	s_add_i32 s9, s9, s11
	s_add_u32 s36, s22, s3
	s_addc_u32 s37, s23, s9
.LBB75_2:
	v_bfe_u32 v8, v0, 10, 10
	s_lshl_b32 s15, s13, 4
	s_load_b128 s[8:11], s[0:1], 0x70
	v_and_b32_e32 v35, 0x3ff, v0
	s_delay_alu instid0(VALU_DEP_2) | instskip(SKIP_1) | instid1(VALU_DEP_3)
	v_lshlrev_b32_e32 v24, 1, v8
	v_lshlrev_b32_e32 v0, 3, v8
	;; [unrolled: 1-line block ×3, first 2 shown]
	s_delay_alu instid0(VALU_DEP_3) | instskip(NEXT) | instid1(VALU_DEP_3)
	v_add_nc_u32_e32 v25, s15, v24
	v_or_b32_e32 v52, 4, v0
	v_or_b32_e32 v53, 5, v0
	;; [unrolled: 1-line block ×4, first 2 shown]
	v_mul_hi_u32 v1, v25, s4
	v_lshrrev_b32_e32 v33, 2, v52
	v_lshrrev_b32_e32 v30, 2, v53
	;; [unrolled: 1-line block ×4, first 2 shown]
	s_delay_alu instid0(VALU_DEP_4)
	v_add_nc_u32_e32 v34, s15, v33
	s_waitcnt lgkmcnt(0)
	s_mul_i32 s3, s12, s10
	v_add_nc_u32_e32 v1, v25, v1
	s_mul_i32 s10, s2, s9
	s_ashr_i32 s11, s3, 31
	s_add_u32 s3, s16, s3
	s_addc_u32 s11, s17, s11
	v_lshrrev_b32_e32 v0, s5, v1
	s_ashr_i32 s16, s10, 31
	s_add_u32 s3, s3, s10
	s_addc_u32 s22, s11, s16
	s_ashr_i32 s23, s8, 31
	v_mul_lo_u32 v0, v0, s6
	v_alignbit_b32 v19, s23, s8, 2
	v_mul_hi_u32 v2, v34, s4
	s_mov_b32 s10, s9
	s_ashr_i32 s11, s9, 31
	s_and_b32 s8, s9, -4
	s_lshr_b64 s[16:17], s[10:11], 2
	s_lshr_b32 s10, s23, 2
	v_sub_nc_u32_e32 v9, v25, v0
	v_alignbit_b32 v4, s11, s9, 2
	v_add_nc_u32_e32 v5, v34, v2
	v_add_nc_u32_e32 v31, s15, v30
	s_add_u32 s23, s3, s8
	v_mad_u64_u32 v[0:1], null, v19, v9, 0
	v_mul_hi_u32 v6, v4, 12
	s_addc_u32 s38, s22, s11
	s_lshl_b64 s[8:9], s[16:17], 3
	v_add_nc_u32_e32 v29, s15, v28
	s_add_u32 s8, s3, s8
	s_addc_u32 s9, s22, s9
	s_delay_alu instid0(VALU_DEP_3)
	v_mad_u64_u32 v[2:3], null, s10, v9, v[1:2]
	v_lshrrev_b32_e32 v3, s5, v5
	v_mul_hi_u32 v5, v31, s4
	s_lshr_b32 s11, s11, 2
	v_mul_lo_u32 v17, v4, 12
	s_mul_i32 s11, s11, 12
	v_mul_hi_u32 v22, v29, s4
	v_mov_b32_e32 v1, v2
	v_mul_lo_u32 v2, v3, s6
	v_add_nc_u32_e32 v20, s11, v6
	v_add_nc_u32_e32 v18, v31, v5
	v_add_nc_u32_e32 v27, s15, v26
	v_lshlrev_b64 v[10:11], 2, v[0:1]
	s_cmp_eq_u64 s[26:27], 0
	s_delay_alu instid0(VALU_DEP_3) | instskip(SKIP_2) | instid1(VALU_DEP_4)
	v_lshrrev_b32_e32 v18, s5, v18
	v_sub_nc_u32_e32 v21, v34, v2
	v_mul_hi_u32 v23, v27, s4
	v_add_co_u32 v0, vcc_lo, s3, v10
	v_add_co_ci_u32_e32 v1, vcc_lo, s22, v11, vcc_lo
	v_add_co_u32 v2, vcc_lo, s23, v10
	v_add_co_ci_u32_e32 v3, vcc_lo, s38, v11, vcc_lo
	;; [unrolled: 2-line block ×5, first 2 shown]
	v_add_co_u32 v13, vcc_lo, v6, v12
	v_mad_u64_u32 v[15:16], null, v19, v21, 0
	v_add_co_ci_u32_e32 v14, vcc_lo, 0, v7, vcc_lo
	v_add_co_u32 v45, vcc_lo, s3, v17
	v_add_co_ci_u32_e32 v46, vcc_lo, s22, v20, vcc_lo
	v_add_nc_u32_e32 v20, v29, v22
	v_mul_lo_u32 v22, v18, s6
	v_mad_u64_u32 v[17:18], null, s10, v21, v[16:17]
	s_clause 0x1
	global_load_b128 v[0:3], v[0:1], off
	global_load_b128 v[4:7], v[4:5], off
	v_lshrrev_b32_e32 v18, s5, v20
	v_add_co_u32 v20, vcc_lo, v45, v10
	v_add_co_ci_u32_e32 v21, vcc_lo, v46, v11, vcc_lo
	v_sub_nc_u32_e32 v32, v31, v22
	v_add_nc_u32_e32 v22, v27, v23
	v_mul_lo_u32 v23, v18, s6
	v_mov_b32_e32 v16, v17
	v_add_co_u32 v17, vcc_lo, v20, v12
	s_delay_alu instid0(VALU_DEP_4) | instskip(SKIP_1) | instid1(VALU_DEP_4)
	v_lshrrev_b32_e32 v22, s5, v22
	v_mad_u64_u32 v[10:11], null, v19, v32, 0
	v_lshlrev_b64 v[15:16], 2, v[15:16]
	v_sub_nc_u32_e32 v20, v29, v23
	s_delay_alu instid0(VALU_DEP_4) | instskip(SKIP_1) | instid1(VALU_DEP_3)
	v_mul_lo_u32 v23, v22, s6
	v_add_co_ci_u32_e32 v18, vcc_lo, 0, v21, vcc_lo
	v_mad_u64_u32 v[21:22], null, v19, v20, 0
	v_add_co_u32 v36, vcc_lo, s3, v15
	s_delay_alu instid0(VALU_DEP_4) | instskip(SKIP_2) | instid1(VALU_DEP_3)
	v_sub_nc_u32_e32 v38, v27, v23
	v_add_co_ci_u32_e32 v37, vcc_lo, s22, v16, vcc_lo
	v_mad_u64_u32 v[15:16], null, s10, v32, v[11:12]
	v_mad_u64_u32 v[40:41], null, v19, v38, 0
	v_mov_b32_e32 v16, v22
	s_load_b32 s3, s[0:1], 0x40
	s_delay_alu instid0(VALU_DEP_3) | instskip(NEXT) | instid1(VALU_DEP_2)
	v_mov_b32_e32 v11, v15
	v_mad_u64_u32 v[42:43], null, s10, v20, v[16:17]
	s_delay_alu instid0(VALU_DEP_4)
	v_mov_b32_e32 v32, v41
	s_clause 0x1
	global_load_b128 v[13:16], v[13:14], off
	global_load_b128 v[17:20], v[17:18], off
	v_lshlrev_b64 v[10:11], 2, v[10:11]
	v_mad_u64_u32 v[43:44], null, s10, v38, v[32:33]
	s_delay_alu instid0(VALU_DEP_1) | instskip(SKIP_2) | instid1(VALU_DEP_3)
	v_mov_b32_e32 v41, v43
	v_add_co_u32 v22, vcc_lo, v36, v12
	v_add_co_ci_u32_e32 v23, vcc_lo, 0, v37, vcc_lo
	v_lshlrev_b64 v[40:41], 2, v[40:41]
	global_load_b128 v[36:39], v[22:23], off
	v_mov_b32_e32 v22, v42
	v_add_co_u32 v23, vcc_lo, s23, v10
	v_add_co_ci_u32_e32 v32, vcc_lo, s38, v11, vcc_lo
	s_delay_alu instid0(VALU_DEP_3) | instskip(NEXT) | instid1(VALU_DEP_3)
	v_lshlrev_b64 v[10:11], 2, v[21:22]
	v_add_co_u32 v21, vcc_lo, v23, v12
	s_delay_alu instid0(VALU_DEP_3) | instskip(NEXT) | instid1(VALU_DEP_3)
	v_add_co_ci_u32_e32 v22, vcc_lo, 0, v32, vcc_lo
	v_add_co_u32 v10, vcc_lo, s8, v10
	s_delay_alu instid0(VALU_DEP_4) | instskip(SKIP_2) | instid1(VALU_DEP_4)
	v_add_co_ci_u32_e32 v11, vcc_lo, s9, v11, vcc_lo
	v_add_co_u32 v23, vcc_lo, v45, v40
	v_add_co_ci_u32_e32 v32, vcc_lo, v46, v41, vcc_lo
	v_add_co_u32 v10, vcc_lo, v10, v12
	s_delay_alu instid0(VALU_DEP_4) | instskip(NEXT) | instid1(VALU_DEP_4)
	v_add_co_ci_u32_e32 v11, vcc_lo, 0, v11, vcc_lo
	v_add_co_u32 v48, vcc_lo, v23, v12
	s_delay_alu instid0(VALU_DEP_4)
	v_add_co_ci_u32_e32 v49, vcc_lo, 0, v32, vcc_lo
	s_clause 0x2
	global_load_b128 v[40:43], v[21:22], off
	global_load_b128 v[44:47], v[10:11], off
	;; [unrolled: 1-line block ×3, first 2 shown]
	v_lshlrev_b32_e32 v10, 1, v35
	v_lshlrev_b32_e32 v21, 6, v52
	;; [unrolled: 1-line block ×6, first 2 shown]
	v_add_lshl_u32 v57, v21, v10, 2
	v_add_lshl_u32 v58, v22, v10, 2
	;; [unrolled: 1-line block ×4, first 2 shown]
	v_lshl_or_b32 v56, v8, 11, v11
	s_waitcnt vmcnt(7) lgkmcnt(0)
	v_fma_mixlo_f16 v10, v0, s3, 0
	v_fma_mixlo_f16 v11, v2, s3, 0
	s_waitcnt vmcnt(6)
	v_fma_mixlo_f16 v21, v4, s3, 0
	v_fma_mixlo_f16 v22, v6, s3, 0
	v_fma_mixhi_f16 v10, v1, s3, 0
	v_fma_mixhi_f16 v11, v3, s3, 0
	s_delay_alu instid0(VALU_DEP_4) | instskip(NEXT) | instid1(VALU_DEP_4)
	v_fma_mixhi_f16 v21, v5, s3, 0
	v_fma_mixhi_f16 v22, v7, s3, 0
	ds_store_2addr_b64 v56, v[10:11], v[21:22] offset1:32
	s_waitcnt vmcnt(5)
	v_fma_mixlo_f16 v52, v13, s3, 0
	v_fma_mixlo_f16 v53, v15, s3, 0
	s_waitcnt vmcnt(4)
	v_fma_mixlo_f16 v54, v17, s3, 0
	v_fma_mixlo_f16 v55, v19, s3, 0
	v_fma_mixhi_f16 v52, v14, s3, 0
	v_fma_mixhi_f16 v53, v16, s3, 0
	s_delay_alu instid0(VALU_DEP_4) | instskip(NEXT) | instid1(VALU_DEP_4)
	v_fma_mixhi_f16 v54, v18, s3, 0
	v_fma_mixhi_f16 v55, v20, s3, 0
	s_waitcnt vmcnt(3)
	v_fma_mixlo_f16 v0, v36, s3, 0
	v_fma_mixlo_f16 v1, v38, s3, 0
	s_delay_alu instid0(VALU_DEP_2) | instskip(NEXT) | instid1(VALU_DEP_2)
	v_fma_mixhi_f16 v0, v37, s3, 0
	v_fma_mixhi_f16 v1, v39, s3, 0
	s_waitcnt vmcnt(2)
	v_fma_mixlo_f16 v2, v40, s3, 0
	v_fma_mixlo_f16 v3, v42, s3, 0
	s_waitcnt vmcnt(1)
	v_fma_mixlo_f16 v4, v44, s3, 0
	v_fma_mixlo_f16 v5, v46, s3, 0
	;; [unrolled: 3-line block ×3, first 2 shown]
	v_fma_mixhi_f16 v3, v43, s3, 0
	v_fma_mixhi_f16 v2, v41, s3, 0
	v_fma_mixhi_f16 v5, v47, s3, 0
	v_fma_mixhi_f16 v4, v45, s3, 0
	v_fma_mixhi_f16 v7, v51, s3, 0
	v_fma_mixhi_f16 v6, v49, s3, 0
	ds_store_2addr_b64 v56, v[52:53], v[54:55] offset0:64 offset1:96
	ds_store_b64 v57, v[0:1]
	ds_store_b64 v58, v[2:3]
	;; [unrolled: 1-line block ×4, first 2 shown]
	s_waitcnt lgkmcnt(0)
	s_barrier
	buffer_gl0_inv
	s_cbranch_scc1 .LBB75_4
; %bb.3:
	s_load_b32 s3, s[0:1], 0xd0
	s_mov_b32 s9, 0
	s_waitcnt lgkmcnt(0)
	s_mul_i32 s3, s3, s12
	s_delay_alu instid0(SALU_CYCLE_1) | instskip(NEXT) | instid1(SALU_CYCLE_1)
	s_add_i32 s8, s3, s13
	s_lshl_b64 s[8:9], s[8:9], 2
	s_delay_alu instid0(SALU_CYCLE_1)
	s_add_u32 s8, s26, s8
	s_addc_u32 s9, s27, s9
	s_load_b32 s34, s[8:9], 0x0
.LBB75_4:
	v_mbcnt_lo_u32_b32 v17, -1, 0
	s_lshl_b32 s3, s14, 6
	s_waitcnt lgkmcnt(0)
	s_cmp_lt_i32 s3, s34
	s_cbranch_scc1 .LBB75_6
; %bb.5:
	v_mbcnt_lo_u32_b32 v10, -1, 0
	v_mov_b32_e32 v16, 32
	s_mov_b32 s8, 0
	s_mov_b32 s9, 0xfeffffff
	s_delay_alu instid0(VALU_DEP_2)
	v_xor_b32_e32 v80, 16, v10
	v_xor_b32_e32 v79, 8, v10
	;; [unrolled: 1-line block ×5, first 2 shown]
	s_branch .LBB75_7
.LBB75_6:
	s_mov_b32 s8, -1
                                        ; implicit-def: $sgpr9
                                        ; implicit-def: $vgpr10
                                        ; implicit-def: $vgpr16
                                        ; implicit-def: $vgpr80
                                        ; implicit-def: $vgpr79
                                        ; implicit-def: $vgpr77
                                        ; implicit-def: $vgpr76
                                        ; implicit-def: $vgpr75
.LBB75_7:
	s_delay_alu instid0(SALU_CYCLE_1) | instskip(SKIP_2) | instid1(VALU_DEP_3)
	v_cndmask_b32_e64 v0, 0, 1, s8
	v_dual_mov_b32 v7, s9 :: v_dual_lshlrev_b32 v32, 2, v35
	v_dual_mov_b32 v82, s8 :: v_dual_mov_b32 v57, s8
	v_cmp_ne_u32_e32 vcc_lo, 1, v0
	v_dual_mov_b32 v6, s9 :: v_dual_mov_b32 v5, s9
	v_dual_mov_b32 v4, s9 :: v_dual_mov_b32 v3, s9
	;; [unrolled: 1-line block ×14, first 2 shown]
	v_mov_b32_e32 v44, s8
	s_cbranch_vccnz .LBB75_76
; %bb.8:
	s_clause 0x1
	s_load_b128 s[8:11], s[0:1], 0x98
	s_load_b64 s[16:17], s[0:1], 0x8c
	v_add3_u32 v5, s15, v24, 1
	s_sub_i32 s13, 0, s33
	v_lshrrev_b32_e32 v0, 3, v35
	v_dual_mov_b32 v43, 0 :: v_dual_and_b32 v10, 28, v32
	s_mul_i32 s13, s13, s40
	v_mul_hi_u32 v1, s4, v5
	s_mul_hi_u32 s13, s40, s13
	v_lshl_add_u32 v0, v8, 2, v0
	v_dual_mov_b32 v69, 0xfeffffff :: v_dual_lshlrev_b32 v2, 2, v10
	s_abs_i32 s26, s2
	s_add_i32 s40, s40, s13
	s_ashr_i32 s38, s39, 1
	s_mul_hi_u32 s39, s26, s40
	s_ashr_i32 s40, s12, 31
	v_dual_mov_b32 v16, 32 :: v_dual_add_nc_u32 v1, v5, v1
	s_waitcnt lgkmcnt(0)
	s_mul_i32 s9, s12, s9
	s_ashr_i32 s13, s16, 2
	s_mul_hi_u32 s16, s12, s8
	s_mul_i32 s42, s40, s8
	s_add_i32 s9, s16, s9
	v_mad_u32_u24 v3, 0x90, v0, v2
	v_lshrrev_b32_e32 v2, 4, v35
	s_mul_i32 s8, s12, s8
	s_ashr_i32 s27, s2, 31
	s_ashr_i32 s35, s35, 31
	s_load_b64 s[22:23], s[0:1], 0xa8
	s_mul_i32 s41, s39, s33
	s_ashr_i32 s10, s10, 2
	s_add_i32 s9, s9, s42
	s_add_u32 s16, s18, s8
	s_load_b32 s8, s[0:1], 0x54
	s_addc_u32 s18, s19, s9
	s_sub_i32 s19, s26, s41
	v_lshrrev_b32_e32 v1, s5, v1
	v_dual_mov_b32 v44, 0 :: v_dual_add_nc_u32 v7, v2, v24
	s_xor_b32 s9, s27, s35
	s_add_i32 s26, s39, 1
	s_sub_i32 s27, s19, s33
	s_cmp_ge_u32 s19, s33
	v_dual_mov_b32 v47, 0 :: v_dual_and_b32 v14, 60, v32
	s_cselect_b32 s26, s26, s39
	s_cselect_b32 s19, s27, s19
	v_mul_lo_u32 v0, s13, v0
	v_mul_lo_u32 v6, v1, s6
	;; [unrolled: 1-line block ×3, first 2 shown]
	s_add_i32 s27, s26, 1
	s_cmp_ge_u32 s19, s33
	v_dual_mov_b32 v48, 0 :: v_dual_lshlrev_b32 v11, 2, v14
	s_cselect_b32 s19, s27, s26
	s_delay_alu instid0(VALU_DEP_4)
	v_lshl_add_u32 v2, s13, 5, v0
	s_xor_b32 s19, s19, s9
	v_sub_nc_u32_e32 v5, v5, v6
	s_sub_i32 s19, s19, s9
	v_lshl_or_b32 v7, v7, 8, v11
	v_lshl_add_u32 v6, s10, 4, v4
	s_mul_i32 s9, s19, s17
	s_waitcnt lgkmcnt(0)
	s_mul_i32 s23, s12, s23
	s_mul_hi_u32 s26, s12, s22
	s_mul_i32 s40, s40, s22
	s_mul_i32 s17, s12, s22
	s_ashr_i32 s22, s9, 31
	s_add_u32 s9, s16, s9
	v_dual_mov_b32 v45, 0 :: v_dual_add_nc_u32 v18, 0x4000, v3
	v_ashrrev_i32_e32 v1, 31, v0
	v_dual_mov_b32 v46, 0 :: v_dual_add_nc_u32 v19, 0x5200, v3
	v_ashrrev_i32_e32 v3, 31, v2
	v_mul_lo_u32 v23, v5, s38
	v_lshl_add_u32 v36, v8, 10, 0x6400
	v_dual_mov_b32 v52, 0 :: v_dual_add_nc_u32 v37, 0x4000, v7
	v_ashrrev_i32_e32 v5, 31, v4
	v_dual_mov_b32 v49, 0 :: v_dual_add_nc_u32 v38, 0x5000, v7
	v_ashrrev_i32_e32 v7, 31, v6
	s_addc_u32 s16, s18, s22
	s_add_i32 s18, s26, s23
	s_mul_i32 s19, s19, s11
	s_add_i32 s18, s18, s40
	v_mul_lo_u32 v22, v9, s38
	s_add_u32 s4, s20, s17
	s_addc_u32 s17, s21, s18
	s_ashr_i32 s18, s19, 31
	v_dual_mov_b32 v50, 0 :: v_dual_lshlrev_b32 v21, 11, v8
	v_lshlrev_b64 v[8:9], 2, v[0:1]
	v_dual_mov_b32 v51, 0 :: v_dual_lshlrev_b32 v40, 2, v10
	v_lshlrev_b64 v[10:11], 2, v[2:3]
	v_dual_mov_b32 v54, 0 :: v_dual_add_nc_u32 v41, v36, v12
	v_lshlrev_b64 v[12:13], 2, v[4:5]
	v_dual_mov_b32 v53, 0 :: v_dual_lshlrev_b32 v42, 2, v14
	v_lshlrev_b64 v[14:15], 2, v[6:7]
	s_add_u32 s11, s4, s19
	v_mul_u32_u24_e32 v20, 0x90, v35
	v_lshl_or_b32 v39, v35, 3, 0x4000
	v_dual_mov_b32 v56, 0 :: v_dual_mov_b32 v55, 0
	v_dual_mov_b32 v58, 0 :: v_dual_mov_b32 v57, 0
	;; [unrolled: 1-line block ×9, first 2 shown]
	v_mov_b32_e32 v60, 0
	s_addc_u32 s17, s17, s18
	s_add_u32 s4, s0, 0xd0
	s_addc_u32 s5, s1, 0
	s_mov_b32 s18, 0xbbbac73d
.LBB75_9:                               ; =>This Inner Loop Header: Depth=1
	s_mul_hi_i32 s21, s3, s13
	s_mul_i32 s20, s3, s13
	v_dual_mov_b32 v75, 0 :: v_dual_mov_b32 v88, 0
	s_lshl_b64 s[20:21], s[20:21], 2
	v_mov_b32_e32 v86, 0
	s_add_u32 s19, s9, s20
	s_addc_u32 s20, s16, s21
	v_add_co_u32 v0, vcc_lo, s19, v8
	v_add_co_ci_u32_e32 v1, vcc_lo, s20, v9, vcc_lo
	v_add_co_u32 v2, vcc_lo, s19, v10
	v_add_co_ci_u32_e32 v3, vcc_lo, s20, v11, vcc_lo
	s_delay_alu instid0(VALU_DEP_4) | instskip(NEXT) | instid1(VALU_DEP_4)
	v_add_co_u32 v0, vcc_lo, v0, v40
	v_add_co_ci_u32_e32 v1, vcc_lo, 0, v1, vcc_lo
	s_delay_alu instid0(VALU_DEP_4) | instskip(NEXT) | instid1(VALU_DEP_4)
	v_add_co_u32 v2, vcc_lo, v2, v40
	v_add_co_ci_u32_e32 v3, vcc_lo, 0, v3, vcc_lo
	s_clause 0x1
	global_load_b128 v[71:74], v[0:1], off
	global_load_b128 v[76:79], v[2:3], off
	v_mov_b32_e32 v84, 0
	v_dual_mov_b32 v82, 0 :: v_dual_mov_b32 v89, 0
	v_mov_b32_e32 v83, 0
	v_mov_b32_e32 v81, 0
	s_waitcnt vmcnt(1)
	ds_store_b128 v18, v[71:74]
	s_waitcnt vmcnt(0)
	ds_store_b128 v19, v[76:79]
	v_mov_b32_e32 v72, 0
	s_waitcnt lgkmcnt(0)
	s_barrier
	buffer_gl0_inv
	ds_load_b128 v[90:93], v20 offset:16384
	ds_load_b128 v[94:97], v21
	ds_load_b128 v[98:101], v21 offset:256
	ds_load_b128 v[102:105], v21 offset:512
	;; [unrolled: 1-line block ×8, first 2 shown]
	v_mov_b32_e32 v73, 0
	v_dual_mov_b32 v71, 0 :: v_dual_mov_b32 v78, 0
	v_dual_mov_b32 v87, 0 :: v_dual_mov_b32 v76, 0
	v_mov_b32_e32 v85, 0
	s_waitcnt lgkmcnt(8)
	;;#ASMSTART
	v_dot2_f32_f16 v75, v90, v94, v75
	;;#ASMEND
	;;#ASMSTART
	v_dot2_f32_f16 v75, v91, v95, v75
	;;#ASMEND
	;;#ASMSTART
	v_dot2_f32_f16 v75, v92, v96, v75
	;;#ASMEND
	;;#ASMSTART
	v_dot2_f32_f16 v75, v93, v97, v75
	;;#ASMEND
	s_waitcnt lgkmcnt(7)
	;;#ASMSTART
	v_dot2_f32_f16 v88, v90, v98, v88
	;;#ASMEND
	;;#ASMSTART
	v_dot2_f32_f16 v88, v91, v99, v88
	;;#ASMEND
	;;#ASMSTART
	v_dot2_f32_f16 v88, v92, v100, v88
	;;#ASMEND
	;;#ASMSTART
	v_dot2_f32_f16 v88, v93, v101, v88
	;;#ASMEND
	;; [unrolled: 13-line block ×8, first 2 shown]
	;;#ASMSTART
	v_dot2_f32_f16 v76, v110, v94, v76
	;;#ASMEND
	;;#ASMSTART
	v_dot2_f32_f16 v76, v111, v95, v76
	;;#ASMEND
	;; [unrolled: 3-line block ×15, first 2 shown]
	v_mov_b32_e32 v74, 0
	;;#ASMSTART
	v_dot2_f32_f16 v85, v113, v109, v85
	;;#ASMEND
	;;#ASMSTART
	v_dot2_f32_f16 v83, v110, v114, v83
	;;#ASMEND
	;; [unrolled: 3-line block ×17, first 2 shown]
	ds_load_b128 v[90:93], v20 offset:16400
	ds_load_b128 v[94:97], v21 offset:16
	;; [unrolled: 1-line block ×10, first 2 shown]
	s_waitcnt lgkmcnt(8)
	;;#ASMSTART
	v_dot2_f32_f16 v75, v90, v94, v75
	;;#ASMEND
	;;#ASMSTART
	v_dot2_f32_f16 v75, v91, v95, v75
	;;#ASMEND
	;;#ASMSTART
	v_dot2_f32_f16 v75, v92, v96, v75
	;;#ASMEND
	;;#ASMSTART
	v_dot2_f32_f16 v75, v93, v97, v75
	;;#ASMEND
	s_waitcnt lgkmcnt(7)
	;;#ASMSTART
	v_dot2_f32_f16 v88, v90, v98, v88
	;;#ASMEND
	;;#ASMSTART
	v_dot2_f32_f16 v88, v91, v99, v88
	;;#ASMEND
	;;#ASMSTART
	v_dot2_f32_f16 v88, v92, v100, v88
	;;#ASMEND
	;;#ASMSTART
	v_dot2_f32_f16 v88, v93, v101, v88
	;;#ASMEND
	;; [unrolled: 13-line block ×8, first 2 shown]
	;;#ASMSTART
	v_dot2_f32_f16 v76, v110, v94, v76
	;;#ASMEND
	;;#ASMSTART
	v_dot2_f32_f16 v76, v111, v95, v76
	;;#ASMEND
	;;#ASMSTART
	v_dot2_f32_f16 v76, v112, v96, v76
	;;#ASMEND
	;;#ASMSTART
	v_dot2_f32_f16 v76, v113, v97, v76
	;;#ASMEND
	;;#ASMSTART
	v_dot2_f32_f16 v89, v110, v98, v89
	;;#ASMEND
	;;#ASMSTART
	v_dot2_f32_f16 v89, v111, v99, v89
	;;#ASMEND
	;;#ASMSTART
	v_dot2_f32_f16 v89, v112, v100, v89
	;;#ASMEND
	;;#ASMSTART
	v_dot2_f32_f16 v89, v113, v101, v89
	;;#ASMEND
	;;#ASMSTART
	v_dot2_f32_f16 v87, v110, v102, v87
	;;#ASMEND
	;;#ASMSTART
	v_dot2_f32_f16 v87, v111, v103, v87
	;;#ASMEND
	;;#ASMSTART
	v_dot2_f32_f16 v87, v112, v104, v87
	;;#ASMEND
	;;#ASMSTART
	v_dot2_f32_f16 v87, v113, v105, v87
	;;#ASMEND
	;;#ASMSTART
	v_dot2_f32_f16 v85, v110, v106, v85
	;;#ASMEND
	;;#ASMSTART
	v_dot2_f32_f16 v85, v111, v107, v85
	;;#ASMEND
	;;#ASMSTART
	v_dot2_f32_f16 v85, v112, v108, v85
	;;#ASMEND
	;;#ASMSTART
	v_dot2_f32_f16 v85, v113, v109, v85
	;;#ASMEND
	;;#ASMSTART
	v_dot2_f32_f16 v83, v110, v114, v83
	;;#ASMEND
	;;#ASMSTART
	v_dot2_f32_f16 v83, v111, v115, v83
	;;#ASMEND
	;;#ASMSTART
	v_dot2_f32_f16 v83, v112, v116, v83
	;;#ASMEND
	;;#ASMSTART
	v_dot2_f32_f16 v83, v113, v117, v83
	;;#ASMEND
	;;#ASMSTART
	v_dot2_f32_f16 v81, v110, v118, v81
	;;#ASMEND
	;;#ASMSTART
	v_dot2_f32_f16 v81, v111, v119, v81
	;;#ASMEND
	;;#ASMSTART
	v_dot2_f32_f16 v81, v112, v120, v81
	;;#ASMEND
	;;#ASMSTART
	v_dot2_f32_f16 v81, v113, v121, v81
	;;#ASMEND
	;;#ASMSTART
	v_dot2_f32_f16 v74, v110, v122, v74
	;;#ASMEND
	;;#ASMSTART
	v_dot2_f32_f16 v74, v111, v123, v74
	;;#ASMEND
	;;#ASMSTART
	v_dot2_f32_f16 v74, v112, v124, v74
	;;#ASMEND
	;;#ASMSTART
	v_dot2_f32_f16 v74, v113, v125, v74
	;;#ASMEND
	;;#ASMSTART
	v_dot2_f32_f16 v72, v110, v126, v72
	;;#ASMEND
	;;#ASMSTART
	v_dot2_f32_f16 v72, v111, v127, v72
	;;#ASMEND
	;;#ASMSTART
	v_dot2_f32_f16 v72, v112, v128, v72
	;;#ASMEND
	;;#ASMSTART
	v_dot2_f32_f16 v72, v113, v129, v72
	;;#ASMEND
	ds_load_b128 v[90:93], v20 offset:16416
	ds_load_b128 v[94:97], v21 offset:32
	;; [unrolled: 1-line block ×10, first 2 shown]
	s_waitcnt lgkmcnt(8)
	;;#ASMSTART
	v_dot2_f32_f16 v75, v90, v94, v75
	;;#ASMEND
	;;#ASMSTART
	v_dot2_f32_f16 v75, v91, v95, v75
	;;#ASMEND
	;;#ASMSTART
	v_dot2_f32_f16 v75, v92, v96, v75
	;;#ASMEND
	;;#ASMSTART
	v_dot2_f32_f16 v75, v93, v97, v75
	;;#ASMEND
	s_waitcnt lgkmcnt(7)
	;;#ASMSTART
	v_dot2_f32_f16 v88, v90, v98, v88
	;;#ASMEND
	;;#ASMSTART
	v_dot2_f32_f16 v88, v91, v99, v88
	;;#ASMEND
	;;#ASMSTART
	v_dot2_f32_f16 v88, v92, v100, v88
	;;#ASMEND
	;;#ASMSTART
	v_dot2_f32_f16 v88, v93, v101, v88
	;;#ASMEND
	;; [unrolled: 13-line block ×8, first 2 shown]
	;;#ASMSTART
	v_dot2_f32_f16 v76, v110, v94, v76
	;;#ASMEND
	;;#ASMSTART
	v_dot2_f32_f16 v76, v111, v95, v76
	;;#ASMEND
	;; [unrolled: 3-line block ×32, first 2 shown]
	ds_load_b128 v[90:93], v20 offset:16432
	ds_load_b128 v[94:97], v21 offset:48
	;; [unrolled: 1-line block ×10, first 2 shown]
	s_waitcnt lgkmcnt(8)
	;;#ASMSTART
	v_dot2_f32_f16 v75, v90, v94, v75
	;;#ASMEND
	;;#ASMSTART
	v_dot2_f32_f16 v75, v91, v95, v75
	;;#ASMEND
	;;#ASMSTART
	v_dot2_f32_f16 v75, v92, v96, v75
	;;#ASMEND
	;;#ASMSTART
	v_dot2_f32_f16 v75, v93, v97, v75
	;;#ASMEND
	s_waitcnt lgkmcnt(7)
	;;#ASMSTART
	v_dot2_f32_f16 v88, v90, v98, v88
	;;#ASMEND
	;;#ASMSTART
	v_dot2_f32_f16 v88, v91, v99, v88
	;;#ASMEND
	;;#ASMSTART
	v_dot2_f32_f16 v88, v92, v100, v88
	;;#ASMEND
	;;#ASMSTART
	v_dot2_f32_f16 v88, v93, v101, v88
	;;#ASMEND
	;; [unrolled: 13-line block ×8, first 2 shown]
	;;#ASMSTART
	v_dot2_f32_f16 v76, v110, v94, v76
	;;#ASMEND
	;;#ASMSTART
	v_dot2_f32_f16 v76, v111, v95, v76
	;;#ASMEND
	;; [unrolled: 3-line block ×32, first 2 shown]
	ds_load_b128 v[90:93], v20 offset:16448
	ds_load_b128 v[94:97], v21 offset:64
	;; [unrolled: 1-line block ×10, first 2 shown]
	s_waitcnt lgkmcnt(8)
	;;#ASMSTART
	v_dot2_f32_f16 v75, v90, v94, v75
	;;#ASMEND
	;;#ASMSTART
	v_dot2_f32_f16 v75, v91, v95, v75
	;;#ASMEND
	;;#ASMSTART
	v_dot2_f32_f16 v75, v92, v96, v75
	;;#ASMEND
	;;#ASMSTART
	v_dot2_f32_f16 v75, v93, v97, v75
	;;#ASMEND
	s_waitcnt lgkmcnt(7)
	;;#ASMSTART
	v_dot2_f32_f16 v88, v90, v98, v88
	;;#ASMEND
	;;#ASMSTART
	v_dot2_f32_f16 v88, v91, v99, v88
	;;#ASMEND
	;;#ASMSTART
	v_dot2_f32_f16 v88, v92, v100, v88
	;;#ASMEND
	;;#ASMSTART
	v_dot2_f32_f16 v88, v93, v101, v88
	;;#ASMEND
	;; [unrolled: 13-line block ×8, first 2 shown]
	;;#ASMSTART
	v_dot2_f32_f16 v76, v110, v94, v76
	;;#ASMEND
	;;#ASMSTART
	v_dot2_f32_f16 v76, v111, v95, v76
	;;#ASMEND
	;; [unrolled: 3-line block ×32, first 2 shown]
	ds_load_b128 v[90:93], v20 offset:16464
	ds_load_b128 v[94:97], v21 offset:80
	;; [unrolled: 1-line block ×10, first 2 shown]
	s_waitcnt lgkmcnt(8)
	;;#ASMSTART
	v_dot2_f32_f16 v75, v90, v94, v75
	;;#ASMEND
	;;#ASMSTART
	v_dot2_f32_f16 v75, v91, v95, v75
	;;#ASMEND
	;;#ASMSTART
	v_dot2_f32_f16 v75, v92, v96, v75
	;;#ASMEND
	;;#ASMSTART
	v_dot2_f32_f16 v75, v93, v97, v75
	;;#ASMEND
	s_waitcnt lgkmcnt(7)
	;;#ASMSTART
	v_dot2_f32_f16 v88, v90, v98, v88
	;;#ASMEND
	;;#ASMSTART
	v_dot2_f32_f16 v88, v91, v99, v88
	;;#ASMEND
	;;#ASMSTART
	v_dot2_f32_f16 v88, v92, v100, v88
	;;#ASMEND
	;;#ASMSTART
	v_dot2_f32_f16 v88, v93, v101, v88
	;;#ASMEND
	;; [unrolled: 13-line block ×8, first 2 shown]
	;;#ASMSTART
	v_dot2_f32_f16 v76, v110, v94, v76
	;;#ASMEND
	;;#ASMSTART
	v_dot2_f32_f16 v76, v111, v95, v76
	;;#ASMEND
	;; [unrolled: 3-line block ×32, first 2 shown]
	ds_load_b128 v[90:93], v20 offset:16480
	ds_load_b128 v[94:97], v21 offset:96
	;; [unrolled: 1-line block ×10, first 2 shown]
	s_waitcnt lgkmcnt(8)
	;;#ASMSTART
	v_dot2_f32_f16 v75, v90, v94, v75
	;;#ASMEND
	;;#ASMSTART
	v_dot2_f32_f16 v75, v91, v95, v75
	;;#ASMEND
	;;#ASMSTART
	v_dot2_f32_f16 v75, v92, v96, v75
	;;#ASMEND
	;;#ASMSTART
	v_dot2_f32_f16 v75, v93, v97, v75
	;;#ASMEND
	s_waitcnt lgkmcnt(7)
	;;#ASMSTART
	v_dot2_f32_f16 v88, v90, v98, v88
	;;#ASMEND
	;;#ASMSTART
	v_dot2_f32_f16 v88, v91, v99, v88
	;;#ASMEND
	;;#ASMSTART
	v_dot2_f32_f16 v88, v92, v100, v88
	;;#ASMEND
	;;#ASMSTART
	v_dot2_f32_f16 v88, v93, v101, v88
	;;#ASMEND
	;; [unrolled: 13-line block ×8, first 2 shown]
	;;#ASMSTART
	v_dot2_f32_f16 v76, v110, v94, v76
	;;#ASMEND
	;;#ASMSTART
	v_dot2_f32_f16 v76, v111, v95, v76
	;;#ASMEND
	;; [unrolled: 3-line block ×32, first 2 shown]
	ds_load_b128 v[90:93], v20 offset:16496
	ds_load_b128 v[94:97], v21 offset:112
	;; [unrolled: 1-line block ×10, first 2 shown]
	s_waitcnt lgkmcnt(8)
	;;#ASMSTART
	v_dot2_f32_f16 v75, v90, v94, v75
	;;#ASMEND
	;;#ASMSTART
	v_dot2_f32_f16 v75, v91, v95, v75
	;;#ASMEND
	;;#ASMSTART
	v_dot2_f32_f16 v75, v92, v96, v75
	;;#ASMEND
	;;#ASMSTART
	v_dot2_f32_f16 v75, v93, v97, v75
	;;#ASMEND
	s_waitcnt lgkmcnt(7)
	;;#ASMSTART
	v_dot2_f32_f16 v88, v90, v98, v88
	;;#ASMEND
	;;#ASMSTART
	v_dot2_f32_f16 v88, v91, v99, v88
	;;#ASMEND
	;;#ASMSTART
	v_dot2_f32_f16 v88, v92, v100, v88
	;;#ASMEND
	;;#ASMSTART
	v_dot2_f32_f16 v88, v93, v101, v88
	;;#ASMEND
	;; [unrolled: 13-line block ×8, first 2 shown]
	;;#ASMSTART
	v_dot2_f32_f16 v76, v110, v94, v76
	;;#ASMEND
	;;#ASMSTART
	v_dot2_f32_f16 v76, v111, v95, v76
	;;#ASMEND
	;; [unrolled: 3-line block ×32, first 2 shown]
	s_barrier
	buffer_gl0_inv
	s_clause 0x1
	global_load_b128 v[90:93], v[0:1], off offset:128
	global_load_b128 v[0:3], v[2:3], off offset:128
	s_waitcnt vmcnt(1)
	ds_store_b128 v18, v[90:93]
	s_waitcnt vmcnt(0)
	ds_store_b128 v19, v[0:3]
	s_waitcnt lgkmcnt(0)
	s_barrier
	buffer_gl0_inv
	ds_load_b128 v[0:3], v20 offset:16384
	ds_load_b128 v[90:93], v21 offset:128
	;; [unrolled: 1-line block ×10, first 2 shown]
	s_waitcnt lgkmcnt(8)
	;;#ASMSTART
	v_dot2_f32_f16 v75, v0, v90, v75
	;;#ASMEND
	;;#ASMSTART
	v_dot2_f32_f16 v75, v1, v91, v75
	;;#ASMEND
	;;#ASMSTART
	v_dot2_f32_f16 v75, v2, v92, v75
	;;#ASMEND
	;;#ASMSTART
	v_dot2_f32_f16 v75, v3, v93, v75
	;;#ASMEND
	s_waitcnt lgkmcnt(7)
	;;#ASMSTART
	v_dot2_f32_f16 v88, v0, v94, v88
	;;#ASMEND
	;;#ASMSTART
	v_dot2_f32_f16 v88, v1, v95, v88
	;;#ASMEND
	;;#ASMSTART
	v_dot2_f32_f16 v88, v2, v96, v88
	;;#ASMEND
	;;#ASMSTART
	v_dot2_f32_f16 v88, v3, v97, v88
	;;#ASMEND
	;; [unrolled: 13-line block ×8, first 2 shown]
	;;#ASMSTART
	v_dot2_f32_f16 v76, v106, v90, v76
	;;#ASMEND
	;;#ASMSTART
	v_dot2_f32_f16 v76, v107, v91, v76
	;;#ASMEND
	;; [unrolled: 3-line block ×32, first 2 shown]
	ds_load_b128 v[0:3], v20 offset:16400
	ds_load_b128 v[90:93], v21 offset:144
	;; [unrolled: 1-line block ×10, first 2 shown]
	s_waitcnt lgkmcnt(8)
	;;#ASMSTART
	v_dot2_f32_f16 v75, v0, v90, v75
	;;#ASMEND
	;;#ASMSTART
	v_dot2_f32_f16 v75, v1, v91, v75
	;;#ASMEND
	;;#ASMSTART
	v_dot2_f32_f16 v75, v2, v92, v75
	;;#ASMEND
	;;#ASMSTART
	v_dot2_f32_f16 v75, v3, v93, v75
	;;#ASMEND
	s_waitcnt lgkmcnt(7)
	;;#ASMSTART
	v_dot2_f32_f16 v88, v0, v94, v88
	;;#ASMEND
	;;#ASMSTART
	v_dot2_f32_f16 v88, v1, v95, v88
	;;#ASMEND
	;;#ASMSTART
	v_dot2_f32_f16 v88, v2, v96, v88
	;;#ASMEND
	;;#ASMSTART
	v_dot2_f32_f16 v88, v3, v97, v88
	;;#ASMEND
	;; [unrolled: 13-line block ×8, first 2 shown]
	;;#ASMSTART
	v_dot2_f32_f16 v76, v106, v90, v76
	;;#ASMEND
	;;#ASMSTART
	v_dot2_f32_f16 v76, v107, v91, v76
	;;#ASMEND
	;;#ASMSTART
	v_dot2_f32_f16 v76, v108, v92, v76
	;;#ASMEND
	;;#ASMSTART
	v_dot2_f32_f16 v76, v109, v93, v76
	;;#ASMEND
	;;#ASMSTART
	v_dot2_f32_f16 v89, v106, v94, v89
	;;#ASMEND
	;;#ASMSTART
	v_dot2_f32_f16 v89, v107, v95, v89
	;;#ASMEND
	;;#ASMSTART
	v_dot2_f32_f16 v89, v108, v96, v89
	;;#ASMEND
	;;#ASMSTART
	v_dot2_f32_f16 v89, v109, v97, v89
	;;#ASMEND
	;;#ASMSTART
	v_dot2_f32_f16 v87, v106, v98, v87
	;;#ASMEND
	;;#ASMSTART
	v_dot2_f32_f16 v87, v107, v99, v87
	;;#ASMEND
	;;#ASMSTART
	v_dot2_f32_f16 v87, v108, v100, v87
	;;#ASMEND
	;;#ASMSTART
	v_dot2_f32_f16 v87, v109, v101, v87
	;;#ASMEND
	;;#ASMSTART
	v_dot2_f32_f16 v85, v106, v102, v85
	;;#ASMEND
	;;#ASMSTART
	v_dot2_f32_f16 v85, v107, v103, v85
	;;#ASMEND
	;;#ASMSTART
	v_dot2_f32_f16 v85, v108, v104, v85
	;;#ASMEND
	;;#ASMSTART
	v_dot2_f32_f16 v85, v109, v105, v85
	;;#ASMEND
	;;#ASMSTART
	v_dot2_f32_f16 v83, v106, v110, v83
	;;#ASMEND
	;;#ASMSTART
	v_dot2_f32_f16 v83, v107, v111, v83
	;;#ASMEND
	;;#ASMSTART
	v_dot2_f32_f16 v83, v108, v112, v83
	;;#ASMEND
	;;#ASMSTART
	v_dot2_f32_f16 v83, v109, v113, v83
	;;#ASMEND
	;;#ASMSTART
	v_dot2_f32_f16 v81, v106, v114, v81
	;;#ASMEND
	;;#ASMSTART
	v_dot2_f32_f16 v81, v107, v115, v81
	;;#ASMEND
	;;#ASMSTART
	v_dot2_f32_f16 v81, v108, v116, v81
	;;#ASMEND
	;;#ASMSTART
	v_dot2_f32_f16 v81, v109, v117, v81
	;;#ASMEND
	;;#ASMSTART
	v_dot2_f32_f16 v74, v106, v118, v74
	;;#ASMEND
	;;#ASMSTART
	v_dot2_f32_f16 v74, v107, v119, v74
	;;#ASMEND
	;;#ASMSTART
	v_dot2_f32_f16 v74, v108, v120, v74
	;;#ASMEND
	;;#ASMSTART
	v_dot2_f32_f16 v74, v109, v121, v74
	;;#ASMEND
	;;#ASMSTART
	v_dot2_f32_f16 v72, v106, v122, v72
	;;#ASMEND
	;;#ASMSTART
	v_dot2_f32_f16 v72, v107, v123, v72
	;;#ASMEND
	;;#ASMSTART
	v_dot2_f32_f16 v72, v108, v124, v72
	;;#ASMEND
	;;#ASMSTART
	v_dot2_f32_f16 v72, v109, v125, v72
	;;#ASMEND
	ds_load_b128 v[0:3], v20 offset:16416
	ds_load_b128 v[90:93], v21 offset:160
	;; [unrolled: 1-line block ×10, first 2 shown]
	s_waitcnt lgkmcnt(8)
	;;#ASMSTART
	v_dot2_f32_f16 v75, v0, v90, v75
	;;#ASMEND
	;;#ASMSTART
	v_dot2_f32_f16 v75, v1, v91, v75
	;;#ASMEND
	;;#ASMSTART
	v_dot2_f32_f16 v75, v2, v92, v75
	;;#ASMEND
	;;#ASMSTART
	v_dot2_f32_f16 v75, v3, v93, v75
	;;#ASMEND
	s_waitcnt lgkmcnt(7)
	;;#ASMSTART
	v_dot2_f32_f16 v88, v0, v94, v88
	;;#ASMEND
	;;#ASMSTART
	v_dot2_f32_f16 v88, v1, v95, v88
	;;#ASMEND
	;;#ASMSTART
	v_dot2_f32_f16 v88, v2, v96, v88
	;;#ASMEND
	;;#ASMSTART
	v_dot2_f32_f16 v88, v3, v97, v88
	;;#ASMEND
	;; [unrolled: 13-line block ×8, first 2 shown]
	;;#ASMSTART
	v_dot2_f32_f16 v76, v106, v90, v76
	;;#ASMEND
	;;#ASMSTART
	v_dot2_f32_f16 v76, v107, v91, v76
	;;#ASMEND
	;; [unrolled: 3-line block ×32, first 2 shown]
	ds_load_b128 v[0:3], v20 offset:16432
	ds_load_b128 v[90:93], v21 offset:176
	;; [unrolled: 1-line block ×10, first 2 shown]
	s_waitcnt lgkmcnt(8)
	;;#ASMSTART
	v_dot2_f32_f16 v75, v0, v90, v75
	;;#ASMEND
	;;#ASMSTART
	v_dot2_f32_f16 v75, v1, v91, v75
	;;#ASMEND
	;;#ASMSTART
	v_dot2_f32_f16 v75, v2, v92, v75
	;;#ASMEND
	;;#ASMSTART
	v_dot2_f32_f16 v75, v3, v93, v75
	;;#ASMEND
	s_waitcnt lgkmcnt(7)
	;;#ASMSTART
	v_dot2_f32_f16 v88, v0, v94, v88
	;;#ASMEND
	;;#ASMSTART
	v_dot2_f32_f16 v88, v1, v95, v88
	;;#ASMEND
	;;#ASMSTART
	v_dot2_f32_f16 v88, v2, v96, v88
	;;#ASMEND
	;;#ASMSTART
	v_dot2_f32_f16 v88, v3, v97, v88
	;;#ASMEND
	s_waitcnt lgkmcnt(6)
	;;#ASMSTART
	v_dot2_f32_f16 v86, v0, v98, v86
	;;#ASMEND
	;;#ASMSTART
	v_dot2_f32_f16 v86, v1, v99, v86
	;;#ASMEND
	;;#ASMSTART
	v_dot2_f32_f16 v86, v2, v100, v86
	;;#ASMEND
	;;#ASMSTART
	v_dot2_f32_f16 v86, v3, v101, v86
	;;#ASMEND
	s_waitcnt lgkmcnt(5)
	;;#ASMSTART
	v_dot2_f32_f16 v84, v0, v102, v84
	;;#ASMEND
	;;#ASMSTART
	v_dot2_f32_f16 v84, v1, v103, v84
	;;#ASMEND
	;;#ASMSTART
	v_dot2_f32_f16 v84, v2, v104, v84
	;;#ASMEND
	;;#ASMSTART
	v_dot2_f32_f16 v84, v3, v105, v84
	;;#ASMEND
	s_waitcnt lgkmcnt(3)
	;;#ASMSTART
	v_dot2_f32_f16 v82, v0, v110, v82
	;;#ASMEND
	;;#ASMSTART
	v_dot2_f32_f16 v82, v1, v111, v82
	;;#ASMEND
	;;#ASMSTART
	v_dot2_f32_f16 v82, v2, v112, v82
	;;#ASMEND
	;;#ASMSTART
	v_dot2_f32_f16 v82, v3, v113, v82
	;;#ASMEND
	s_waitcnt lgkmcnt(2)
	;;#ASMSTART
	v_dot2_f32_f16 v78, v0, v114, v78
	;;#ASMEND
	;;#ASMSTART
	v_dot2_f32_f16 v78, v1, v115, v78
	;;#ASMEND
	;;#ASMSTART
	v_dot2_f32_f16 v78, v2, v116, v78
	;;#ASMEND
	;;#ASMSTART
	v_dot2_f32_f16 v78, v3, v117, v78
	;;#ASMEND
	s_waitcnt lgkmcnt(1)
	;;#ASMSTART
	v_dot2_f32_f16 v73, v0, v118, v73
	;;#ASMEND
	;;#ASMSTART
	v_dot2_f32_f16 v73, v1, v119, v73
	;;#ASMEND
	;;#ASMSTART
	v_dot2_f32_f16 v73, v2, v120, v73
	;;#ASMEND
	;;#ASMSTART
	v_dot2_f32_f16 v73, v3, v121, v73
	;;#ASMEND
	s_waitcnt lgkmcnt(0)
	;;#ASMSTART
	v_dot2_f32_f16 v71, v0, v122, v71
	;;#ASMEND
	;;#ASMSTART
	v_dot2_f32_f16 v71, v1, v123, v71
	;;#ASMEND
	;;#ASMSTART
	v_dot2_f32_f16 v71, v2, v124, v71
	;;#ASMEND
	;;#ASMSTART
	v_dot2_f32_f16 v71, v3, v125, v71
	;;#ASMEND
	;;#ASMSTART
	v_dot2_f32_f16 v76, v106, v90, v76
	;;#ASMEND
	;;#ASMSTART
	v_dot2_f32_f16 v76, v107, v91, v76
	;;#ASMEND
	;;#ASMSTART
	v_dot2_f32_f16 v76, v108, v92, v76
	;;#ASMEND
	;;#ASMSTART
	v_dot2_f32_f16 v76, v109, v93, v76
	;;#ASMEND
	;;#ASMSTART
	v_dot2_f32_f16 v89, v106, v94, v89
	;;#ASMEND
	;;#ASMSTART
	v_dot2_f32_f16 v89, v107, v95, v89
	;;#ASMEND
	;;#ASMSTART
	v_dot2_f32_f16 v89, v108, v96, v89
	;;#ASMEND
	;;#ASMSTART
	v_dot2_f32_f16 v89, v109, v97, v89
	;;#ASMEND
	;;#ASMSTART
	v_dot2_f32_f16 v87, v106, v98, v87
	;;#ASMEND
	;;#ASMSTART
	v_dot2_f32_f16 v87, v107, v99, v87
	;;#ASMEND
	;;#ASMSTART
	v_dot2_f32_f16 v87, v108, v100, v87
	;;#ASMEND
	;;#ASMSTART
	v_dot2_f32_f16 v87, v109, v101, v87
	;;#ASMEND
	;;#ASMSTART
	v_dot2_f32_f16 v85, v106, v102, v85
	;;#ASMEND
	;;#ASMSTART
	v_dot2_f32_f16 v85, v107, v103, v85
	;;#ASMEND
	;;#ASMSTART
	v_dot2_f32_f16 v85, v108, v104, v85
	;;#ASMEND
	;;#ASMSTART
	v_dot2_f32_f16 v85, v109, v105, v85
	;;#ASMEND
	;;#ASMSTART
	v_dot2_f32_f16 v83, v106, v110, v83
	;;#ASMEND
	;;#ASMSTART
	v_dot2_f32_f16 v83, v107, v111, v83
	;;#ASMEND
	;;#ASMSTART
	v_dot2_f32_f16 v83, v108, v112, v83
	;;#ASMEND
	;;#ASMSTART
	v_dot2_f32_f16 v83, v109, v113, v83
	;;#ASMEND
	;;#ASMSTART
	v_dot2_f32_f16 v81, v106, v114, v81
	;;#ASMEND
	;;#ASMSTART
	v_dot2_f32_f16 v81, v107, v115, v81
	;;#ASMEND
	;;#ASMSTART
	v_dot2_f32_f16 v81, v108, v116, v81
	;;#ASMEND
	;;#ASMSTART
	v_dot2_f32_f16 v81, v109, v117, v81
	;;#ASMEND
	;;#ASMSTART
	v_dot2_f32_f16 v74, v106, v118, v74
	;;#ASMEND
	;;#ASMSTART
	v_dot2_f32_f16 v74, v107, v119, v74
	;;#ASMEND
	;;#ASMSTART
	v_dot2_f32_f16 v74, v108, v120, v74
	;;#ASMEND
	;;#ASMSTART
	v_dot2_f32_f16 v74, v109, v121, v74
	;;#ASMEND
	;;#ASMSTART
	v_dot2_f32_f16 v72, v106, v122, v72
	;;#ASMEND
	;;#ASMSTART
	v_dot2_f32_f16 v72, v107, v123, v72
	;;#ASMEND
	;;#ASMSTART
	v_dot2_f32_f16 v72, v108, v124, v72
	;;#ASMEND
	;;#ASMSTART
	v_dot2_f32_f16 v72, v109, v125, v72
	;;#ASMEND
	ds_load_b128 v[0:3], v20 offset:16448
	ds_load_b128 v[90:93], v21 offset:192
	;; [unrolled: 1-line block ×10, first 2 shown]
	s_waitcnt lgkmcnt(8)
	;;#ASMSTART
	v_dot2_f32_f16 v75, v0, v90, v75
	;;#ASMEND
	;;#ASMSTART
	v_dot2_f32_f16 v75, v1, v91, v75
	;;#ASMEND
	;;#ASMSTART
	v_dot2_f32_f16 v75, v2, v92, v75
	;;#ASMEND
	;;#ASMSTART
	v_dot2_f32_f16 v75, v3, v93, v75
	;;#ASMEND
	s_waitcnt lgkmcnt(7)
	;;#ASMSTART
	v_dot2_f32_f16 v88, v0, v94, v88
	;;#ASMEND
	;;#ASMSTART
	v_dot2_f32_f16 v88, v1, v95, v88
	;;#ASMEND
	;;#ASMSTART
	v_dot2_f32_f16 v88, v2, v96, v88
	;;#ASMEND
	;;#ASMSTART
	v_dot2_f32_f16 v88, v3, v97, v88
	;;#ASMEND
	;; [unrolled: 13-line block ×8, first 2 shown]
	;;#ASMSTART
	v_dot2_f32_f16 v76, v106, v90, v76
	;;#ASMEND
	;;#ASMSTART
	v_dot2_f32_f16 v76, v107, v91, v76
	;;#ASMEND
	;; [unrolled: 3-line block ×32, first 2 shown]
	ds_load_b128 v[0:3], v20 offset:16464
	ds_load_b128 v[90:93], v21 offset:208
	;; [unrolled: 1-line block ×10, first 2 shown]
	s_waitcnt lgkmcnt(8)
	;;#ASMSTART
	v_dot2_f32_f16 v75, v0, v90, v75
	;;#ASMEND
	;;#ASMSTART
	v_dot2_f32_f16 v75, v1, v91, v75
	;;#ASMEND
	;;#ASMSTART
	v_dot2_f32_f16 v75, v2, v92, v75
	;;#ASMEND
	;;#ASMSTART
	v_dot2_f32_f16 v75, v3, v93, v75
	;;#ASMEND
	s_waitcnt lgkmcnt(7)
	;;#ASMSTART
	v_dot2_f32_f16 v88, v0, v94, v88
	;;#ASMEND
	;;#ASMSTART
	v_dot2_f32_f16 v88, v1, v95, v88
	;;#ASMEND
	;;#ASMSTART
	v_dot2_f32_f16 v88, v2, v96, v88
	;;#ASMEND
	;;#ASMSTART
	v_dot2_f32_f16 v88, v3, v97, v88
	;;#ASMEND
	;; [unrolled: 13-line block ×8, first 2 shown]
	;;#ASMSTART
	v_dot2_f32_f16 v76, v106, v90, v76
	;;#ASMEND
	;;#ASMSTART
	v_dot2_f32_f16 v76, v107, v91, v76
	;;#ASMEND
	;; [unrolled: 3-line block ×32, first 2 shown]
	ds_load_b128 v[0:3], v20 offset:16480
	ds_load_b128 v[90:93], v21 offset:224
	;; [unrolled: 1-line block ×10, first 2 shown]
	s_waitcnt lgkmcnt(8)
	;;#ASMSTART
	v_dot2_f32_f16 v75, v0, v90, v75
	;;#ASMEND
	;;#ASMSTART
	v_dot2_f32_f16 v75, v1, v91, v75
	;;#ASMEND
	;;#ASMSTART
	v_dot2_f32_f16 v75, v2, v92, v75
	;;#ASMEND
	;;#ASMSTART
	v_dot2_f32_f16 v75, v3, v93, v75
	;;#ASMEND
	s_waitcnt lgkmcnt(7)
	;;#ASMSTART
	v_dot2_f32_f16 v88, v0, v94, v88
	;;#ASMEND
	;;#ASMSTART
	v_dot2_f32_f16 v88, v1, v95, v88
	;;#ASMEND
	;;#ASMSTART
	v_dot2_f32_f16 v88, v2, v96, v88
	;;#ASMEND
	;;#ASMSTART
	v_dot2_f32_f16 v88, v3, v97, v88
	;;#ASMEND
	;; [unrolled: 13-line block ×8, first 2 shown]
	;;#ASMSTART
	v_dot2_f32_f16 v76, v106, v90, v76
	;;#ASMEND
	;;#ASMSTART
	v_dot2_f32_f16 v76, v107, v91, v76
	;;#ASMEND
	;; [unrolled: 3-line block ×32, first 2 shown]
	ds_load_b128 v[0:3], v20 offset:16496
	ds_load_b128 v[90:93], v21 offset:240
	ds_load_b128 v[94:97], v21 offset:496
	ds_load_b128 v[98:101], v21 offset:752
	ds_load_b128 v[102:105], v21 offset:1008
	ds_load_b128 v[106:109], v20 offset:21104
	ds_load_b128 v[110:113], v21 offset:1264
	ds_load_b128 v[114:117], v21 offset:1520
	ds_load_b128 v[118:121], v21 offset:1776
	ds_load_b128 v[122:125], v21 offset:2032
	s_waitcnt lgkmcnt(8)
	;;#ASMSTART
	v_dot2_f32_f16 v75, v0, v90, v75
	;;#ASMEND
	;;#ASMSTART
	v_dot2_f32_f16 v75, v1, v91, v75
	;;#ASMEND
	;;#ASMSTART
	v_dot2_f32_f16 v75, v2, v92, v75
	;;#ASMEND
	;;#ASMSTART
	v_dot2_f32_f16 v75, v3, v93, v75
	;;#ASMEND
	s_waitcnt lgkmcnt(7)
	;;#ASMSTART
	v_dot2_f32_f16 v88, v0, v94, v88
	;;#ASMEND
	;;#ASMSTART
	v_dot2_f32_f16 v88, v1, v95, v88
	;;#ASMEND
	;;#ASMSTART
	v_dot2_f32_f16 v88, v2, v96, v88
	;;#ASMEND
	;;#ASMSTART
	v_dot2_f32_f16 v88, v3, v97, v88
	;;#ASMEND
	;; [unrolled: 13-line block ×8, first 2 shown]
	;;#ASMSTART
	v_dot2_f32_f16 v76, v106, v90, v76
	;;#ASMEND
	;;#ASMSTART
	v_dot2_f32_f16 v76, v107, v91, v76
	;;#ASMEND
	;; [unrolled: 3-line block ×25, first 2 shown]
	v_cmp_ngt_f32_e64 s19, 0x3f200000, |v75|
	;;#ASMSTART
	v_dot2_f32_f16 v74, v107, v119, v74
	;;#ASMEND
	;;#ASMSTART
	v_dot2_f32_f16 v74, v108, v120, v74
	;;#ASMEND
	;; [unrolled: 3-line block ×7, first 2 shown]
                                        ; implicit-def: $vgpr2
	s_and_saveexec_b32 s20, s19
	s_delay_alu instid0(SALU_CYCLE_1)
	s_xor_b32 s19, exec_lo, s20
	s_cbranch_execz .LBB75_11
; %bb.10:                               ;   in Loop: Header=BB75_9 Depth=1
	v_add_f32_e64 v0, |v75|, |v75|
	s_delay_alu instid0(VALU_DEP_1) | instskip(SKIP_1) | instid1(VALU_DEP_2)
	v_mul_f32_e32 v1, 0x3fb8aa3b, v0
	v_cmp_ngt_f32_e32 vcc_lo, 0xc2ce8ed0, v0
	v_rndne_f32_e32 v2, v1
	v_fma_f32 v3, 0x3fb8aa3b, v0, -v1
	s_delay_alu instid0(VALU_DEP_2) | instskip(NEXT) | instid1(VALU_DEP_2)
	v_sub_f32_e32 v1, v1, v2
	v_fmac_f32_e32 v3, 0x32a5705f, v0
	v_cvt_i32_f32_e32 v2, v2
	s_delay_alu instid0(VALU_DEP_2) | instskip(NEXT) | instid1(VALU_DEP_1)
	v_add_f32_e32 v1, v1, v3
	v_exp_f32_e32 v1, v1
	s_waitcnt_depctr 0xfff
	v_ldexp_f32 v1, v1, v2
	s_delay_alu instid0(VALU_DEP_1) | instskip(SKIP_1) | instid1(VALU_DEP_2)
	v_cndmask_b32_e32 v1, 0, v1, vcc_lo
	v_cmp_nlt_f32_e32 vcc_lo, 0x42b17218, v0
	v_cndmask_b32_e32 v0, 0x7f800000, v1, vcc_lo
	s_delay_alu instid0(VALU_DEP_1) | instskip(NEXT) | instid1(VALU_DEP_1)
	v_add_f32_e32 v0, 1.0, v0
	v_rcp_f32_e32 v0, v0
	s_waitcnt_depctr 0xfff
	v_fma_f32 v2, v0, -2.0, 1.0
.LBB75_11:                              ;   in Loop: Header=BB75_9 Depth=1
	s_and_not1_saveexec_b32 s19, s19
; %bb.12:                               ;   in Loop: Header=BB75_9 Depth=1
	v_mul_f32_e32 v0, v75, v75
	s_delay_alu instid0(VALU_DEP_1) | instskip(NEXT) | instid1(VALU_DEP_1)
	v_fmaak_f32 v1, s18, v0, 0x3ca908c9
	v_fmaak_f32 v1, v0, v1, 0xbd5c1c4e
	s_delay_alu instid0(VALU_DEP_1) | instskip(NEXT) | instid1(VALU_DEP_1)
	v_fmaak_f32 v1, v0, v1, 0x3e088382
	v_fmaak_f32 v1, v0, v1, 0xbeaaaa99
	s_delay_alu instid0(VALU_DEP_1) | instskip(NEXT) | instid1(VALU_DEP_1)
	v_mul_f32_e64 v1, |v75|, v1
	v_fma_f32 v2, v0, v1, |v75|
; %bb.13:                               ;   in Loop: Header=BB75_9 Depth=1
	s_or_b32 exec_lo, exec_lo, s19
	v_add_nc_u32_e32 v98, s3, v35
	v_cmp_ngt_f32_e64 s19, 0x3f200000, |v76|
                                        ; implicit-def: $vgpr3
	s_delay_alu instid0(VALU_DEP_2) | instskip(NEXT) | instid1(VALU_DEP_1)
	v_add_nc_u32_e32 v0, v98, v22
	v_ashrrev_i32_e32 v1, 31, v0
	s_delay_alu instid0(VALU_DEP_1) | instskip(NEXT) | instid1(VALU_DEP_1)
	v_lshlrev_b64 v[0:1], 1, v[0:1]
	v_add_co_u32 v0, vcc_lo, s36, v0
	s_delay_alu instid0(VALU_DEP_2) | instskip(SKIP_2) | instid1(SALU_CYCLE_1)
	v_add_co_ci_u32_e32 v1, vcc_lo, s37, v1, vcc_lo
	flat_load_u16 v92, v[0:1]
	s_and_saveexec_b32 s20, s19
	s_xor_b32 s19, exec_lo, s20
	s_cbranch_execz .LBB75_15
; %bb.14:                               ;   in Loop: Header=BB75_9 Depth=1
	v_add_f32_e64 v3, |v76|, |v76|
	s_delay_alu instid0(VALU_DEP_1) | instskip(SKIP_1) | instid1(VALU_DEP_2)
	v_mul_f32_e32 v77, 0x3fb8aa3b, v3
	v_cmp_ngt_f32_e32 vcc_lo, 0xc2ce8ed0, v3
	v_rndne_f32_e32 v79, v77
	v_fma_f32 v80, 0x3fb8aa3b, v3, -v77
	s_delay_alu instid0(VALU_DEP_2) | instskip(NEXT) | instid1(VALU_DEP_2)
	v_sub_f32_e32 v77, v77, v79
	v_fmac_f32_e32 v80, 0x32a5705f, v3
	v_cvt_i32_f32_e32 v79, v79
	s_delay_alu instid0(VALU_DEP_2) | instskip(NEXT) | instid1(VALU_DEP_1)
	v_add_f32_e32 v77, v77, v80
	v_exp_f32_e32 v77, v77
	s_waitcnt_depctr 0xfff
	v_ldexp_f32 v77, v77, v79
	s_delay_alu instid0(VALU_DEP_1) | instskip(SKIP_1) | instid1(VALU_DEP_2)
	v_cndmask_b32_e32 v77, 0, v77, vcc_lo
	v_cmp_nlt_f32_e32 vcc_lo, 0x42b17218, v3
	v_cndmask_b32_e32 v3, 0x7f800000, v77, vcc_lo
	s_delay_alu instid0(VALU_DEP_1) | instskip(NEXT) | instid1(VALU_DEP_1)
	v_add_f32_e32 v3, 1.0, v3
	v_rcp_f32_e32 v3, v3
	s_waitcnt_depctr 0xfff
	v_fma_f32 v3, v3, -2.0, 1.0
.LBB75_15:                              ;   in Loop: Header=BB75_9 Depth=1
	s_and_not1_saveexec_b32 s19, s19
; %bb.16:                               ;   in Loop: Header=BB75_9 Depth=1
	v_mul_f32_e32 v3, v76, v76
	s_delay_alu instid0(VALU_DEP_1) | instskip(NEXT) | instid1(VALU_DEP_1)
	v_fmaak_f32 v77, s18, v3, 0x3ca908c9
	v_fmaak_f32 v77, v3, v77, 0xbd5c1c4e
	s_delay_alu instid0(VALU_DEP_1) | instskip(NEXT) | instid1(VALU_DEP_1)
	v_fmaak_f32 v77, v3, v77, 0x3e088382
	v_fmaak_f32 v77, v3, v77, 0xbeaaaa99
	s_delay_alu instid0(VALU_DEP_1) | instskip(NEXT) | instid1(VALU_DEP_1)
	v_mul_f32_e64 v77, |v76|, v77
	v_fma_f32 v3, v3, v77, |v76|
; %bb.17:                               ;   in Loop: Header=BB75_9 Depth=1
	s_or_b32 exec_lo, exec_lo, s19
	flat_load_u16 v0, v[0:1] offset:64
	v_bfi_b32 v1, 0x7fffffff, v2, v75
	v_xor_b32_e32 v80, 16, v17
	v_bfi_b32 v2, 0x7fffffff, v3, v76
	v_xor_b32_e32 v79, 8, v17
	v_xor_b32_e32 v77, 4, v17
	s_waitcnt vmcnt(1) lgkmcnt(1)
	v_fma_mix_f32 v93, v1, s8, v92 op_sel_hi:[0,0,1]
	v_cmp_gt_i32_e32 vcc_lo, 32, v80
	v_xor_b32_e32 v76, 2, v17
	v_cmp_ngt_f32_e64 s19, 0x3f200000, |v88|
	s_delay_alu instid0(VALU_DEP_4) | instskip(SKIP_4) | instid1(VALU_DEP_2)
	v_add_f32_e32 v1, 0x40051340, v93
	s_waitcnt vmcnt(0) lgkmcnt(0)
	v_fma_mix_f32 v94, v2, s8, v0 op_sel_hi:[0,0,1]
	v_cndmask_b32_e32 v2, v17, v80, vcc_lo
	v_cmp_gt_i32_e32 vcc_lo, 32, v79
	v_dual_cndmask_b32 v75, v17, v79 :: v_dual_lshlrev_b32 v2, 2, v2
	v_cmp_gt_i32_e32 vcc_lo, 32, v77
	s_delay_alu instid0(VALU_DEP_2) | instskip(SKIP_2) | instid1(VALU_DEP_2)
	v_lshlrev_b32_e32 v95, 2, v75
	v_cndmask_b32_e32 v75, v17, v77, vcc_lo
	v_cmp_gt_i32_e32 vcc_lo, 32, v76
	v_lshlrev_b32_e32 v91, 2, v75
	v_cndmask_b32_e32 v75, v17, v76, vcc_lo
	s_delay_alu instid0(VALU_DEP_1) | instskip(NEXT) | instid1(VALU_DEP_1)
	v_dual_add_f32 v3, 0x40051340, v94 :: v_dual_lshlrev_b32 v90, 2, v75
	v_max3_f32 v1, v69, v1, v3
	v_xor_b32_e32 v75, 1, v17
	ds_bpermute_b32 v3, v2, v1
	v_cmp_gt_i32_e32 vcc_lo, 32, v75
	v_cndmask_b32_e32 v96, v17, v75, vcc_lo
	s_waitcnt lgkmcnt(0)
	v_max_f32_e32 v3, v3, v3
	s_delay_alu instid0(VALU_DEP_1) | instskip(SKIP_3) | instid1(VALU_DEP_1)
	v_max_f32_e32 v1, v1, v3
	ds_bpermute_b32 v3, v95, v1
	s_waitcnt lgkmcnt(0)
	v_max_f32_e32 v3, v3, v3
	v_max_f32_e32 v1, v1, v3
	ds_bpermute_b32 v3, v91, v1
	s_waitcnt lgkmcnt(0)
	v_max_f32_e32 v3, v3, v3
	s_delay_alu instid0(VALU_DEP_1) | instskip(SKIP_3) | instid1(VALU_DEP_1)
	v_max_f32_e32 v1, v1, v3
	ds_bpermute_b32 v3, v90, v1
	s_waitcnt lgkmcnt(0)
	v_max_f32_e32 v97, v3, v3
	v_dual_max_f32 v108, v1, v97 :: v_dual_lshlrev_b32 v3, 2, v96
                                        ; implicit-def: $vgpr1
	ds_bpermute_b32 v109, v3, v108
	s_and_saveexec_b32 s20, s19
	s_delay_alu instid0(SALU_CYCLE_1)
	s_xor_b32 s19, exec_lo, s20
	s_cbranch_execz .LBB75_19
; %bb.18:                               ;   in Loop: Header=BB75_9 Depth=1
	v_add_f32_e64 v1, |v88|, |v88|
	s_delay_alu instid0(VALU_DEP_1) | instskip(SKIP_1) | instid1(VALU_DEP_2)
	v_mul_f32_e32 v96, 0x3fb8aa3b, v1
	v_cmp_ngt_f32_e32 vcc_lo, 0xc2ce8ed0, v1
	v_rndne_f32_e32 v97, v96
	v_fma_f32 v99, 0x3fb8aa3b, v1, -v96
	s_delay_alu instid0(VALU_DEP_2) | instskip(NEXT) | instid1(VALU_DEP_2)
	v_sub_f32_e32 v96, v96, v97
	v_fmac_f32_e32 v99, 0x32a5705f, v1
	v_cvt_i32_f32_e32 v97, v97
	s_delay_alu instid0(VALU_DEP_2) | instskip(NEXT) | instid1(VALU_DEP_1)
	v_add_f32_e32 v96, v96, v99
	v_exp_f32_e32 v96, v96
	s_waitcnt_depctr 0xfff
	v_ldexp_f32 v96, v96, v97
	s_delay_alu instid0(VALU_DEP_1) | instskip(SKIP_1) | instid1(VALU_DEP_2)
	v_cndmask_b32_e32 v96, 0, v96, vcc_lo
	v_cmp_nlt_f32_e32 vcc_lo, 0x42b17218, v1
	v_cndmask_b32_e32 v1, 0x7f800000, v96, vcc_lo
	s_delay_alu instid0(VALU_DEP_1) | instskip(NEXT) | instid1(VALU_DEP_1)
	v_add_f32_e32 v1, 1.0, v1
	v_rcp_f32_e32 v1, v1
	s_waitcnt_depctr 0xfff
	v_fma_f32 v1, v1, -2.0, 1.0
.LBB75_19:                              ;   in Loop: Header=BB75_9 Depth=1
	s_and_not1_saveexec_b32 s19, s19
; %bb.20:                               ;   in Loop: Header=BB75_9 Depth=1
	v_mul_f32_e32 v1, v88, v88
	s_delay_alu instid0(VALU_DEP_1) | instskip(NEXT) | instid1(VALU_DEP_1)
	v_fmaak_f32 v96, s18, v1, 0x3ca908c9
	v_fmaak_f32 v96, v1, v96, 0xbd5c1c4e
	s_delay_alu instid0(VALU_DEP_1) | instskip(NEXT) | instid1(VALU_DEP_1)
	v_fmaak_f32 v96, v1, v96, 0x3e088382
	v_fmaak_f32 v96, v1, v96, 0xbeaaaa99
	s_delay_alu instid0(VALU_DEP_1) | instskip(NEXT) | instid1(VALU_DEP_1)
	v_mul_f32_e64 v96, |v88|, v96
	v_fma_f32 v1, v1, v96, |v88|
; %bb.21:                               ;   in Loop: Header=BB75_9 Depth=1
	s_or_b32 exec_lo, exec_lo, s19
	v_cmp_ngt_f32_e64 s19, 0x3f200000, |v89|
                                        ; implicit-def: $vgpr97
	s_delay_alu instid0(VALU_DEP_1) | instskip(NEXT) | instid1(SALU_CYCLE_1)
	s_and_saveexec_b32 s20, s19
	s_xor_b32 s19, exec_lo, s20
	s_cbranch_execz .LBB75_23
; %bb.22:                               ;   in Loop: Header=BB75_9 Depth=1
	v_add_f32_e64 v96, |v89|, |v89|
	s_delay_alu instid0(VALU_DEP_1) | instskip(SKIP_1) | instid1(VALU_DEP_2)
	v_mul_f32_e32 v97, 0x3fb8aa3b, v96
	v_cmp_ngt_f32_e32 vcc_lo, 0xc2ce8ed0, v96
	v_rndne_f32_e32 v99, v97
	v_fma_f32 v100, 0x3fb8aa3b, v96, -v97
	s_delay_alu instid0(VALU_DEP_1) | instskip(SKIP_1) | instid1(VALU_DEP_2)
	v_dual_sub_f32 v97, v97, v99 :: v_dual_fmac_f32 v100, 0x32a5705f, v96
	v_cvt_i32_f32_e32 v99, v99
	v_add_f32_e32 v97, v97, v100
	s_delay_alu instid0(VALU_DEP_1) | instskip(SKIP_2) | instid1(VALU_DEP_1)
	v_exp_f32_e32 v97, v97
	s_waitcnt_depctr 0xfff
	v_ldexp_f32 v97, v97, v99
	v_cndmask_b32_e32 v97, 0, v97, vcc_lo
	v_cmp_nlt_f32_e32 vcc_lo, 0x42b17218, v96
	s_delay_alu instid0(VALU_DEP_2) | instskip(NEXT) | instid1(VALU_DEP_1)
	v_cndmask_b32_e32 v96, 0x7f800000, v97, vcc_lo
	v_add_f32_e32 v96, 1.0, v96
	s_delay_alu instid0(VALU_DEP_1)
	v_rcp_f32_e32 v96, v96
	s_waitcnt_depctr 0xfff
	v_fma_f32 v97, v96, -2.0, 1.0
.LBB75_23:                              ;   in Loop: Header=BB75_9 Depth=1
	s_and_not1_saveexec_b32 s19, s19
; %bb.24:                               ;   in Loop: Header=BB75_9 Depth=1
	v_mul_f32_e32 v96, v89, v89
	s_delay_alu instid0(VALU_DEP_1) | instskip(NEXT) | instid1(VALU_DEP_1)
	v_fmaak_f32 v97, s18, v96, 0x3ca908c9
	v_fmaak_f32 v97, v96, v97, 0xbd5c1c4e
	s_delay_alu instid0(VALU_DEP_1) | instskip(NEXT) | instid1(VALU_DEP_1)
	v_fmaak_f32 v97, v96, v97, 0x3e088382
	v_fmaak_f32 v97, v96, v97, 0xbeaaaa99
	s_delay_alu instid0(VALU_DEP_1) | instskip(NEXT) | instid1(VALU_DEP_1)
	v_mul_f32_e64 v97, |v89|, v97
	v_fma_f32 v97, v96, v97, |v89|
; %bb.25:                               ;   in Loop: Header=BB75_9 Depth=1
	s_or_b32 exec_lo, exec_lo, s19
	v_cvt_f32_f16_e32 v96, v92
	v_cvt_f32_f16_e32 v92, v0
	v_bfi_b32 v0, 0x7fffffff, v1, v88
	v_bfi_b32 v1, 0x7fffffff, v97, v89
	v_cmp_ngt_f32_e64 s19, 0x3f200000, |v86|
	s_delay_alu instid0(VALU_DEP_3) | instskip(NEXT) | instid1(VALU_DEP_3)
	v_fma_f32 v89, s8, v0, v96
	v_fma_f32 v88, s8, v1, v92
	s_delay_alu instid0(VALU_DEP_1) | instskip(NEXT) | instid1(VALU_DEP_1)
	v_dual_add_f32 v0, 0x40051340, v89 :: v_dual_add_f32 v1, 0x40051340, v88
	v_max3_f32 v0, v70, v0, v1
	ds_bpermute_b32 v1, v2, v0
	s_waitcnt lgkmcnt(0)
	v_max_f32_e32 v1, v1, v1
	s_delay_alu instid0(VALU_DEP_1) | instskip(SKIP_3) | instid1(VALU_DEP_1)
	v_max_f32_e32 v0, v0, v1
	ds_bpermute_b32 v1, v95, v0
	s_waitcnt lgkmcnt(0)
	v_max_f32_e32 v1, v1, v1
	v_max_f32_e32 v0, v0, v1
	ds_bpermute_b32 v1, v91, v0
	s_waitcnt lgkmcnt(0)
	v_max_f32_e32 v1, v1, v1
	s_delay_alu instid0(VALU_DEP_1) | instskip(SKIP_3) | instid1(VALU_DEP_1)
	v_max_f32_e32 v0, v0, v1
	ds_bpermute_b32 v1, v90, v0
	s_waitcnt lgkmcnt(0)
	v_max_f32_e32 v1, v1, v1
	v_max_f32_e32 v110, v0, v1
                                        ; implicit-def: $vgpr0
	ds_bpermute_b32 v111, v3, v110
	s_and_saveexec_b32 s20, s19
	s_delay_alu instid0(SALU_CYCLE_1)
	s_xor_b32 s19, exec_lo, s20
	s_cbranch_execz .LBB75_27
; %bb.26:                               ;   in Loop: Header=BB75_9 Depth=1
	v_add_f32_e64 v0, |v86|, |v86|
	s_delay_alu instid0(VALU_DEP_1) | instskip(SKIP_1) | instid1(VALU_DEP_2)
	v_mul_f32_e32 v1, 0x3fb8aa3b, v0
	v_cmp_ngt_f32_e32 vcc_lo, 0xc2ce8ed0, v0
	v_rndne_f32_e32 v97, v1
	v_fma_f32 v99, 0x3fb8aa3b, v0, -v1
	s_delay_alu instid0(VALU_DEP_2) | instskip(NEXT) | instid1(VALU_DEP_2)
	v_sub_f32_e32 v1, v1, v97
	v_fmac_f32_e32 v99, 0x32a5705f, v0
	v_cvt_i32_f32_e32 v97, v97
	s_delay_alu instid0(VALU_DEP_2) | instskip(NEXT) | instid1(VALU_DEP_1)
	v_add_f32_e32 v1, v1, v99
	v_exp_f32_e32 v1, v1
	s_waitcnt_depctr 0xfff
	v_ldexp_f32 v1, v1, v97
	s_delay_alu instid0(VALU_DEP_1) | instskip(SKIP_1) | instid1(VALU_DEP_2)
	v_cndmask_b32_e32 v1, 0, v1, vcc_lo
	v_cmp_nlt_f32_e32 vcc_lo, 0x42b17218, v0
	v_cndmask_b32_e32 v0, 0x7f800000, v1, vcc_lo
	s_delay_alu instid0(VALU_DEP_1) | instskip(NEXT) | instid1(VALU_DEP_1)
	v_add_f32_e32 v0, 1.0, v0
	v_rcp_f32_e32 v0, v0
	s_waitcnt_depctr 0xfff
	v_fma_f32 v0, v0, -2.0, 1.0
.LBB75_27:                              ;   in Loop: Header=BB75_9 Depth=1
	s_and_not1_saveexec_b32 s19, s19
; %bb.28:                               ;   in Loop: Header=BB75_9 Depth=1
	v_mul_f32_e32 v0, v86, v86
	s_delay_alu instid0(VALU_DEP_1) | instskip(NEXT) | instid1(VALU_DEP_1)
	v_fmaak_f32 v1, s18, v0, 0x3ca908c9
	v_fmaak_f32 v1, v0, v1, 0xbd5c1c4e
	s_delay_alu instid0(VALU_DEP_1) | instskip(NEXT) | instid1(VALU_DEP_1)
	v_fmaak_f32 v1, v0, v1, 0x3e088382
	v_fmaak_f32 v1, v0, v1, 0xbeaaaa99
	s_delay_alu instid0(VALU_DEP_1) | instskip(NEXT) | instid1(VALU_DEP_1)
	v_mul_f32_e64 v1, |v86|, v1
	v_fma_f32 v0, v0, v1, |v86|
; %bb.29:                               ;   in Loop: Header=BB75_9 Depth=1
	s_or_b32 exec_lo, exec_lo, s19
	v_cmp_ngt_f32_e64 s19, 0x3f200000, |v87|
                                        ; implicit-def: $vgpr1
	s_delay_alu instid0(VALU_DEP_1) | instskip(NEXT) | instid1(SALU_CYCLE_1)
	s_and_saveexec_b32 s20, s19
	s_xor_b32 s19, exec_lo, s20
	s_cbranch_execz .LBB75_31
; %bb.30:                               ;   in Loop: Header=BB75_9 Depth=1
	v_add_f32_e64 v1, |v87|, |v87|
	s_delay_alu instid0(VALU_DEP_1) | instskip(SKIP_1) | instid1(VALU_DEP_2)
	v_mul_f32_e32 v97, 0x3fb8aa3b, v1
	v_cmp_ngt_f32_e32 vcc_lo, 0xc2ce8ed0, v1
	v_rndne_f32_e32 v99, v97
	v_fma_f32 v100, 0x3fb8aa3b, v1, -v97
	s_delay_alu instid0(VALU_DEP_1) | instskip(SKIP_1) | instid1(VALU_DEP_2)
	v_dual_sub_f32 v97, v97, v99 :: v_dual_fmac_f32 v100, 0x32a5705f, v1
	v_cvt_i32_f32_e32 v99, v99
	v_add_f32_e32 v97, v97, v100
	s_delay_alu instid0(VALU_DEP_1) | instskip(SKIP_2) | instid1(VALU_DEP_1)
	v_exp_f32_e32 v97, v97
	s_waitcnt_depctr 0xfff
	v_ldexp_f32 v97, v97, v99
	v_cndmask_b32_e32 v97, 0, v97, vcc_lo
	v_cmp_nlt_f32_e32 vcc_lo, 0x42b17218, v1
	s_delay_alu instid0(VALU_DEP_2) | instskip(NEXT) | instid1(VALU_DEP_1)
	v_cndmask_b32_e32 v1, 0x7f800000, v97, vcc_lo
	v_add_f32_e32 v1, 1.0, v1
	s_delay_alu instid0(VALU_DEP_1)
	v_rcp_f32_e32 v1, v1
	s_waitcnt_depctr 0xfff
	v_fma_f32 v1, v1, -2.0, 1.0
.LBB75_31:                              ;   in Loop: Header=BB75_9 Depth=1
	s_and_not1_saveexec_b32 s19, s19
; %bb.32:                               ;   in Loop: Header=BB75_9 Depth=1
	v_mul_f32_e32 v1, v87, v87
	s_delay_alu instid0(VALU_DEP_1) | instskip(NEXT) | instid1(VALU_DEP_1)
	v_fmaak_f32 v97, s18, v1, 0x3ca908c9
	v_fmaak_f32 v97, v1, v97, 0xbd5c1c4e
	s_delay_alu instid0(VALU_DEP_1) | instskip(NEXT) | instid1(VALU_DEP_1)
	v_fmaak_f32 v97, v1, v97, 0x3e088382
	v_fmaak_f32 v97, v1, v97, 0xbeaaaa99
	s_delay_alu instid0(VALU_DEP_1) | instskip(NEXT) | instid1(VALU_DEP_1)
	v_mul_f32_e64 v97, |v87|, v97
	v_fma_f32 v1, v1, v97, |v87|
; %bb.33:                               ;   in Loop: Header=BB75_9 Depth=1
	s_or_b32 exec_lo, exec_lo, s19
	v_bfi_b32 v0, 0x7fffffff, v0, v86
	s_delay_alu instid0(VALU_DEP_2) | instskip(SKIP_1) | instid1(VALU_DEP_3)
	v_bfi_b32 v1, 0x7fffffff, v1, v87
	v_cmp_ngt_f32_e64 s19, 0x3f200000, |v84|
	v_fma_f32 v86, s8, v0, v96
	s_delay_alu instid0(VALU_DEP_3) | instskip(NEXT) | instid1(VALU_DEP_1)
	v_fma_f32 v87, s8, v1, v92
	v_dual_add_f32 v0, 0x40051340, v86 :: v_dual_add_f32 v1, 0x40051340, v87
	s_delay_alu instid0(VALU_DEP_1) | instskip(SKIP_3) | instid1(VALU_DEP_1)
	v_max3_f32 v0, v67, v0, v1
	ds_bpermute_b32 v1, v2, v0
	s_waitcnt lgkmcnt(0)
	v_max_f32_e32 v1, v1, v1
	v_max_f32_e32 v0, v0, v1
	ds_bpermute_b32 v1, v95, v0
	s_waitcnt lgkmcnt(0)
	v_max_f32_e32 v1, v1, v1
	s_delay_alu instid0(VALU_DEP_1) | instskip(SKIP_3) | instid1(VALU_DEP_1)
	v_max_f32_e32 v0, v0, v1
	ds_bpermute_b32 v1, v91, v0
	s_waitcnt lgkmcnt(0)
	v_max_f32_e32 v1, v1, v1
	v_max_f32_e32 v0, v0, v1
	ds_bpermute_b32 v1, v90, v0
	s_waitcnt lgkmcnt(0)
	v_max_f32_e32 v1, v1, v1
	s_delay_alu instid0(VALU_DEP_1) | instskip(SKIP_2) | instid1(SALU_CYCLE_1)
	v_max_f32_e32 v97, v0, v1
                                        ; implicit-def: $vgpr0
	ds_bpermute_b32 v112, v3, v97
	s_and_saveexec_b32 s20, s19
	s_xor_b32 s19, exec_lo, s20
	s_cbranch_execz .LBB75_35
; %bb.34:                               ;   in Loop: Header=BB75_9 Depth=1
	v_add_f32_e64 v0, |v84|, |v84|
	s_delay_alu instid0(VALU_DEP_1) | instskip(SKIP_1) | instid1(VALU_DEP_2)
	v_mul_f32_e32 v1, 0x3fb8aa3b, v0
	v_cmp_ngt_f32_e32 vcc_lo, 0xc2ce8ed0, v0
	v_rndne_f32_e32 v99, v1
	v_fma_f32 v100, 0x3fb8aa3b, v0, -v1
	s_delay_alu instid0(VALU_DEP_1) | instskip(SKIP_1) | instid1(VALU_DEP_2)
	v_dual_sub_f32 v1, v1, v99 :: v_dual_fmac_f32 v100, 0x32a5705f, v0
	v_cvt_i32_f32_e32 v99, v99
	v_add_f32_e32 v1, v1, v100
	s_delay_alu instid0(VALU_DEP_1) | instskip(SKIP_2) | instid1(VALU_DEP_1)
	v_exp_f32_e32 v1, v1
	s_waitcnt_depctr 0xfff
	v_ldexp_f32 v1, v1, v99
	v_cndmask_b32_e32 v1, 0, v1, vcc_lo
	v_cmp_nlt_f32_e32 vcc_lo, 0x42b17218, v0
	s_delay_alu instid0(VALU_DEP_2) | instskip(NEXT) | instid1(VALU_DEP_1)
	v_cndmask_b32_e32 v0, 0x7f800000, v1, vcc_lo
	v_add_f32_e32 v0, 1.0, v0
	s_delay_alu instid0(VALU_DEP_1)
	v_rcp_f32_e32 v0, v0
	s_waitcnt_depctr 0xfff
	v_fma_f32 v0, v0, -2.0, 1.0
.LBB75_35:                              ;   in Loop: Header=BB75_9 Depth=1
	s_and_not1_saveexec_b32 s19, s19
; %bb.36:                               ;   in Loop: Header=BB75_9 Depth=1
	v_mul_f32_e32 v0, v84, v84
	s_delay_alu instid0(VALU_DEP_1) | instskip(NEXT) | instid1(VALU_DEP_1)
	v_fmaak_f32 v1, s18, v0, 0x3ca908c9
	v_fmaak_f32 v1, v0, v1, 0xbd5c1c4e
	s_delay_alu instid0(VALU_DEP_1) | instskip(NEXT) | instid1(VALU_DEP_1)
	v_fmaak_f32 v1, v0, v1, 0x3e088382
	v_fmaak_f32 v1, v0, v1, 0xbeaaaa99
	s_delay_alu instid0(VALU_DEP_1) | instskip(NEXT) | instid1(VALU_DEP_1)
	v_mul_f32_e64 v1, |v84|, v1
	v_fma_f32 v0, v0, v1, |v84|
; %bb.37:                               ;   in Loop: Header=BB75_9 Depth=1
	s_or_b32 exec_lo, exec_lo, s19
	v_cmp_ngt_f32_e64 s19, 0x3f200000, |v85|
                                        ; implicit-def: $vgpr1
	s_delay_alu instid0(VALU_DEP_1) | instskip(NEXT) | instid1(SALU_CYCLE_1)
	s_and_saveexec_b32 s20, s19
	s_xor_b32 s19, exec_lo, s20
	s_cbranch_execz .LBB75_39
; %bb.38:                               ;   in Loop: Header=BB75_9 Depth=1
	v_add_f32_e64 v1, |v85|, |v85|
	s_delay_alu instid0(VALU_DEP_1) | instskip(SKIP_1) | instid1(VALU_DEP_2)
	v_mul_f32_e32 v99, 0x3fb8aa3b, v1
	v_cmp_ngt_f32_e32 vcc_lo, 0xc2ce8ed0, v1
	v_rndne_f32_e32 v100, v99
	v_fma_f32 v101, 0x3fb8aa3b, v1, -v99
	s_delay_alu instid0(VALU_DEP_2) | instskip(NEXT) | instid1(VALU_DEP_2)
	v_sub_f32_e32 v99, v99, v100
	v_fmac_f32_e32 v101, 0x32a5705f, v1
	v_cvt_i32_f32_e32 v100, v100
	s_delay_alu instid0(VALU_DEP_2) | instskip(NEXT) | instid1(VALU_DEP_1)
	v_add_f32_e32 v99, v99, v101
	v_exp_f32_e32 v99, v99
	s_waitcnt_depctr 0xfff
	v_ldexp_f32 v99, v99, v100
	s_delay_alu instid0(VALU_DEP_1) | instskip(SKIP_1) | instid1(VALU_DEP_2)
	v_cndmask_b32_e32 v99, 0, v99, vcc_lo
	v_cmp_nlt_f32_e32 vcc_lo, 0x42b17218, v1
	v_cndmask_b32_e32 v1, 0x7f800000, v99, vcc_lo
	s_delay_alu instid0(VALU_DEP_1) | instskip(NEXT) | instid1(VALU_DEP_1)
	v_add_f32_e32 v1, 1.0, v1
	v_rcp_f32_e32 v1, v1
	s_waitcnt_depctr 0xfff
	v_fma_f32 v1, v1, -2.0, 1.0
.LBB75_39:                              ;   in Loop: Header=BB75_9 Depth=1
	s_and_not1_saveexec_b32 s19, s19
; %bb.40:                               ;   in Loop: Header=BB75_9 Depth=1
	v_mul_f32_e32 v1, v85, v85
	s_delay_alu instid0(VALU_DEP_1) | instskip(NEXT) | instid1(VALU_DEP_1)
	v_fmaak_f32 v99, s18, v1, 0x3ca908c9
	v_fmaak_f32 v99, v1, v99, 0xbd5c1c4e
	s_delay_alu instid0(VALU_DEP_1) | instskip(NEXT) | instid1(VALU_DEP_1)
	v_fmaak_f32 v99, v1, v99, 0x3e088382
	v_fmaak_f32 v99, v1, v99, 0xbeaaaa99
	s_delay_alu instid0(VALU_DEP_1) | instskip(NEXT) | instid1(VALU_DEP_1)
	v_mul_f32_e64 v99, |v85|, v99
	v_fma_f32 v1, v1, v99, |v85|
; %bb.41:                               ;   in Loop: Header=BB75_9 Depth=1
	s_or_b32 exec_lo, exec_lo, s19
	v_bfi_b32 v0, 0x7fffffff, v0, v84
	s_delay_alu instid0(VALU_DEP_2) | instskip(SKIP_1) | instid1(VALU_DEP_3)
	v_bfi_b32 v1, 0x7fffffff, v1, v85
	v_cmp_ngt_f32_e64 s19, 0x3f200000, |v82|
                                        ; implicit-def: $vgpr100
	v_fmac_f32_e32 v96, s8, v0
	s_delay_alu instid0(VALU_DEP_3) | instskip(NEXT) | instid1(VALU_DEP_2)
	v_fmac_f32_e32 v92, s8, v1
	v_add_f32_e32 v0, 0x40051340, v96
	s_delay_alu instid0(VALU_DEP_2) | instskip(NEXT) | instid1(VALU_DEP_1)
	v_add_f32_e32 v1, 0x40051340, v92
	v_max3_f32 v0, v66, v0, v1
	ds_bpermute_b32 v1, v2, v0
	s_waitcnt lgkmcnt(0)
	v_max_f32_e32 v1, v1, v1
	s_delay_alu instid0(VALU_DEP_1) | instskip(SKIP_3) | instid1(VALU_DEP_1)
	v_max_f32_e32 v0, v0, v1
	ds_bpermute_b32 v1, v95, v0
	s_waitcnt lgkmcnt(0)
	v_max_f32_e32 v1, v1, v1
	v_max_f32_e32 v0, v0, v1
	ds_bpermute_b32 v1, v91, v0
	s_waitcnt lgkmcnt(0)
	v_max_f32_e32 v1, v1, v1
	s_delay_alu instid0(VALU_DEP_1) | instskip(SKIP_3) | instid1(VALU_DEP_1)
	v_max_f32_e32 v0, v0, v1
	ds_bpermute_b32 v1, v90, v0
	s_waitcnt lgkmcnt(0)
	v_max_f32_e32 v1, v1, v1
	v_max_f32_e32 v84, v0, v1
	ds_bpermute_b32 v85, v3, v84
	s_and_saveexec_b32 s20, s19
	s_delay_alu instid0(SALU_CYCLE_1)
	s_xor_b32 s19, exec_lo, s20
	s_cbranch_execz .LBB75_43
; %bb.42:                               ;   in Loop: Header=BB75_9 Depth=1
	v_add_f32_e64 v0, |v82|, |v82|
	s_delay_alu instid0(VALU_DEP_1) | instskip(SKIP_1) | instid1(VALU_DEP_2)
	v_mul_f32_e32 v1, 0x3fb8aa3b, v0
	v_cmp_ngt_f32_e32 vcc_lo, 0xc2ce8ed0, v0
	v_rndne_f32_e32 v99, v1
	v_fma_f32 v100, 0x3fb8aa3b, v0, -v1
	s_delay_alu instid0(VALU_DEP_1) | instskip(SKIP_1) | instid1(VALU_DEP_2)
	v_dual_sub_f32 v1, v1, v99 :: v_dual_fmac_f32 v100, 0x32a5705f, v0
	v_cvt_i32_f32_e32 v99, v99
	v_add_f32_e32 v1, v1, v100
	s_delay_alu instid0(VALU_DEP_1) | instskip(SKIP_2) | instid1(VALU_DEP_1)
	v_exp_f32_e32 v1, v1
	s_waitcnt_depctr 0xfff
	v_ldexp_f32 v1, v1, v99
	v_cndmask_b32_e32 v1, 0, v1, vcc_lo
	v_cmp_nlt_f32_e32 vcc_lo, 0x42b17218, v0
	s_delay_alu instid0(VALU_DEP_2) | instskip(NEXT) | instid1(VALU_DEP_1)
	v_cndmask_b32_e32 v0, 0x7f800000, v1, vcc_lo
	v_add_f32_e32 v0, 1.0, v0
	s_delay_alu instid0(VALU_DEP_1)
	v_rcp_f32_e32 v0, v0
	s_waitcnt_depctr 0xfff
	v_fma_f32 v100, v0, -2.0, 1.0
.LBB75_43:                              ;   in Loop: Header=BB75_9 Depth=1
	s_and_not1_saveexec_b32 s19, s19
; %bb.44:                               ;   in Loop: Header=BB75_9 Depth=1
	v_mul_f32_e32 v0, v82, v82
	s_delay_alu instid0(VALU_DEP_1) | instskip(NEXT) | instid1(VALU_DEP_1)
	v_fmaak_f32 v1, s18, v0, 0x3ca908c9
	v_fmaak_f32 v1, v0, v1, 0xbd5c1c4e
	s_delay_alu instid0(VALU_DEP_1) | instskip(NEXT) | instid1(VALU_DEP_1)
	v_fmaak_f32 v1, v0, v1, 0x3e088382
	v_fmaak_f32 v1, v0, v1, 0xbeaaaa99
	s_delay_alu instid0(VALU_DEP_1) | instskip(NEXT) | instid1(VALU_DEP_1)
	v_mul_f32_e64 v1, |v82|, v1
	v_fma_f32 v100, v0, v1, |v82|
; %bb.45:                               ;   in Loop: Header=BB75_9 Depth=1
	s_or_b32 exec_lo, exec_lo, s19
	v_add_nc_u32_e32 v0, v98, v23
	v_cmp_ngt_f32_e64 s19, 0x3f200000, |v83|
                                        ; implicit-def: $vgpr98
	s_delay_alu instid0(VALU_DEP_2) | instskip(NEXT) | instid1(VALU_DEP_1)
	v_ashrrev_i32_e32 v1, 31, v0
	v_lshlrev_b64 v[0:1], 1, v[0:1]
	s_delay_alu instid0(VALU_DEP_1) | instskip(NEXT) | instid1(VALU_DEP_2)
	v_add_co_u32 v0, vcc_lo, s36, v0
	v_add_co_ci_u32_e32 v1, vcc_lo, s37, v1, vcc_lo
	flat_load_u16 v99, v[0:1]
	s_and_saveexec_b32 s20, s19
	s_delay_alu instid0(SALU_CYCLE_1)
	s_xor_b32 s19, exec_lo, s20
	s_cbranch_execz .LBB75_47
; %bb.46:                               ;   in Loop: Header=BB75_9 Depth=1
	v_add_f32_e64 v98, |v83|, |v83|
	s_delay_alu instid0(VALU_DEP_1) | instskip(SKIP_1) | instid1(VALU_DEP_2)
	v_mul_f32_e32 v101, 0x3fb8aa3b, v98
	v_cmp_ngt_f32_e32 vcc_lo, 0xc2ce8ed0, v98
	v_rndne_f32_e32 v102, v101
	v_fma_f32 v103, 0x3fb8aa3b, v98, -v101
	s_delay_alu instid0(VALU_DEP_2) | instskip(NEXT) | instid1(VALU_DEP_2)
	v_sub_f32_e32 v101, v101, v102
	v_fmac_f32_e32 v103, 0x32a5705f, v98
	v_cvt_i32_f32_e32 v102, v102
	s_delay_alu instid0(VALU_DEP_2) | instskip(NEXT) | instid1(VALU_DEP_1)
	v_add_f32_e32 v101, v101, v103
	v_exp_f32_e32 v101, v101
	s_waitcnt_depctr 0xfff
	v_ldexp_f32 v101, v101, v102
	s_delay_alu instid0(VALU_DEP_1) | instskip(SKIP_1) | instid1(VALU_DEP_2)
	v_cndmask_b32_e32 v101, 0, v101, vcc_lo
	v_cmp_nlt_f32_e32 vcc_lo, 0x42b17218, v98
	v_cndmask_b32_e32 v98, 0x7f800000, v101, vcc_lo
	s_delay_alu instid0(VALU_DEP_1) | instskip(NEXT) | instid1(VALU_DEP_1)
	v_add_f32_e32 v98, 1.0, v98
	v_rcp_f32_e32 v98, v98
	s_waitcnt_depctr 0xfff
	v_fma_f32 v98, v98, -2.0, 1.0
.LBB75_47:                              ;   in Loop: Header=BB75_9 Depth=1
	s_and_not1_saveexec_b32 s19, s19
; %bb.48:                               ;   in Loop: Header=BB75_9 Depth=1
	v_mul_f32_e32 v98, v83, v83
	s_delay_alu instid0(VALU_DEP_1) | instskip(NEXT) | instid1(VALU_DEP_1)
	v_fmaak_f32 v101, s18, v98, 0x3ca908c9
	v_fmaak_f32 v101, v98, v101, 0xbd5c1c4e
	s_delay_alu instid0(VALU_DEP_1) | instskip(NEXT) | instid1(VALU_DEP_1)
	v_fmaak_f32 v101, v98, v101, 0x3e088382
	v_fmaak_f32 v101, v98, v101, 0xbeaaaa99
	s_delay_alu instid0(VALU_DEP_1) | instskip(NEXT) | instid1(VALU_DEP_1)
	v_mul_f32_e64 v101, |v83|, v101
	v_fma_f32 v98, v98, v101, |v83|
; %bb.49:                               ;   in Loop: Header=BB75_9 Depth=1
	s_or_b32 exec_lo, exec_lo, s19
	flat_load_u16 v0, v[0:1] offset:64
	v_bfi_b32 v1, 0x7fffffff, v100, v82
	v_bfi_b32 v82, 0x7fffffff, v98, v83
	v_cmp_ngt_f32_e64 s19, 0x3f200000, |v78|
	s_waitcnt vmcnt(1) lgkmcnt(1)
	s_delay_alu instid0(VALU_DEP_3) | instskip(SKIP_2) | instid1(VALU_DEP_1)
	v_fma_mix_f32 v83, v1, s8, v99 op_sel_hi:[0,0,1]
	s_waitcnt vmcnt(0) lgkmcnt(0)
	v_fma_mix_f32 v98, v82, s8, v0 op_sel_hi:[0,0,1]
	v_dual_add_f32 v1, 0x40051340, v83 :: v_dual_add_f32 v82, 0x40051340, v98
	s_delay_alu instid0(VALU_DEP_1) | instskip(SKIP_3) | instid1(VALU_DEP_1)
	v_max3_f32 v1, v65, v1, v82
	ds_bpermute_b32 v82, v2, v1
	s_waitcnt lgkmcnt(0)
	v_max_f32_e32 v82, v82, v82
	v_max_f32_e32 v1, v1, v82
	ds_bpermute_b32 v82, v95, v1
	s_waitcnt lgkmcnt(0)
	v_max_f32_e32 v82, v82, v82
	s_delay_alu instid0(VALU_DEP_1) | instskip(SKIP_3) | instid1(VALU_DEP_1)
	v_max_f32_e32 v1, v1, v82
	ds_bpermute_b32 v82, v91, v1
	s_waitcnt lgkmcnt(0)
	v_max_f32_e32 v82, v82, v82
	v_max_f32_e32 v1, v1, v82
	ds_bpermute_b32 v82, v90, v1
	s_waitcnt lgkmcnt(0)
	v_max_f32_e32 v82, v82, v82
	s_delay_alu instid0(VALU_DEP_1) | instskip(SKIP_2) | instid1(SALU_CYCLE_1)
	v_max_f32_e32 v100, v1, v82
                                        ; implicit-def: $vgpr1
	ds_bpermute_b32 v101, v3, v100
	s_and_saveexec_b32 s20, s19
	s_xor_b32 s19, exec_lo, s20
	s_cbranch_execz .LBB75_51
; %bb.50:                               ;   in Loop: Header=BB75_9 Depth=1
	v_add_f32_e64 v1, |v78|, |v78|
	s_delay_alu instid0(VALU_DEP_1) | instskip(SKIP_1) | instid1(VALU_DEP_2)
	v_mul_f32_e32 v82, 0x3fb8aa3b, v1
	v_cmp_ngt_f32_e32 vcc_lo, 0xc2ce8ed0, v1
	v_rndne_f32_e32 v102, v82
	v_fma_f32 v103, 0x3fb8aa3b, v1, -v82
	s_delay_alu instid0(VALU_DEP_1) | instskip(SKIP_1) | instid1(VALU_DEP_2)
	v_dual_sub_f32 v82, v82, v102 :: v_dual_fmac_f32 v103, 0x32a5705f, v1
	v_cvt_i32_f32_e32 v102, v102
	v_add_f32_e32 v82, v82, v103
	s_delay_alu instid0(VALU_DEP_1) | instskip(SKIP_2) | instid1(VALU_DEP_1)
	v_exp_f32_e32 v82, v82
	s_waitcnt_depctr 0xfff
	v_ldexp_f32 v82, v82, v102
	v_cndmask_b32_e32 v82, 0, v82, vcc_lo
	v_cmp_nlt_f32_e32 vcc_lo, 0x42b17218, v1
	s_delay_alu instid0(VALU_DEP_2) | instskip(NEXT) | instid1(VALU_DEP_1)
	v_cndmask_b32_e32 v1, 0x7f800000, v82, vcc_lo
	v_add_f32_e32 v1, 1.0, v1
	s_delay_alu instid0(VALU_DEP_1)
	v_rcp_f32_e32 v1, v1
	s_waitcnt_depctr 0xfff
	v_fma_f32 v1, v1, -2.0, 1.0
.LBB75_51:                              ;   in Loop: Header=BB75_9 Depth=1
	s_and_not1_saveexec_b32 s19, s19
; %bb.52:                               ;   in Loop: Header=BB75_9 Depth=1
	v_mul_f32_e32 v1, v78, v78
	s_delay_alu instid0(VALU_DEP_1) | instskip(NEXT) | instid1(VALU_DEP_1)
	v_fmaak_f32 v82, s18, v1, 0x3ca908c9
	v_fmaak_f32 v82, v1, v82, 0xbd5c1c4e
	s_delay_alu instid0(VALU_DEP_1) | instskip(NEXT) | instid1(VALU_DEP_1)
	v_fmaak_f32 v82, v1, v82, 0x3e088382
	v_fmaak_f32 v82, v1, v82, 0xbeaaaa99
	s_delay_alu instid0(VALU_DEP_1) | instskip(NEXT) | instid1(VALU_DEP_1)
	v_mul_f32_e64 v82, |v78|, v82
	v_fma_f32 v1, v1, v82, |v78|
; %bb.53:                               ;   in Loop: Header=BB75_9 Depth=1
	s_or_b32 exec_lo, exec_lo, s19
	v_cmp_ngt_f32_e64 s19, 0x3f200000, |v81|
                                        ; implicit-def: $vgpr102
	s_delay_alu instid0(VALU_DEP_1) | instskip(NEXT) | instid1(SALU_CYCLE_1)
	s_and_saveexec_b32 s20, s19
	s_xor_b32 s19, exec_lo, s20
	s_cbranch_execz .LBB75_55
; %bb.54:                               ;   in Loop: Header=BB75_9 Depth=1
	v_add_f32_e64 v82, |v81|, |v81|
	s_delay_alu instid0(VALU_DEP_1) | instskip(SKIP_1) | instid1(VALU_DEP_2)
	v_mul_f32_e32 v102, 0x3fb8aa3b, v82
	v_cmp_ngt_f32_e32 vcc_lo, 0xc2ce8ed0, v82
	v_rndne_f32_e32 v103, v102
	v_fma_f32 v104, 0x3fb8aa3b, v82, -v102
	s_delay_alu instid0(VALU_DEP_2) | instskip(NEXT) | instid1(VALU_DEP_2)
	v_sub_f32_e32 v102, v102, v103
	v_fmac_f32_e32 v104, 0x32a5705f, v82
	v_cvt_i32_f32_e32 v103, v103
	s_delay_alu instid0(VALU_DEP_2) | instskip(NEXT) | instid1(VALU_DEP_1)
	v_add_f32_e32 v102, v102, v104
	v_exp_f32_e32 v102, v102
	s_waitcnt_depctr 0xfff
	v_ldexp_f32 v102, v102, v103
	s_delay_alu instid0(VALU_DEP_1) | instskip(SKIP_1) | instid1(VALU_DEP_2)
	v_cndmask_b32_e32 v102, 0, v102, vcc_lo
	v_cmp_nlt_f32_e32 vcc_lo, 0x42b17218, v82
	v_cndmask_b32_e32 v82, 0x7f800000, v102, vcc_lo
	s_delay_alu instid0(VALU_DEP_1) | instskip(NEXT) | instid1(VALU_DEP_1)
	v_add_f32_e32 v82, 1.0, v82
	v_rcp_f32_e32 v82, v82
	s_waitcnt_depctr 0xfff
	v_fma_f32 v102, v82, -2.0, 1.0
.LBB75_55:                              ;   in Loop: Header=BB75_9 Depth=1
	s_and_not1_saveexec_b32 s19, s19
; %bb.56:                               ;   in Loop: Header=BB75_9 Depth=1
	v_mul_f32_e32 v82, v81, v81
	s_delay_alu instid0(VALU_DEP_1) | instskip(NEXT) | instid1(VALU_DEP_1)
	v_fmaak_f32 v102, s18, v82, 0x3ca908c9
	v_fmaak_f32 v102, v82, v102, 0xbd5c1c4e
	s_delay_alu instid0(VALU_DEP_1) | instskip(NEXT) | instid1(VALU_DEP_1)
	v_fmaak_f32 v102, v82, v102, 0x3e088382
	v_fmaak_f32 v102, v82, v102, 0xbeaaaa99
	s_delay_alu instid0(VALU_DEP_1) | instskip(NEXT) | instid1(VALU_DEP_1)
	v_mul_f32_e64 v102, |v81|, v102
	v_fma_f32 v102, v82, v102, |v81|
; %bb.57:                               ;   in Loop: Header=BB75_9 Depth=1
	s_or_b32 exec_lo, exec_lo, s19
	v_cvt_f32_f16_e32 v99, v99
	v_cvt_f32_f16_e32 v82, v0
	v_bfi_b32 v0, 0x7fffffff, v1, v78
	v_bfi_b32 v1, 0x7fffffff, v102, v81
	v_cmp_ngt_f32_e64 s19, 0x3f200000, |v73|
	s_delay_alu instid0(VALU_DEP_3) | instskip(NEXT) | instid1(VALU_DEP_3)
	v_fma_f32 v81, s8, v0, v99
	v_fma_f32 v78, s8, v1, v82
	s_delay_alu instid0(VALU_DEP_1) | instskip(NEXT) | instid1(VALU_DEP_1)
	v_dual_add_f32 v0, 0x40051340, v81 :: v_dual_add_f32 v1, 0x40051340, v78
	v_max3_f32 v0, v64, v0, v1
	ds_bpermute_b32 v1, v2, v0
	s_waitcnt lgkmcnt(0)
	v_max_f32_e32 v1, v1, v1
	s_delay_alu instid0(VALU_DEP_1) | instskip(SKIP_3) | instid1(VALU_DEP_1)
	v_max_f32_e32 v0, v0, v1
	ds_bpermute_b32 v1, v95, v0
	s_waitcnt lgkmcnt(0)
	v_max_f32_e32 v1, v1, v1
	v_max_f32_e32 v0, v0, v1
	ds_bpermute_b32 v1, v91, v0
	s_waitcnt lgkmcnt(0)
	v_max_f32_e32 v1, v1, v1
	s_delay_alu instid0(VALU_DEP_1) | instskip(SKIP_3) | instid1(VALU_DEP_1)
	v_max_f32_e32 v0, v0, v1
	ds_bpermute_b32 v1, v90, v0
	s_waitcnt lgkmcnt(0)
	v_max_f32_e32 v1, v1, v1
	v_max_f32_e32 v103, v0, v1
                                        ; implicit-def: $vgpr0
	ds_bpermute_b32 v104, v3, v103
	s_and_saveexec_b32 s20, s19
	s_delay_alu instid0(SALU_CYCLE_1)
	s_xor_b32 s19, exec_lo, s20
	s_cbranch_execz .LBB75_59
; %bb.58:                               ;   in Loop: Header=BB75_9 Depth=1
	v_add_f32_e64 v0, |v73|, |v73|
	s_delay_alu instid0(VALU_DEP_1) | instskip(SKIP_1) | instid1(VALU_DEP_2)
	v_mul_f32_e32 v1, 0x3fb8aa3b, v0
	v_cmp_ngt_f32_e32 vcc_lo, 0xc2ce8ed0, v0
	v_rndne_f32_e32 v102, v1
	v_fma_f32 v105, 0x3fb8aa3b, v0, -v1
	s_delay_alu instid0(VALU_DEP_2) | instskip(NEXT) | instid1(VALU_DEP_2)
	v_sub_f32_e32 v1, v1, v102
	v_fmac_f32_e32 v105, 0x32a5705f, v0
	v_cvt_i32_f32_e32 v102, v102
	s_delay_alu instid0(VALU_DEP_2) | instskip(NEXT) | instid1(VALU_DEP_1)
	v_add_f32_e32 v1, v1, v105
	v_exp_f32_e32 v1, v1
	s_waitcnt_depctr 0xfff
	v_ldexp_f32 v1, v1, v102
	s_delay_alu instid0(VALU_DEP_1) | instskip(SKIP_1) | instid1(VALU_DEP_2)
	v_cndmask_b32_e32 v1, 0, v1, vcc_lo
	v_cmp_nlt_f32_e32 vcc_lo, 0x42b17218, v0
	v_cndmask_b32_e32 v0, 0x7f800000, v1, vcc_lo
	s_delay_alu instid0(VALU_DEP_1) | instskip(NEXT) | instid1(VALU_DEP_1)
	v_add_f32_e32 v0, 1.0, v0
	v_rcp_f32_e32 v0, v0
	s_waitcnt_depctr 0xfff
	v_fma_f32 v0, v0, -2.0, 1.0
.LBB75_59:                              ;   in Loop: Header=BB75_9 Depth=1
	s_and_not1_saveexec_b32 s19, s19
; %bb.60:                               ;   in Loop: Header=BB75_9 Depth=1
	v_mul_f32_e32 v0, v73, v73
	s_delay_alu instid0(VALU_DEP_1) | instskip(NEXT) | instid1(VALU_DEP_1)
	v_fmaak_f32 v1, s18, v0, 0x3ca908c9
	v_fmaak_f32 v1, v0, v1, 0xbd5c1c4e
	s_delay_alu instid0(VALU_DEP_1) | instskip(NEXT) | instid1(VALU_DEP_1)
	v_fmaak_f32 v1, v0, v1, 0x3e088382
	v_fmaak_f32 v1, v0, v1, 0xbeaaaa99
	s_delay_alu instid0(VALU_DEP_1) | instskip(NEXT) | instid1(VALU_DEP_1)
	v_mul_f32_e64 v1, |v73|, v1
	v_fma_f32 v0, v0, v1, |v73|
; %bb.61:                               ;   in Loop: Header=BB75_9 Depth=1
	s_or_b32 exec_lo, exec_lo, s19
	v_cmp_ngt_f32_e64 s19, 0x3f200000, |v74|
                                        ; implicit-def: $vgpr1
	s_delay_alu instid0(VALU_DEP_1) | instskip(NEXT) | instid1(SALU_CYCLE_1)
	s_and_saveexec_b32 s20, s19
	s_xor_b32 s19, exec_lo, s20
	s_cbranch_execz .LBB75_63
; %bb.62:                               ;   in Loop: Header=BB75_9 Depth=1
	v_add_f32_e64 v1, |v74|, |v74|
	s_delay_alu instid0(VALU_DEP_1) | instskip(SKIP_1) | instid1(VALU_DEP_2)
	v_mul_f32_e32 v102, 0x3fb8aa3b, v1
	v_cmp_ngt_f32_e32 vcc_lo, 0xc2ce8ed0, v1
	v_rndne_f32_e32 v105, v102
	v_fma_f32 v106, 0x3fb8aa3b, v1, -v102
	s_delay_alu instid0(VALU_DEP_2) | instskip(NEXT) | instid1(VALU_DEP_2)
	v_sub_f32_e32 v102, v102, v105
	v_fmac_f32_e32 v106, 0x32a5705f, v1
	v_cvt_i32_f32_e32 v105, v105
	s_delay_alu instid0(VALU_DEP_2) | instskip(NEXT) | instid1(VALU_DEP_1)
	v_add_f32_e32 v102, v102, v106
	v_exp_f32_e32 v102, v102
	s_waitcnt_depctr 0xfff
	v_ldexp_f32 v102, v102, v105
	s_delay_alu instid0(VALU_DEP_1) | instskip(SKIP_1) | instid1(VALU_DEP_2)
	v_cndmask_b32_e32 v102, 0, v102, vcc_lo
	v_cmp_nlt_f32_e32 vcc_lo, 0x42b17218, v1
	v_cndmask_b32_e32 v1, 0x7f800000, v102, vcc_lo
	s_delay_alu instid0(VALU_DEP_1) | instskip(NEXT) | instid1(VALU_DEP_1)
	v_add_f32_e32 v1, 1.0, v1
	v_rcp_f32_e32 v1, v1
	s_waitcnt_depctr 0xfff
	v_fma_f32 v1, v1, -2.0, 1.0
.LBB75_63:                              ;   in Loop: Header=BB75_9 Depth=1
	s_and_not1_saveexec_b32 s19, s19
; %bb.64:                               ;   in Loop: Header=BB75_9 Depth=1
	v_mul_f32_e32 v1, v74, v74
	s_delay_alu instid0(VALU_DEP_1) | instskip(NEXT) | instid1(VALU_DEP_1)
	v_fmaak_f32 v102, s18, v1, 0x3ca908c9
	v_fmaak_f32 v102, v1, v102, 0xbd5c1c4e
	s_delay_alu instid0(VALU_DEP_1) | instskip(NEXT) | instid1(VALU_DEP_1)
	v_fmaak_f32 v102, v1, v102, 0x3e088382
	v_fmaak_f32 v102, v1, v102, 0xbeaaaa99
	s_delay_alu instid0(VALU_DEP_1) | instskip(NEXT) | instid1(VALU_DEP_1)
	v_mul_f32_e64 v102, |v74|, v102
	v_fma_f32 v1, v1, v102, |v74|
; %bb.65:                               ;   in Loop: Header=BB75_9 Depth=1
	s_or_b32 exec_lo, exec_lo, s19
	v_bfi_b32 v0, 0x7fffffff, v0, v73
	s_delay_alu instid0(VALU_DEP_2) | instskip(SKIP_1) | instid1(VALU_DEP_3)
	v_bfi_b32 v1, 0x7fffffff, v1, v74
	v_cmp_ngt_f32_e64 s19, 0x3f200000, |v71|
	v_fma_f32 v102, s8, v0, v99
	s_delay_alu instid0(VALU_DEP_3) | instskip(NEXT) | instid1(VALU_DEP_1)
	v_fma_f32 v105, s8, v1, v82
	v_dual_add_f32 v0, 0x40051340, v102 :: v_dual_add_f32 v1, 0x40051340, v105
	s_delay_alu instid0(VALU_DEP_1) | instskip(SKIP_3) | instid1(VALU_DEP_1)
	v_max3_f32 v0, v62, v0, v1
	ds_bpermute_b32 v1, v2, v0
	s_waitcnt lgkmcnt(0)
	v_max_f32_e32 v1, v1, v1
	v_max_f32_e32 v0, v0, v1
	ds_bpermute_b32 v1, v95, v0
	s_waitcnt lgkmcnt(0)
	v_max_f32_e32 v1, v1, v1
	s_delay_alu instid0(VALU_DEP_1) | instskip(SKIP_3) | instid1(VALU_DEP_1)
	v_max_f32_e32 v0, v0, v1
	ds_bpermute_b32 v1, v91, v0
	s_waitcnt lgkmcnt(0)
	v_max_f32_e32 v1, v1, v1
	v_max_f32_e32 v0, v0, v1
	ds_bpermute_b32 v1, v90, v0
	s_waitcnt lgkmcnt(0)
	v_max_f32_e32 v1, v1, v1
	s_delay_alu instid0(VALU_DEP_1) | instskip(SKIP_2) | instid1(SALU_CYCLE_1)
	v_max_f32_e32 v106, v0, v1
                                        ; implicit-def: $vgpr0
	ds_bpermute_b32 v107, v3, v106
	s_and_saveexec_b32 s20, s19
	s_xor_b32 s19, exec_lo, s20
	s_cbranch_execz .LBB75_67
; %bb.66:                               ;   in Loop: Header=BB75_9 Depth=1
	v_add_f32_e64 v0, |v71|, |v71|
	s_delay_alu instid0(VALU_DEP_1) | instskip(SKIP_1) | instid1(VALU_DEP_2)
	v_mul_f32_e32 v1, 0x3fb8aa3b, v0
	v_cmp_ngt_f32_e32 vcc_lo, 0xc2ce8ed0, v0
	v_rndne_f32_e32 v73, v1
	v_fma_f32 v74, 0x3fb8aa3b, v0, -v1
	s_delay_alu instid0(VALU_DEP_1) | instskip(SKIP_1) | instid1(VALU_DEP_2)
	v_dual_sub_f32 v1, v1, v73 :: v_dual_fmac_f32 v74, 0x32a5705f, v0
	v_cvt_i32_f32_e32 v73, v73
	v_add_f32_e32 v1, v1, v74
	s_delay_alu instid0(VALU_DEP_1) | instskip(SKIP_2) | instid1(VALU_DEP_1)
	v_exp_f32_e32 v1, v1
	s_waitcnt_depctr 0xfff
	v_ldexp_f32 v1, v1, v73
	v_cndmask_b32_e32 v1, 0, v1, vcc_lo
	v_cmp_nlt_f32_e32 vcc_lo, 0x42b17218, v0
	s_delay_alu instid0(VALU_DEP_2) | instskip(NEXT) | instid1(VALU_DEP_1)
	v_cndmask_b32_e32 v0, 0x7f800000, v1, vcc_lo
	v_add_f32_e32 v0, 1.0, v0
	s_delay_alu instid0(VALU_DEP_1)
	v_rcp_f32_e32 v0, v0
	s_waitcnt_depctr 0xfff
	v_fma_f32 v0, v0, -2.0, 1.0
.LBB75_67:                              ;   in Loop: Header=BB75_9 Depth=1
	s_and_not1_saveexec_b32 s19, s19
; %bb.68:                               ;   in Loop: Header=BB75_9 Depth=1
	v_mul_f32_e32 v0, v71, v71
	s_delay_alu instid0(VALU_DEP_1) | instskip(NEXT) | instid1(VALU_DEP_1)
	v_fmaak_f32 v1, s18, v0, 0x3ca908c9
	v_fmaak_f32 v1, v0, v1, 0xbd5c1c4e
	s_delay_alu instid0(VALU_DEP_1) | instskip(NEXT) | instid1(VALU_DEP_1)
	v_fmaak_f32 v1, v0, v1, 0x3e088382
	v_fmaak_f32 v1, v0, v1, 0xbeaaaa99
	s_delay_alu instid0(VALU_DEP_1) | instskip(NEXT) | instid1(VALU_DEP_1)
	v_mul_f32_e64 v1, |v71|, v1
	v_fma_f32 v0, v0, v1, |v71|
; %bb.69:                               ;   in Loop: Header=BB75_9 Depth=1
	s_or_b32 exec_lo, exec_lo, s19
	v_cmp_ngt_f32_e64 s19, 0x3f200000, |v72|
                                        ; implicit-def: $vgpr1
	s_delay_alu instid0(VALU_DEP_1) | instskip(NEXT) | instid1(SALU_CYCLE_1)
	s_and_saveexec_b32 s20, s19
	s_xor_b32 s19, exec_lo, s20
	s_cbranch_execz .LBB75_71
; %bb.70:                               ;   in Loop: Header=BB75_9 Depth=1
	v_add_f32_e64 v1, |v72|, |v72|
	s_delay_alu instid0(VALU_DEP_1) | instskip(SKIP_1) | instid1(VALU_DEP_2)
	v_mul_f32_e32 v73, 0x3fb8aa3b, v1
	v_cmp_ngt_f32_e32 vcc_lo, 0xc2ce8ed0, v1
	v_rndne_f32_e32 v74, v73
	v_fma_f32 v113, 0x3fb8aa3b, v1, -v73
	s_delay_alu instid0(VALU_DEP_2) | instskip(NEXT) | instid1(VALU_DEP_2)
	v_sub_f32_e32 v73, v73, v74
	v_fmac_f32_e32 v113, 0x32a5705f, v1
	v_cvt_i32_f32_e32 v74, v74
	s_delay_alu instid0(VALU_DEP_2) | instskip(NEXT) | instid1(VALU_DEP_1)
	v_add_f32_e32 v73, v73, v113
	v_exp_f32_e32 v73, v73
	s_waitcnt_depctr 0xfff
	v_ldexp_f32 v73, v73, v74
	s_delay_alu instid0(VALU_DEP_1) | instskip(SKIP_1) | instid1(VALU_DEP_2)
	v_cndmask_b32_e32 v73, 0, v73, vcc_lo
	v_cmp_nlt_f32_e32 vcc_lo, 0x42b17218, v1
	v_cndmask_b32_e32 v1, 0x7f800000, v73, vcc_lo
	s_delay_alu instid0(VALU_DEP_1) | instskip(NEXT) | instid1(VALU_DEP_1)
	v_add_f32_e32 v1, 1.0, v1
	v_rcp_f32_e32 v1, v1
	s_waitcnt_depctr 0xfff
	v_fma_f32 v1, v1, -2.0, 1.0
.LBB75_71:                              ;   in Loop: Header=BB75_9 Depth=1
	s_and_not1_saveexec_b32 s19, s19
; %bb.72:                               ;   in Loop: Header=BB75_9 Depth=1
	v_mul_f32_e32 v1, v72, v72
	s_delay_alu instid0(VALU_DEP_1) | instskip(NEXT) | instid1(VALU_DEP_1)
	v_fmaak_f32 v73, s18, v1, 0x3ca908c9
	v_fmaak_f32 v73, v1, v73, 0xbd5c1c4e
	s_delay_alu instid0(VALU_DEP_1) | instskip(NEXT) | instid1(VALU_DEP_1)
	v_fmaak_f32 v73, v1, v73, 0x3e088382
	v_fmaak_f32 v73, v1, v73, 0xbeaaaa99
	s_delay_alu instid0(VALU_DEP_1) | instskip(NEXT) | instid1(VALU_DEP_1)
	v_mul_f32_e64 v73, |v72|, v73
	v_fma_f32 v1, v1, v73, |v72|
; %bb.73:                               ;   in Loop: Header=BB75_9 Depth=1
	s_or_b32 exec_lo, exec_lo, s19
	v_bfi_b32 v0, 0x7fffffff, v0, v71
	s_delay_alu instid0(VALU_DEP_2) | instskip(SKIP_2) | instid1(VALU_DEP_2)
	v_bfi_b32 v1, 0x7fffffff, v1, v72
	v_dual_max_f32 v73, v109, v109 :: v_dual_max_f32 v74, v108, v108
	s_mul_hi_i32 s21, s3, s10
	v_dual_fmac_f32 v99, s8, v0 :: v_dual_fmac_f32 v82, s8, v1
	v_max_f32_e32 v0, v111, v111
	s_mul_i32 s20, s3, s10
	v_dual_max_f32 v108, v112, v112 :: v_dual_max_f32 v97, v97, v97
	s_delay_alu instid0(VALU_DEP_3)
	v_dual_add_f32 v1, 0x40051340, v99 :: v_dual_max_f32 v72, v110, v110
	v_add_f32_e32 v71, 0x40051340, v82
	s_lshl_b64 s[20:21], s[20:21], 2
	s_waitcnt lgkmcnt(0)
	s_add_u32 s19, s11, s20
	s_addc_u32 s20, s17, s21
	v_max3_f32 v71, v61, v1, v71
	v_dual_max_f32 v1, v72, v0 :: v_dual_max_f32 v0, v74, v73
	v_add_co_u32 v72, vcc_lo, s19, v12
	ds_bpermute_b32 v109, v2, v71
	v_add_co_ci_u32_e32 v73, vcc_lo, s20, v13, vcc_lo
	v_dual_max_f32 v2, v97, v108 :: v_dual_sub_f32 v117, v70, v1
	v_add_co_u32 v74, vcc_lo, s19, v14
	v_dual_sub_f32 v94, v94, v0 :: v_dual_sub_f32 v89, v89, v1
	v_sub_f32_e32 v116, v69, v0
	v_add_co_ci_u32_e32 v97, vcc_lo, s20, v15, vcc_lo
	v_add_co_u32 v69, vcc_lo, v72, v42
	v_dual_sub_f32 v93, v93, v0 :: v_dual_sub_f32 v88, v88, v1
	v_add_co_ci_u32_e32 v70, vcc_lo, 0, v73, vcc_lo
	s_waitcnt lgkmcnt(0)
	s_barrier
	buffer_gl0_inv
	v_max_f32_e32 v108, v109, v109
	s_or_b32 s19, s3, 32
	v_mul_f32_e32 v118, 0x3fb8aa3b, v93
	s_mul_hi_i32 s21, s19, s10
	v_mul_f32_e32 v120, 0x3fb8aa3b, v88
	v_max_f32_e32 v73, v71, v108
	v_add_co_u32 v71, vcc_lo, v74, v42
	v_add_co_ci_u32_e32 v72, vcc_lo, 0, v97, vcc_lo
	ds_bpermute_b32 v74, v95, v73
	v_mul_f32_e32 v95, 0x3fb8aa3b, v94
	v_mul_f32_e32 v119, 0x3fb8aa3b, v116
	;; [unrolled: 1-line block ×4, first 2 shown]
	s_clause 0x1
	global_load_b128 v[108:111], v[69:70], off
	global_load_b128 v[112:115], v[71:72], off
	v_fma_f32 v69, 0x3fb8aa3b, v94, -v95
	v_fma_f32 v124, 0x3fb8aa3b, v116, -v119
	v_rndne_f32_e32 v70, v95
	v_fma_f32 v71, 0x3fb8aa3b, v89, -v97
	v_rndne_f32_e32 v72, v97
	v_fma_f32 v122, 0x3fb8aa3b, v93, -v118
	v_rndne_f32_e32 v123, v118
	v_fma_f32 v126, 0x3fb8aa3b, v88, -v120
	v_fmac_f32_e32 v69, 0x32a5705f, v94
	s_delay_alu instid0(VALU_DEP_4) | instskip(NEXT) | instid1(VALU_DEP_3)
	v_dual_sub_f32 v95, v95, v70 :: v_dual_fmac_f32 v122, 0x32a5705f, v93
	v_dual_fmac_f32 v71, 0x32a5705f, v89 :: v_dual_fmac_f32 v126, 0x32a5705f, v88
	v_rndne_f32_e32 v125, v119
	s_waitcnt lgkmcnt(0)
	v_max_f32_e32 v74, v74, v74
	v_fma_f32 v128, 0x3fb8aa3b, v117, -v121
	v_fmac_f32_e32 v124, 0x32a5705f, v116
	v_rndne_f32_e32 v127, v120
	v_cvt_i32_f32_e32 v70, v70
	v_max_f32_e32 v73, v73, v74
	v_dual_sub_f32 v74, v97, v72 :: v_dual_sub_f32 v97, v118, v123
	v_fmac_f32_e32 v128, 0x32a5705f, v117
	v_add_f32_e32 v69, v95, v69
	ds_bpermute_b32 v91, v91, v73
	v_dual_add_f32 v71, v74, v71 :: v_dual_add_f32 v74, v97, v122
	v_cvt_i32_f32_e32 v72, v72
	v_exp_f32_e32 v69, v69
	v_cvt_i32_f32_e32 v118, v123
	s_delay_alu instid0(VALU_DEP_3)
	v_exp_f32_e32 v71, v71
	v_exp_f32_e32 v74, v74
	v_dual_sub_f32 v119, v119, v125 :: v_dual_sub_f32 v120, v120, v127
	v_cmp_ngt_f32_e32 vcc_lo, 0xc2ce8ed0, v94
	v_rndne_f32_e32 v129, v121
	v_cvt_i32_f32_e32 v123, v125
	s_mul_i32 s20, s19, s10
	v_add_f32_e32 v97, v120, v126
	v_ldexp_f32 v69, v69, v70
	s_delay_alu instid0(TRANS32_DEP_2) | instskip(NEXT) | instid1(TRANS32_DEP_1)
	v_ldexp_f32 v70, v71, v72
	v_ldexp_f32 v71, v74, v118
	v_cvt_i32_f32_e32 v120, v127
	v_exp_f32_e32 v97, v97
	s_waitcnt lgkmcnt(0)
	v_max_f32_e32 v91, v91, v91
	s_lshl_b64 s[20:21], s[20:21], 2
	v_max_f32_e32 v84, v84, v84
	s_add_u32 s19, s11, s20
	s_addc_u32 s20, s17, s21
	v_max_f32_e32 v73, v73, v91
	ds_bpermute_b32 v74, v90, v73
	v_ldexp_f32 v90, v97, v120
	v_add_f32_e32 v95, v119, v124
	s_delay_alu instid0(VALU_DEP_1)
	v_exp_f32_e32 v95, v95
	s_waitcnt_depctr 0xfff
	v_ldexp_f32 v72, v95, v123
	s_waitcnt lgkmcnt(0)
	v_dual_max_f32 v74, v74, v74 :: v_dual_cndmask_b32 v69, 0, v69
	v_cmp_ngt_f32_e32 vcc_lo, 0xc2ce8ed0, v89
	v_dual_sub_f32 v121, v121, v129 :: v_dual_cndmask_b32 v70, 0, v70
	v_cmp_ngt_f32_e32 vcc_lo, 0xc2ce8ed0, v93
	v_cndmask_b32_e32 v71, 0, v71, vcc_lo
	v_cmp_ngt_f32_e32 vcc_lo, 0xc2ce8ed0, v116
	v_cndmask_b32_e32 v72, 0, v72, vcc_lo
	;; [unrolled: 2-line block ×3, first 2 shown]
	v_cmp_nlt_f32_e32 vcc_lo, 0x42b17218, v94
	v_cndmask_b32_e32 v69, 0x7f800000, v69, vcc_lo
	v_cmp_nlt_f32_e32 vcc_lo, 0x42b17218, v93
	v_cndmask_b32_e32 v91, 0x7f800000, v71, vcc_lo
	v_cmp_nlt_f32_e32 vcc_lo, 0x42b17218, v116
	s_delay_alu instid0(VALU_DEP_2)
	v_dual_add_f32 v71, v91, v69 :: v_dual_cndmask_b32 v72, 0x7f800000, v72
	v_cmp_nlt_f32_e32 vcc_lo, 0x42b17218, v89
	v_add_f32_e32 v119, v121, v128
	v_cvt_i32_f32_e32 v121, v129
	v_cvt_f16_f32_e32 v69, v69
	v_cvt_f16_f32_e32 v89, v72
	v_cndmask_b32_e32 v70, 0x7f800000, v70, vcc_lo
	v_exp_f32_e32 v119, v119
	v_cmp_nlt_f32_e32 vcc_lo, 0x42b17218, v88
	v_fmac_f32_e32 v71, v68, v72
	v_pk_mul_f16 v68, v89, v57 op_sel_hi:[0,1]
	v_pk_mul_f16 v89, v89, v58 op_sel_hi:[0,1]
	v_cvt_f16_f32_e32 v93, v70
	v_cndmask_b32_e32 v58, 0x7f800000, v90, vcc_lo
	v_max_f32_e32 v94, v73, v74
	v_cmp_ngt_f32_e32 vcc_lo, 0xc2ce8ed0, v117
	v_dual_sub_f32 v74, v87, v2 :: v_dual_max_f32 v73, v85, v85
	s_delay_alu instid0(VALU_DEP_4)
	v_add_f32_e32 v72, v70, v58
	ds_bpermute_b32 v57, v3, v94
	v_ldexp_f32 v3, v119, v121
	v_mul_f32_e32 v70, 0x3fb8aa3b, v74
	v_cvt_f16_f32_e32 v58, v58
	v_cvt_f16_f32_e32 v91, v91
	s_delay_alu instid0(VALU_DEP_4) | instskip(SKIP_3) | instid1(VALU_DEP_4)
	v_cndmask_b32_e32 v85, 0, v3, vcc_lo
	v_cmp_nlt_f32_e32 vcc_lo, 0x42b17218, v117
	v_max_f32_e32 v3, v84, v73
	v_fma_f32 v84, 0x3fb8aa3b, v74, -v70
	v_cndmask_b32_e32 v73, 0x7f800000, v85, vcc_lo
	v_rndne_f32_e32 v85, v70
	s_delay_alu instid0(VALU_DEP_3) | instskip(SKIP_1) | instid1(VALU_DEP_4)
	v_fmac_f32_e32 v84, 0x32a5705f, v74
	v_cmp_ngt_f32_e32 vcc_lo, 0xc2ce8ed0, v74
	v_cvt_f16_f32_e32 v88, v73
	v_fmac_f32_e32 v72, v7, v73
	s_waitcnt lgkmcnt(0)
	v_max_f32_e32 v57, v57, v57
	s_delay_alu instid0(VALU_DEP_3)
	v_pk_mul_f16 v90, v88, v55 op_sel_hi:[0,1]
	v_sub_f32_e32 v55, v86, v2
	v_sub_f32_e32 v7, v70, v85
	;; [unrolled: 1-line block ×3, first 2 shown]
	v_pk_mul_f16 v86, v88, v56 op_sel_hi:[0,1]
	v_cvt_i32_f32_e32 v85, v85
	s_delay_alu instid0(VALU_DEP_4) | instskip(NEXT) | instid1(VALU_DEP_1)
	v_dual_add_f32 v7, v7, v84 :: v_dual_mul_f32 v84, 0x3fb8aa3b, v55
	v_fma_f32 v88, 0x3fb8aa3b, v55, -v84
	v_rndne_f32_e32 v95, v84
	s_delay_alu instid0(VALU_DEP_2) | instskip(SKIP_3) | instid1(VALU_DEP_2)
	v_fmac_f32_e32 v88, 0x32a5705f, v55
	v_sub_f32_e32 v87, v96, v3
	v_mul_f32_e32 v96, 0x3fb8aa3b, v67
	v_exp_f32_e32 v7, v7
	v_mul_f32_e32 v70, 0x3fb8aa3b, v87
	s_delay_alu instid0(VALU_DEP_2) | instskip(SKIP_1) | instid1(VALU_DEP_3)
	v_rndne_f32_e32 v97, v96
	v_sub_f32_e32 v66, v66, v3
	v_fma_f32 v56, 0x3fb8aa3b, v87, -v70
	v_rndne_f32_e32 v73, v70
	s_waitcnt_depctr 0xfff
	v_ldexp_f32 v7, v7, v85
	v_dual_sub_f32 v85, v96, v97 :: v_dual_fmac_f32 v56, 0x32a5705f, v87
	v_sub_f32_e32 v70, v70, v73
	v_cvt_i32_f32_e32 v73, v73
	s_delay_alu instid0(VALU_DEP_2) | instskip(SKIP_2) | instid1(VALU_DEP_3)
	v_add_f32_e32 v56, v70, v56
	v_sub_f32_e32 v70, v84, v95
	v_fma_f32 v84, 0x3fb8aa3b, v67, -v96
	v_exp_f32_e32 v56, v56
	s_delay_alu instid0(VALU_DEP_1) | instskip(SKIP_2) | instid1(VALU_DEP_2)
	v_fmac_f32_e32 v84, 0x32a5705f, v67
	v_cndmask_b32_e32 v7, 0, v7, vcc_lo
	v_cmp_nlt_f32_e32 vcc_lo, 0x42b17218, v74
	v_dual_add_f32 v84, v85, v84 :: v_dual_cndmask_b32 v7, 0x7f800000, v7
	s_waitcnt_depctr 0xfff
	v_ldexp_f32 v56, v56, v73
	v_cvt_i32_f32_e32 v73, v95
	v_dual_mul_f32 v95, 0x3fb8aa3b, v66 :: v_dual_add_f32 v70, v70, v88
	v_exp_f32_e32 v74, v84
	v_cmp_ngt_f32_e32 vcc_lo, 0xc2ce8ed0, v87
	v_sub_f32_e32 v85, v92, v3
	s_delay_alu instid0(VALU_DEP_3)
	v_rndne_f32_e32 v96, v95
	v_exp_f32_e32 v70, v70
	v_cndmask_b32_e32 v56, 0, v56, vcc_lo
	v_cmp_ngt_f32_e32 vcc_lo, 0xc2ce8ed0, v55
	s_waitcnt_depctr 0xfff
	v_ldexp_f32 v70, v70, v73
	v_cvt_i32_f32_e32 v73, v97
	s_delay_alu instid0(VALU_DEP_2) | instskip(NEXT) | instid1(VALU_DEP_2)
	v_cndmask_b32_e32 v70, 0, v70, vcc_lo
	v_ldexp_f32 v73, v74, v73
	v_cmp_ngt_f32_e32 vcc_lo, 0xc2ce8ed0, v67
	s_delay_alu instid0(VALU_DEP_2) | instskip(SKIP_4) | instid1(VALU_DEP_2)
	v_cndmask_b32_e32 v73, 0, v73, vcc_lo
	v_cmp_nlt_f32_e32 vcc_lo, 0x42b17218, v55
	v_cndmask_b32_e32 v55, 0x7f800000, v70, vcc_lo
	v_mul_f32_e32 v84, 0x3fb8aa3b, v85
	v_cmp_nlt_f32_e32 vcc_lo, 0x42b17218, v67
	v_rndne_f32_e32 v92, v84
	v_cndmask_b32_e32 v67, 0x7f800000, v73, vcc_lo
	v_cmp_nlt_f32_e32 vcc_lo, 0x42b17218, v87
	s_delay_alu instid0(VALU_DEP_3)
	v_dual_sub_f32 v74, v84, v92 :: v_dual_add_f32 v73, v55, v7
	v_fma_f32 v88, 0x3fb8aa3b, v85, -v84
	v_fma_f32 v84, 0x3fb8aa3b, v66, -v95
	v_cndmask_b32_e32 v56, 0x7f800000, v56, vcc_lo
	v_cmp_ngt_f32_e32 vcc_lo, 0xc2ce8ed0, v85
	v_cvt_i32_f32_e32 v87, v92
	v_fmac_f32_e32 v88, 0x32a5705f, v85
	v_dual_fmac_f32 v84, 0x32a5705f, v66 :: v_dual_fmac_f32 v73, v4, v67
	v_cvt_i32_f32_e32 v4, v96
	s_delay_alu instid0(VALU_DEP_3) | instskip(SKIP_1) | instid1(VALU_DEP_2)
	v_add_f32_e32 v74, v74, v88
	v_sub_f32_e32 v88, v95, v96
	v_exp_f32_e32 v74, v74
	s_delay_alu instid0(VALU_DEP_1) | instskip(SKIP_1) | instid1(VALU_DEP_2)
	v_add_f32_e32 v70, v88, v84
	v_cvt_f16_f32_e32 v88, v7
	v_exp_f32_e32 v70, v70
	s_waitcnt_depctr 0xfff
	v_ldexp_f32 v7, v74, v87
	s_delay_alu instid0(VALU_DEP_1) | instskip(SKIP_4) | instid1(VALU_DEP_4)
	v_cndmask_b32_e32 v7, 0, v7, vcc_lo
	v_ldexp_f32 v4, v70, v4
	v_cmp_ngt_f32_e32 vcc_lo, 0xc2ce8ed0, v66
	v_max_f32_e32 v70, v100, v100
	v_cvt_f16_f32_e32 v84, v67
	v_cndmask_b32_e32 v74, 0, v4, vcc_lo
	v_cmp_nlt_f32_e32 vcc_lo, 0x42b17218, v85
	s_delay_alu instid0(VALU_DEP_3) | instskip(SKIP_4) | instid1(VALU_DEP_3)
	v_pk_mul_f16 v67, v84, v53 op_sel_hi:[0,1]
	v_pk_mul_f16 v84, v84, v54 op_sel_hi:[0,1]
	v_dual_max_f32 v54, v101, v101 :: v_dual_cndmask_b32 v7, 0x7f800000, v7
	v_cmp_nlt_f32_e32 vcc_lo, 0x42b17218, v66
	v_max_f32_e32 v66, v104, v104
	v_max_f32_e32 v4, v70, v54
	v_cvt_f16_f32_e32 v54, v55
	v_dual_max_f32 v70, v103, v103 :: v_dual_cndmask_b32 v55, 0x7f800000, v74
	v_add_f32_e32 v74, v56, v7
	v_cvt_f16_f32_e32 v87, v7
	s_delay_alu instid0(VALU_DEP_3) | instskip(NEXT) | instid1(VALU_DEP_3)
	v_cvt_f16_f32_e32 v85, v55
	v_dual_fmac_f32 v74, v5, v55 :: v_dual_max_f32 v5, v70, v66
	v_cvt_f16_f32_e32 v53, v56
	s_delay_alu instid0(VALU_DEP_3) | instskip(SKIP_1) | instid1(VALU_DEP_4)
	v_pk_mul_f16 v66, v85, v51 op_sel_hi:[0,1]
	v_pk_mul_f16 v85, v85, v52 op_sel_hi:[0,1]
	v_dual_sub_f32 v81, v81, v5 :: v_dual_sub_f32 v56, v98, v4
	s_delay_alu instid0(VALU_DEP_1) | instskip(NEXT) | instid1(VALU_DEP_1)
	v_dual_sub_f32 v64, v64, v5 :: v_dual_mul_f32 v7, 0x3fb8aa3b, v56
	v_fma_f32 v55, 0x3fb8aa3b, v56, -v7
	v_rndne_f32_e32 v70, v7
	s_delay_alu instid0(VALU_DEP_2) | instskip(SKIP_2) | instid1(VALU_DEP_4)
	v_fmac_f32_e32 v55, 0x32a5705f, v56
	v_sub_f32_e32 v51, v83, v4
	v_mul_f32_e32 v83, 0x3fb8aa3b, v81
	v_sub_f32_e32 v7, v7, v70
	v_sub_f32_e32 v65, v65, v4
	v_cvt_i32_f32_e32 v70, v70
	v_cmp_ngt_f32_e32 vcc_lo, 0xc2ce8ed0, v56
	v_rndne_f32_e32 v96, v83
	v_mul_f32_e32 v52, 0x3fb8aa3b, v51
	v_add_f32_e32 v7, v7, v55
	v_fma_f32 v55, 0x3fb8aa3b, v81, -v83
	v_mul_f32_e32 v97, 0x3fb8aa3b, v65
	v_sub_f32_e32 v83, v83, v96
	v_fma_f32 v92, 0x3fb8aa3b, v51, -v52
	v_rndne_f32_e32 v95, v52
	v_exp_f32_e32 v7, v7
	v_fmac_f32_e32 v55, 0x32a5705f, v81
	v_rndne_f32_e32 v98, v97
	v_fmac_f32_e32 v92, 0x32a5705f, v51
	v_sub_f32_e32 v52, v52, v95
	s_delay_alu instid0(VALU_DEP_4) | instskip(SKIP_1) | instid1(VALU_DEP_3)
	v_add_f32_e32 v55, v83, v55
	v_cvt_i32_f32_e32 v83, v95
	v_dual_max_f32 v95, v106, v106 :: v_dual_add_f32 v52, v52, v92
	v_fma_f32 v92, 0x3fb8aa3b, v65, -v97
	s_delay_alu instid0(TRANS32_DEP_1) | instskip(SKIP_1) | instid1(VALU_DEP_3)
	v_ldexp_f32 v7, v7, v70
	v_exp_f32_e32 v55, v55
	v_exp_f32_e32 v52, v52
	s_delay_alu instid0(VALU_DEP_1) | instskip(SKIP_1) | instid1(VALU_DEP_2)
	v_dual_fmac_f32 v92, 0x32a5705f, v65 :: v_dual_cndmask_b32 v7, 0, v7
	v_cmp_nlt_f32_e32 vcc_lo, 0x42b17218, v56
	v_dual_sub_f32 v70, v97, v98 :: v_dual_cndmask_b32 v7, 0x7f800000, v7
	v_cmp_ngt_f32_e32 vcc_lo, 0xc2ce8ed0, v51
	s_waitcnt_depctr 0xfff
	v_ldexp_f32 v52, v52, v83
	s_delay_alu instid0(VALU_DEP_1) | instskip(SKIP_3) | instid1(VALU_DEP_1)
	v_dual_sub_f32 v83, v78, v5 :: v_dual_cndmask_b32 v52, 0, v52
	v_cmp_ngt_f32_e32 vcc_lo, 0xc2ce8ed0, v81
	v_add_f32_e32 v70, v70, v92
	v_cvt_i32_f32_e32 v92, v96
	v_ldexp_f32 v55, v55, v92
	v_cvt_f16_f32_e32 v92, v7
	s_delay_alu instid0(VALU_DEP_2)
	v_cndmask_b32_e32 v55, 0, v55, vcc_lo
	v_exp_f32_e32 v56, v70
	v_cmp_nlt_f32_e32 vcc_lo, 0x42b17218, v51
	v_cvt_i32_f32_e32 v70, v98
	v_cndmask_b32_e32 v51, 0x7f800000, v52, vcc_lo
	v_cmp_nlt_f32_e32 vcc_lo, 0x42b17218, v81
	s_waitcnt_depctr 0xfff
	v_ldexp_f32 v52, v56, v70
	v_mul_f32_e32 v56, 0x3fb8aa3b, v83
	v_cndmask_b32_e32 v55, 0x7f800000, v55, vcc_lo
	v_cmp_ngt_f32_e32 vcc_lo, 0xc2ce8ed0, v65
	s_delay_alu instid0(VALU_DEP_4)
	v_cndmask_b32_e32 v52, 0, v52, vcc_lo
	v_cmp_nlt_f32_e32 vcc_lo, 0x42b17218, v65
	v_mul_f32_e32 v65, 0x3fb8aa3b, v64
	v_fma_f32 v70, 0x3fb8aa3b, v83, -v56
	v_rndne_f32_e32 v81, v56
	v_add_f32_e32 v78, v51, v7
	v_cndmask_b32_e32 v52, 0x7f800000, v52, vcc_lo
	v_cmp_ngt_f32_e32 vcc_lo, 0xc2ce8ed0, v83
	v_fmac_f32_e32 v70, 0x32a5705f, v83
	v_sub_f32_e32 v56, v56, v81
	v_cvt_f16_f32_e32 v51, v51
	v_fmac_f32_e32 v78, v6, v52
	v_cvt_f16_f32_e32 v7, v52
	v_fma_f32 v52, 0x3fb8aa3b, v64, -v65
	v_add_f32_e32 v6, v56, v70
	v_max_f32_e32 v70, v107, v107
	v_rndne_f32_e32 v56, v65
	v_pk_mul_f16 v96, v7, v49 op_sel_hi:[0,1]
	s_delay_alu instid0(VALU_DEP_4) | instskip(NEXT) | instid1(VALU_DEP_3)
	v_exp_f32_e32 v49, v6
	v_max_f32_e32 v6, v95, v70
	v_pk_mul_f16 v70, v7, v50 op_sel_hi:[0,1]
	v_cvt_i32_f32_e32 v7, v81
	v_sub_f32_e32 v65, v65, v56
	v_cvt_i32_f32_e32 v56, v56
	v_cvt_f16_f32_e32 v50, v55
	s_delay_alu instid0(TRANS32_DEP_1) | instid1(VALU_DEP_4)
	v_ldexp_f32 v49, v49, v7
	v_dual_max_f32 v7, v94, v57 :: v_dual_fmac_f32 v52, 0x32a5705f, v64
	s_delay_alu instid0(VALU_DEP_3) | instskip(SKIP_1) | instid1(VALU_DEP_4)
	v_pack_b32_f16 v51, v51, v50
	v_pack_b32_f16 v50, v54, v53
	v_cndmask_b32_e32 v49, 0, v49, vcc_lo
	s_delay_alu instid0(VALU_DEP_4) | instskip(SKIP_3) | instid1(VALU_DEP_4)
	v_dual_sub_f32 v95, v99, v7 :: v_dual_add_f32 v52, v65, v52
	v_sub_f32_e32 v65, v105, v6
	v_cmp_nlt_f32_e32 vcc_lo, 0x42b17218, v83
	v_pack_b32_f16 v53, v69, v58
	v_mul_f32_e32 v83, 0x3fb8aa3b, v95
	v_exp_f32_e32 v52, v52
	v_mul_f32_e32 v81, 0x3fb8aa3b, v65
	v_cndmask_b32_e32 v49, 0x7f800000, v49, vcc_lo
	v_cmp_ngt_f32_e32 vcc_lo, 0xc2ce8ed0, v64
	v_pack_b32_f16 v54, v88, v87
	s_delay_alu instid0(VALU_DEP_4) | instskip(SKIP_2) | instid1(TRANS32_DEP_1)
	v_fma_f32 v57, 0x3fb8aa3b, v65, -v81
	v_rndne_f32_e32 v94, v81
	v_cvt_f16_f32_e32 v97, v49
	v_ldexp_f32 v52, v52, v56
	s_delay_alu instid0(VALU_DEP_3) | instskip(SKIP_2) | instid1(VALU_DEP_4)
	v_dual_fmac_f32 v57, 0x32a5705f, v65 :: v_dual_sub_f32 v56, v81, v94
	v_add_f32_e32 v81, v55, v49
	v_cvt_i32_f32_e32 v49, v94
	v_cndmask_b32_e32 v52, 0, v52, vcc_lo
	v_cmp_nlt_f32_e32 vcc_lo, 0x42b17218, v64
	v_add_f32_e32 v55, v56, v57
	v_fma_f32 v56, 0x3fb8aa3b, v95, -v83
	v_rndne_f32_e32 v57, v83
	v_cndmask_b32_e32 v52, 0x7f800000, v52, vcc_lo
	s_delay_alu instid0(VALU_DEP_4) | instskip(SKIP_1) | instid1(VALU_DEP_3)
	v_exp_f32_e32 v55, v55
	v_cmp_ngt_f32_e32 vcc_lo, 0xc2ce8ed0, v65
	v_dual_sub_f32 v64, v83, v57 :: v_dual_sub_f32 v83, v102, v6
	s_delay_alu instid0(VALU_DEP_3) | instskip(SKIP_1) | instid1(VALU_DEP_3)
	v_dual_fmac_f32 v56, 0x32a5705f, v95 :: v_dual_fmac_f32 v81, v63, v52
	v_cvt_i32_f32_e32 v57, v57
	v_mul_f32_e32 v63, 0x3fb8aa3b, v83
	s_waitcnt_depctr 0xfff
	v_ldexp_f32 v49, v55, v49
	v_add_f32_e32 v56, v64, v56
	v_cvt_f16_f32_e32 v64, v52
	v_fma_f32 v55, 0x3fb8aa3b, v83, -v63
	s_delay_alu instid0(VALU_DEP_4) | instskip(NEXT) | instid1(VALU_DEP_4)
	v_dual_sub_f32 v62, v62, v6 :: v_dual_cndmask_b32 v49, 0, v49
	v_exp_f32_e32 v52, v56
	v_rndne_f32_e32 v56, v63
	s_delay_alu instid0(VALU_DEP_3)
	v_fmac_f32_e32 v55, 0x32a5705f, v83
	v_sub_f32_e32 v82, v82, v7
	v_cmp_nlt_f32_e32 vcc_lo, 0x42b17218, v65
	v_pk_mul_f16 v47, v64, v47 op_sel_hi:[0,1]
	v_sub_f32_e32 v63, v63, v56
	v_cvt_i32_f32_e32 v56, v56
	v_pk_mul_f16 v48, v64, v48 op_sel_hi:[0,1]
	v_cndmask_b32_e32 v65, 0x7f800000, v49, vcc_lo
	v_ldexp_f32 v49, v52, v57
	v_add_f32_e32 v52, v63, v55
	v_cmp_ngt_f32_e32 vcc_lo, 0xc2ce8ed0, v95
	v_mul_f32_e32 v94, 0x3fb8aa3b, v82
	s_delay_alu instid0(VALU_DEP_3) | instskip(SKIP_1) | instid1(VALU_DEP_2)
	v_exp_f32_e32 v52, v52
	v_cndmask_b32_e32 v49, 0, v49, vcc_lo
	v_rndne_f32_e32 v57, v94
	v_fma_f32 v55, 0x3fb8aa3b, v82, -v94
	v_cmp_nlt_f32_e32 vcc_lo, 0x42b17218, v95
	s_delay_alu instid0(VALU_DEP_3) | instskip(NEXT) | instid1(VALU_DEP_3)
	v_dual_sub_f32 v63, v94, v57 :: v_dual_mul_f32 v94, 0x3fb8aa3b, v62
	v_fmac_f32_e32 v55, 0x32a5705f, v82
	s_delay_alu instid0(TRANS32_DEP_1) | instskip(SKIP_1) | instid1(VALU_DEP_4)
	v_ldexp_f32 v52, v52, v56
	v_cvt_i32_f32_e32 v57, v57
	v_fma_f32 v56, 0x3fb8aa3b, v62, -v94
	s_delay_alu instid0(VALU_DEP_1) | instskip(SKIP_3) | instid1(VALU_DEP_4)
	v_dual_sub_f32 v61, v61, v7 :: v_dual_fmac_f32 v56, 0x32a5705f, v62
	v_cndmask_b32_e32 v95, 0x7f800000, v49, vcc_lo
	v_add_f32_e32 v49, v63, v55
	v_cmp_ngt_f32_e32 vcc_lo, 0xc2ce8ed0, v83
	v_mul_f32_e32 v55, 0x3fb8aa3b, v61
	v_rndne_f32_e32 v63, v94
	v_cndmask_b32_e32 v52, 0, v52, vcc_lo
	s_delay_alu instid0(VALU_DEP_3) | instskip(NEXT) | instid1(VALU_DEP_3)
	v_fma_f32 v98, 0x3fb8aa3b, v61, -v55
	v_sub_f32_e32 v94, v94, v63
	v_cmp_nlt_f32_e32 vcc_lo, 0x42b17218, v83
	v_rndne_f32_e32 v99, v55
	s_delay_alu instid0(VALU_DEP_4)
	v_fmac_f32_e32 v98, 0x32a5705f, v61
	v_exp_f32_e32 v49, v49
	v_add_f32_e32 v56, v94, v56
	v_cvt_f16_f32_e32 v94, v65
	s_waitcnt_depctr 0xfff
	v_ldexp_f32 v49, v49, v57
	v_cndmask_b32_e32 v57, 0x7f800000, v52, vcc_lo
	v_cmp_ngt_f32_e32 vcc_lo, 0xc2ce8ed0, v82
	v_exp_f32_e32 v52, v56
	v_cvt_i32_f32_e32 v56, v63
	v_cvt_f16_f32_e32 v63, v95
	v_cndmask_b32_e32 v49, 0, v49, vcc_lo
	v_cmp_nlt_f32_e32 vcc_lo, 0x42b17218, v82
	s_delay_alu instid0(VALU_DEP_2) | instskip(NEXT) | instid1(VALU_DEP_1)
	v_dual_sub_f32 v55, v55, v99 :: v_dual_cndmask_b32 v82, 0x7f800000, v49
	v_add_f32_e32 v55, v55, v98
	v_cvt_i32_f32_e32 v49, v99
	s_delay_alu instid0(TRANS32_DEP_1)
	v_ldexp_f32 v98, v52, v56
	v_cmp_ngt_f32_e32 vcc_lo, 0xc2ce8ed0, v62
	v_cvt_f16_f32_e32 v56, v82
	v_exp_f32_e32 v55, v55
	v_add_f32_e32 v82, v95, v82
	v_cvt_f16_f32_e32 v83, v57
	v_cndmask_b32_e32 v58, 0, v98, vcc_lo
	v_cmp_ngt_f32_e32 vcc_lo, 0xc2ce8ed0, v61
	v_pack_b32_f16 v56, v94, v56
	s_delay_alu instid0(VALU_DEP_4) | instskip(SKIP_1) | instid1(TRANS32_DEP_1)
	v_pack_b32_f16 v52, v83, v63
	v_add_f32_e32 v83, v57, v65
	v_ldexp_f32 v99, v55, v49
	v_pack_b32_f16 v49, v91, v93
	v_pack_b32_f16 v55, v92, v97
	ds_store_b128 v41, v[49:52]
	ds_store_b128 v41, v[53:56] offset:512
	s_waitcnt vmcnt(1)
	ds_store_b128 v37, v[108:111]
	s_waitcnt vmcnt(0)
	ds_store_b128 v38, v[112:115]
	v_cndmask_b32_e32 v63, 0, v99, vcc_lo
	v_cmp_nlt_f32_e32 vcc_lo, 0x42b17218, v62
	s_waitcnt lgkmcnt(0)
	s_barrier
	buffer_gl0_inv
	ds_load_2addr_b64 v[49:52], v39 offset1:32
	ds_load_b128 v[53:56], v36
	v_cndmask_b32_e32 v58, 0x7f800000, v58, vcc_lo
	v_cmp_nlt_f32_e32 vcc_lo, 0x42b17218, v61
	s_delay_alu instid0(VALU_DEP_2) | instskip(SKIP_2) | instid1(VALU_DEP_3)
	v_cvt_f16_f32_e32 v57, v58
	v_cndmask_b32_e32 v61, 0x7f800000, v63, vcc_lo
	v_fmac_f32_e32 v83, v60, v58
	v_pk_mul_f16 v65, v57, v45 op_sel_hi:[0,1]
	s_delay_alu instid0(VALU_DEP_3) | instskip(SKIP_2) | instid1(VALU_DEP_3)
	v_cvt_f16_f32_e32 v62, v61
	v_pk_mul_f16 v69, v57, v46 op_sel_hi:[0,1]
	v_fmac_f32_e32 v82, v59, v61
	v_pk_mul_f16 v87, v62, v44 op_sel_hi:[0,1]
	v_pk_mul_f16 v88, v62, v43 op_sel_hi:[0,1]
	ds_load_b128 v[43:46], v36 offset:16
	ds_load_b128 v[57:60], v36 offset:32
	;; [unrolled: 1-line block ×3, first 2 shown]
	s_waitcnt lgkmcnt(3)
	v_pk_fma_f16 v91, v49, v53, v68 op_sel_hi:[1,0,1]
	v_pk_fma_f16 v92, v49, v54, v67 op_sel_hi:[1,0,1]
	v_pk_fma_f16 v93, v49, v54, v66 op_sel:[0,1,0]
	v_pk_fma_f16 v95, v49, v56, v65 op_sel_hi:[1,0,1]
	ds_load_2addr_b64 v[65:68], v39 offset0:64 offset1:96
	v_pk_fma_f16 v90, v49, v53, v90 op_sel:[0,1,0]
	v_pk_fma_f16 v94, v49, v55, v96 op_sel_hi:[1,0,1]
	v_pk_fma_f16 v47, v49, v55, v47 op_sel:[0,1,0]
	v_pk_fma_f16 v49, v49, v56, v87 op_sel:[0,1,0]
	v_pk_fma_f16 v87, v50, v53, v89 op_sel_hi:[1,0,1]
	v_pk_fma_f16 v53, v50, v53, v86 op_sel:[0,1,0]
	v_pk_fma_f16 v84, v50, v54, v84 op_sel_hi:[1,0,1]
	;; [unrolled: 2-line block ×4, first 2 shown]
	v_pk_fma_f16 v50, v50, v56, v88 op_sel:[0,1,0]
	s_waitcnt lgkmcnt(3)
	v_pk_fma_f16 v56, v51, v43, v91 op_sel_hi:[1,0,1]
	v_pk_fma_f16 v69, v51, v43, v90 op_sel:[0,1,0]
	v_pk_fma_f16 v85, v51, v44, v92 op_sel_hi:[1,0,1]
	v_pk_fma_f16 v86, v51, v44, v93 op_sel:[0,1,0]
	;; [unrolled: 2-line block ×8, first 2 shown]
	s_waitcnt lgkmcnt(0)
	v_pk_fma_f16 v56, v65, v57, v56 op_sel_hi:[1,0,1]
	v_pk_fma_f16 v69, v65, v57, v69 op_sel:[0,1,0]
	v_pk_fma_f16 v70, v65, v58, v85 op_sel_hi:[1,0,1]
	v_pk_fma_f16 v84, v65, v58, v86 op_sel:[0,1,0]
	;; [unrolled: 2-line block ×7, first 2 shown]
	ds_load_2addr_b64 v[43:46], v39 offset0:128 offset1:160
	ds_load_b128 v[47:50], v36 offset:64
	v_pk_fma_f16 v55, v66, v60, v55 op_sel_hi:[1,0,1]
	v_pk_fma_f16 v60, v66, v60, v52 op_sel:[0,1,0]
	v_pk_fma_f16 v56, v67, v61, v56 op_sel_hi:[1,0,1]
	v_pk_fma_f16 v66, v67, v61, v69 op_sel:[0,1,0]
	;; [unrolled: 2-line block ×8, first 2 shown]
	ds_load_b128 v[51:54], v36 offset:80
	v_pk_fma_f16 v63, v68, v64, v55 op_sel_hi:[1,0,1]
	v_pk_fma_f16 v64, v68, v64, v60 op_sel:[0,1,0]
	s_waitcnt lgkmcnt(1)
	v_pk_fma_f16 v68, v43, v47, v56 op_sel_hi:[1,0,1]
	v_pk_fma_f16 v66, v43, v47, v66 op_sel:[0,1,0]
	v_pk_fma_f16 v69, v43, v48, v69 op_sel_hi:[1,0,1]
	v_pk_fma_f16 v70, v43, v48, v70 op_sel:[0,1,0]
	;; [unrolled: 2-line block ×7, first 2 shown]
	ds_load_2addr_b64 v[55:58], v39 offset0:192 offset1:224
	ds_load_b128 v[59:62], v36 offset:96
	v_pk_fma_f16 v63, v44, v50, v63 op_sel_hi:[1,0,1]
	v_pk_fma_f16 v44, v44, v50, v64 op_sel:[0,1,0]
	s_waitcnt lgkmcnt(2)
	v_pk_fma_f16 v50, v45, v51, v68 op_sel_hi:[1,0,1]
	v_pk_fma_f16 v64, v45, v51, v66 op_sel:[0,1,0]
	v_pk_fma_f16 v66, v45, v52, v69 op_sel_hi:[1,0,1]
	v_pk_fma_f16 v68, v45, v52, v70 op_sel:[0,1,0]
	v_pk_fma_f16 v69, v45, v53, v84 op_sel_hi:[1,0,1]
	v_pk_fma_f16 v70, v45, v53, v85 op_sel:[0,1,0]
	v_pk_fma_f16 v84, v45, v54, v86 op_sel_hi:[1,0,1]
	v_pk_fma_f16 v43, v45, v54, v43 op_sel:[0,1,0]
	v_pk_fma_f16 v45, v46, v51, v65 op_sel_hi:[1,0,1]
	v_pk_fma_f16 v51, v46, v51, v47 op_sel:[0,1,0]
	v_pk_fma_f16 v65, v46, v52, v67 op_sel_hi:[1,0,1]
	v_pk_fma_f16 v52, v46, v52, v48 op_sel:[0,1,0]
	v_pk_fma_f16 v67, v46, v53, v87 op_sel_hi:[1,0,1]
	v_pk_fma_f16 v53, v46, v53, v49 op_sel:[0,1,0]
	v_pk_fma_f16 v85, v46, v54, v63 op_sel_hi:[1,0,1]
	v_pk_fma_f16 v44, v46, v54, v44 op_sel:[0,1,0]
	ds_load_b128 v[46:49], v36 offset:112
	s_waitcnt lgkmcnt(1)
	v_pk_fma_f16 v54, v55, v59, v50 op_sel_hi:[1,0,1]
	v_pk_fma_f16 v86, v55, v59, v64 op_sel:[0,1,0]
	v_pk_fma_f16 v87, v55, v60, v66 op_sel_hi:[1,0,1]
	v_pk_fma_f16 v68, v55, v60, v68 op_sel:[0,1,0]
	;; [unrolled: 2-line block ×4, first 2 shown]
	v_pk_fma_f16 v55, v56, v59, v45 op_sel_hi:[1,0,1]
	v_add_nc_u32_e32 v45, 0x800, v39
	v_pk_fma_f16 v59, v56, v59, v51 op_sel:[0,1,0]
	v_pk_fma_f16 v88, v56, v60, v65 op_sel_hi:[1,0,1]
	v_pk_fma_f16 v60, v56, v60, v52 op_sel:[0,1,0]
	v_pk_fma_f16 v67, v56, v61, v67 op_sel_hi:[1,0,1]
	v_pk_fma_f16 v61, v56, v61, v53 op_sel:[0,1,0]
	ds_load_2addr_b64 v[50:53], v45 offset1:32
	ds_load_b128 v[63:66], v36 offset:128
	v_pk_fma_f16 v85, v56, v62, v85 op_sel_hi:[1,0,1]
	v_pk_fma_f16 v44, v56, v62, v44 op_sel:[0,1,0]
	s_waitcnt lgkmcnt(2)
	v_pk_fma_f16 v62, v57, v46, v54 op_sel_hi:[1,0,1]
	v_pk_fma_f16 v86, v57, v46, v86 op_sel:[0,1,0]
	v_pk_fma_f16 v87, v57, v47, v87 op_sel_hi:[1,0,1]
	v_pk_fma_f16 v68, v57, v47, v68 op_sel:[0,1,0]
	;; [unrolled: 2-line block ×7, first 2 shown]
	ds_load_b128 v[54:57], v36 offset:144
	v_pk_fma_f16 v67, v58, v49, v85 op_sel_hi:[1,0,1]
	v_pk_fma_f16 v44, v58, v49, v44 op_sel:[0,1,0]
	s_waitcnt lgkmcnt(1)
	v_pk_fma_f16 v62, v50, v63, v62 op_sel_hi:[1,0,1]
	v_pk_fma_f16 v85, v50, v63, v86 op_sel:[0,1,0]
	v_pk_fma_f16 v86, v50, v64, v87 op_sel_hi:[1,0,1]
	v_pk_fma_f16 v68, v50, v64, v68 op_sel:[0,1,0]
	;; [unrolled: 2-line block ×7, first 2 shown]
	ds_load_2addr_b64 v[46:49], v45 offset0:64 offset1:96
	ds_load_b128 v[58:61], v36 offset:160
	v_pk_fma_f16 v67, v51, v66, v67 op_sel_hi:[1,0,1]
	v_pk_fma_f16 v44, v51, v66, v44 op_sel:[0,1,0]
	s_waitcnt lgkmcnt(2)
	v_pk_fma_f16 v51, v52, v54, v62 op_sel_hi:[1,0,1]
	v_pk_fma_f16 v66, v52, v54, v85 op_sel:[0,1,0]
	v_pk_fma_f16 v85, v52, v55, v86 op_sel_hi:[1,0,1]
	v_pk_fma_f16 v68, v52, v55, v68 op_sel:[0,1,0]
	;; [unrolled: 2-line block ×6, first 2 shown]
	ds_load_b128 v[62:65], v36 offset:176
	v_pk_fma_f16 v86, v53, v56, v88 op_sel_hi:[1,0,1]
	v_pk_fma_f16 v56, v53, v56, v89 op_sel:[0,1,0]
	v_pk_fma_f16 v67, v53, v57, v67 op_sel_hi:[1,0,1]
	v_pk_fma_f16 v44, v53, v57, v44 op_sel:[0,1,0]
	s_waitcnt lgkmcnt(1)
	v_pk_fma_f16 v51, v46, v58, v51 op_sel_hi:[1,0,1]
	v_pk_fma_f16 v53, v46, v58, v66 op_sel:[0,1,0]
	v_pk_fma_f16 v196, v46, v59, v85 op_sel_hi:[1,0,1]
	v_pk_fma_f16 v197, v46, v59, v68 op_sel:[0,1,0]
	;; [unrolled: 2-line block ×4, first 2 shown]
	v_add_co_u32 v46, vcc_lo, s19, v12
	v_pk_fma_f16 v201, v47, v58, v50 op_sel_hi:[1,0,1]
	v_pk_fma_f16 v202, v47, v58, v52 op_sel:[0,1,0]
	v_pk_fma_f16 v203, v47, v59, v54 op_sel_hi:[1,0,1]
	v_pk_fma_f16 v204, v47, v59, v55 op_sel:[0,1,0]
	;; [unrolled: 2-line block ×4, first 2 shown]
	v_add_co_ci_u32_e32 v47, vcc_lo, s20, v13, vcc_lo
	v_add_co_u32 v188, vcc_lo, s19, v14
	v_add_co_ci_u32_e32 v189, vcc_lo, s20, v15, vcc_lo
	v_add_co_u32 v46, vcc_lo, v46, v42
	s_delay_alu instid0(VALU_DEP_4) | instskip(NEXT) | instid1(VALU_DEP_4)
	v_add_co_ci_u32_e32 v47, vcc_lo, 0, v47, vcc_lo
	v_add_co_u32 v192, vcc_lo, v188, v42
	v_add_nc_u32_e32 v43, 0x1800, v39
	v_add_co_ci_u32_e32 v193, vcc_lo, 0, v189, vcc_lo
	v_add_nc_u32_e32 v44, 0x1000, v39
	s_waitcnt lgkmcnt(0)
	v_pk_fma_f16 v209, v48, v62, v51 op_sel_hi:[1,0,1]
	v_pk_fma_f16 v210, v48, v62, v53 op_sel:[0,1,0]
	ds_load_2addr_b64 v[50:53], v45 offset0:128 offset1:160
	ds_load_b128 v[54:57], v36 offset:192
	ds_load_b128 v[58:61], v36 offset:208
	ds_load_2addr_b64 v[66:69], v45 offset0:192 offset1:224
	ds_load_b128 v[84:87], v36 offset:224
	ds_load_b128 v[88:91], v36 offset:240
	ds_load_2addr_b64 v[92:95], v44 offset1:32
	ds_load_b128 v[96:99], v36 offset:256
	ds_load_b128 v[100:103], v36 offset:272
	ds_load_2addr_b64 v[104:107], v44 offset0:64 offset1:96
	ds_load_b128 v[108:111], v36 offset:288
	ds_load_b128 v[112:115], v36 offset:304
	ds_load_2addr_b64 v[116:119], v44 offset0:128 offset1:160
	;; [unrolled: 3-line block ×3, first 2 shown]
	ds_load_b128 v[132:135], v36 offset:352
	ds_load_b128 v[136:139], v36 offset:368
	ds_load_2addr_b64 v[140:143], v43 offset1:32
	ds_load_b128 v[144:147], v36 offset:384
	ds_load_b128 v[148:151], v36 offset:400
	ds_load_2addr_b64 v[152:155], v43 offset0:64 offset1:96
	ds_load_b128 v[156:159], v36 offset:416
	ds_load_b128 v[160:163], v36 offset:432
	ds_load_2addr_b64 v[164:167], v43 offset0:128 offset1:160
	;; [unrolled: 3-line block ×3, first 2 shown]
	ds_load_b128 v[180:183], v36 offset:480
	ds_load_b128 v[184:187], v36 offset:496
	s_waitcnt lgkmcnt(0)
	s_barrier
	buffer_gl0_inv
	s_clause 0x1
	global_load_b128 v[188:191], v[46:47], off
	global_load_b128 v[192:195], v[192:193], off
	v_pk_fma_f16 v46, v48, v63, v196 op_sel_hi:[1,0,1]
	v_pk_fma_f16 v47, v48, v63, v197 op_sel:[0,1,0]
	v_pk_fma_f16 v196, v48, v64, v198 op_sel_hi:[1,0,1]
	v_pk_fma_f16 v70, v48, v64, v70 op_sel:[0,1,0]
	;; [unrolled: 2-line block ×12, first 2 shown]
	v_pk_fma_f16 v49, v51, v57, v49 op_sel:[0,1,0]
	v_pk_fma_f16 v62, v51, v55, v199 op_sel_hi:[1,0,1]
	v_pk_fma_f16 v55, v51, v55, v63 op_sel:[0,1,0]
	v_pk_fma_f16 v63, v51, v56, v200 op_sel_hi:[1,0,1]
	;; [unrolled: 2-line block ×3, first 2 shown]
	v_pk_fma_f16 v51, v52, v58, v65 op_sel_hi:[1,0,1]
	v_pk_fma_f16 v57, v52, v58, v202 op_sel:[0,1,0]
	v_pk_fma_f16 v46, v52, v59, v46 op_sel_hi:[1,0,1]
	v_pk_fma_f16 v47, v52, v59, v47 op_sel:[0,1,0]
	;; [unrolled: 2-line block ×5, first 2 shown]
	v_pk_fma_f16 v49, v53, v61, v49 op_sel:[0,1,0]
	v_pk_fma_f16 v54, v53, v59, v62 op_sel_hi:[1,0,1]
	v_pk_fma_f16 v55, v53, v59, v55 op_sel:[0,1,0]
	v_pk_fma_f16 v58, v53, v60, v63 op_sel_hi:[1,0,1]
	v_pk_fma_f16 v56, v53, v60, v56 op_sel:[0,1,0]
	v_pk_fma_f16 v59, v53, v61, v64 op_sel_hi:[1,0,1]
	v_pk_fma_f16 v51, v66, v84, v51 op_sel_hi:[1,0,1]
	v_pk_fma_f16 v53, v66, v84, v57 op_sel:[0,1,0]
	v_pk_fma_f16 v46, v66, v85, v46 op_sel_hi:[1,0,1]
	v_pk_fma_f16 v47, v66, v85, v47 op_sel:[0,1,0]
	v_pk_fma_f16 v48, v66, v87, v48 op_sel:[0,1,0]
	v_pk_fma_f16 v50, v67, v84, v50 op_sel_hi:[1,0,1]
	v_pk_fma_f16 v52, v67, v84, v52 op_sel:[0,1,0]
	;; [unrolled: 3-line block ×3, first 2 shown]
	v_pk_fma_f16 v46, v68, v89, v46 op_sel_hi:[1,0,1]
	v_pk_fma_f16 v47, v68, v89, v47 op_sel:[0,1,0]
	v_pk_fma_f16 v48, v68, v91, v48 op_sel:[0,1,0]
	v_pk_fma_f16 v50, v69, v88, v50 op_sel_hi:[1,0,1]
	v_pk_fma_f16 v52, v69, v88, v52 op_sel:[0,1,0]
	v_pk_fma_f16 v49, v69, v91, v49 op_sel:[0,1,0]
	v_pk_fma_f16 v57, v66, v86, v65 op_sel_hi:[1,0,1]
	v_pk_fma_f16 v60, v66, v86, v70 op_sel:[0,1,0]
	v_pk_fma_f16 v61, v66, v87, v196 op_sel_hi:[1,0,1]
	v_pk_fma_f16 v51, v92, v96, v51 op_sel_hi:[1,0,1]
	v_pk_fma_f16 v53, v92, v96, v53 op_sel:[0,1,0]
	v_pk_fma_f16 v46, v92, v97, v46 op_sel_hi:[1,0,1]
	v_pk_fma_f16 v47, v92, v97, v47 op_sel:[0,1,0]
	v_pk_fma_f16 v48, v92, v99, v48 op_sel:[0,1,0]
	v_pk_fma_f16 v50, v93, v96, v50 op_sel_hi:[1,0,1]
	v_pk_fma_f16 v52, v93, v96, v52 op_sel:[0,1,0]
	v_pk_fma_f16 v49, v93, v99, v49 op_sel:[0,1,0]
	v_pk_fma_f16 v54, v67, v85, v54 op_sel_hi:[1,0,1]
	v_pk_fma_f16 v55, v67, v85, v55 op_sel:[0,1,0]
	v_pk_fma_f16 v58, v67, v86, v58 op_sel_hi:[1,0,1]
	v_pk_fma_f16 v56, v67, v86, v56 op_sel:[0,1,0]
	v_pk_fma_f16 v59, v67, v87, v59 op_sel_hi:[1,0,1]
	v_pk_fma_f16 v57, v68, v90, v57 op_sel_hi:[1,0,1]
	v_pk_fma_f16 v60, v68, v90, v60 op_sel:[0,1,0]
	v_pk_fma_f16 v61, v68, v91, v61 op_sel_hi:[1,0,1]
	v_pk_fma_f16 v51, v94, v100, v51 op_sel_hi:[1,0,1]
	v_pk_fma_f16 v53, v94, v100, v53 op_sel:[0,1,0]
	v_pk_fma_f16 v46, v94, v101, v46 op_sel_hi:[1,0,1]
	v_pk_fma_f16 v47, v94, v101, v47 op_sel:[0,1,0]
	v_pk_fma_f16 v48, v94, v103, v48 op_sel:[0,1,0]
	v_pk_fma_f16 v50, v95, v100, v50 op_sel_hi:[1,0,1]
	v_pk_fma_f16 v52, v95, v100, v52 op_sel:[0,1,0]
	v_pk_fma_f16 v49, v95, v103, v49 op_sel:[0,1,0]
	v_pk_fma_f16 v54, v69, v89, v54 op_sel_hi:[1,0,1]
	v_pk_fma_f16 v55, v69, v89, v55 op_sel:[0,1,0]
	v_pk_fma_f16 v58, v69, v90, v58 op_sel_hi:[1,0,1]
	v_pk_fma_f16 v56, v69, v90, v56 op_sel:[0,1,0]
	v_pk_fma_f16 v59, v69, v91, v59 op_sel_hi:[1,0,1]
	v_pk_fma_f16 v57, v92, v98, v57 op_sel_hi:[1,0,1]
	v_pk_fma_f16 v60, v92, v98, v60 op_sel:[0,1,0]
	v_pk_fma_f16 v61, v92, v99, v61 op_sel_hi:[1,0,1]
	v_pk_fma_f16 v51, v104, v108, v51 op_sel_hi:[1,0,1]
	v_pk_fma_f16 v53, v104, v108, v53 op_sel:[0,1,0]
	v_pk_fma_f16 v46, v104, v109, v46 op_sel_hi:[1,0,1]
	v_pk_fma_f16 v47, v104, v109, v47 op_sel:[0,1,0]
	v_pk_fma_f16 v48, v104, v111, v48 op_sel:[0,1,0]
	v_pk_fma_f16 v50, v105, v108, v50 op_sel_hi:[1,0,1]
	v_pk_fma_f16 v52, v105, v108, v52 op_sel:[0,1,0]
	v_pk_fma_f16 v49, v105, v111, v49 op_sel:[0,1,0]
	v_pk_fma_f16 v54, v93, v97, v54 op_sel_hi:[1,0,1]
	v_pk_fma_f16 v55, v93, v97, v55 op_sel:[0,1,0]
	v_pk_fma_f16 v58, v93, v98, v58 op_sel_hi:[1,0,1]
	v_pk_fma_f16 v56, v93, v98, v56 op_sel:[0,1,0]
	v_pk_fma_f16 v59, v93, v99, v59 op_sel_hi:[1,0,1]
	v_pk_fma_f16 v57, v94, v102, v57 op_sel_hi:[1,0,1]
	v_pk_fma_f16 v60, v94, v102, v60 op_sel:[0,1,0]
	v_pk_fma_f16 v61, v94, v103, v61 op_sel_hi:[1,0,1]
	v_pk_fma_f16 v51, v106, v112, v51 op_sel_hi:[1,0,1]
	v_pk_fma_f16 v53, v106, v112, v53 op_sel:[0,1,0]
	v_pk_fma_f16 v46, v106, v113, v46 op_sel_hi:[1,0,1]
	v_pk_fma_f16 v47, v106, v113, v47 op_sel:[0,1,0]
	v_pk_fma_f16 v48, v106, v115, v48 op_sel:[0,1,0]
	v_pk_fma_f16 v50, v107, v112, v50 op_sel_hi:[1,0,1]
	v_pk_fma_f16 v52, v107, v112, v52 op_sel:[0,1,0]
	v_pk_fma_f16 v49, v107, v115, v49 op_sel:[0,1,0]
	v_pk_fma_f16 v54, v95, v101, v54 op_sel_hi:[1,0,1]
	v_pk_fma_f16 v55, v95, v101, v55 op_sel:[0,1,0]
	v_pk_fma_f16 v58, v95, v102, v58 op_sel_hi:[1,0,1]
	v_pk_fma_f16 v56, v95, v102, v56 op_sel:[0,1,0]
	v_pk_fma_f16 v59, v95, v103, v59 op_sel_hi:[1,0,1]
	v_pk_fma_f16 v57, v104, v110, v57 op_sel_hi:[1,0,1]
	v_pk_fma_f16 v60, v104, v110, v60 op_sel:[0,1,0]
	v_pk_fma_f16 v61, v104, v111, v61 op_sel_hi:[1,0,1]
	v_pk_fma_f16 v51, v116, v120, v51 op_sel_hi:[1,0,1]
	v_pk_fma_f16 v53, v116, v120, v53 op_sel:[0,1,0]
	v_pk_fma_f16 v46, v116, v121, v46 op_sel_hi:[1,0,1]
	v_pk_fma_f16 v47, v116, v121, v47 op_sel:[0,1,0]
	v_pk_fma_f16 v48, v116, v123, v48 op_sel:[0,1,0]
	v_pk_fma_f16 v50, v117, v120, v50 op_sel_hi:[1,0,1]
	v_pk_fma_f16 v52, v117, v120, v52 op_sel:[0,1,0]
	v_pk_fma_f16 v49, v117, v123, v49 op_sel:[0,1,0]
	v_pk_fma_f16 v54, v105, v109, v54 op_sel_hi:[1,0,1]
	v_pk_fma_f16 v55, v105, v109, v55 op_sel:[0,1,0]
	v_pk_fma_f16 v58, v105, v110, v58 op_sel_hi:[1,0,1]
	v_pk_fma_f16 v56, v105, v110, v56 op_sel:[0,1,0]
	v_pk_fma_f16 v59, v105, v111, v59 op_sel_hi:[1,0,1]
	v_pk_fma_f16 v57, v106, v114, v57 op_sel_hi:[1,0,1]
	v_pk_fma_f16 v60, v106, v114, v60 op_sel:[0,1,0]
	v_pk_fma_f16 v61, v106, v115, v61 op_sel_hi:[1,0,1]
	v_pk_fma_f16 v51, v118, v124, v51 op_sel_hi:[1,0,1]
	v_pk_fma_f16 v53, v118, v124, v53 op_sel:[0,1,0]
	v_pk_fma_f16 v46, v118, v125, v46 op_sel_hi:[1,0,1]
	v_pk_fma_f16 v47, v118, v125, v47 op_sel:[0,1,0]
	v_pk_fma_f16 v48, v118, v127, v48 op_sel:[0,1,0]
	v_pk_fma_f16 v50, v119, v124, v50 op_sel_hi:[1,0,1]
	v_pk_fma_f16 v52, v119, v124, v52 op_sel:[0,1,0]
	v_pk_fma_f16 v49, v119, v127, v49 op_sel:[0,1,0]
	v_pk_fma_f16 v54, v107, v113, v54 op_sel_hi:[1,0,1]
	v_pk_fma_f16 v55, v107, v113, v55 op_sel:[0,1,0]
	v_pk_fma_f16 v58, v107, v114, v58 op_sel_hi:[1,0,1]
	v_pk_fma_f16 v56, v107, v114, v56 op_sel:[0,1,0]
	v_pk_fma_f16 v59, v107, v115, v59 op_sel_hi:[1,0,1]
	v_pk_fma_f16 v57, v116, v122, v57 op_sel_hi:[1,0,1]
	v_pk_fma_f16 v60, v116, v122, v60 op_sel:[0,1,0]
	v_pk_fma_f16 v61, v116, v123, v61 op_sel_hi:[1,0,1]
	v_pk_fma_f16 v51, v128, v132, v51 op_sel_hi:[1,0,1]
	v_pk_fma_f16 v53, v128, v132, v53 op_sel:[0,1,0]
	v_pk_fma_f16 v46, v128, v133, v46 op_sel_hi:[1,0,1]
	v_pk_fma_f16 v47, v128, v133, v47 op_sel:[0,1,0]
	v_pk_fma_f16 v48, v128, v135, v48 op_sel:[0,1,0]
	v_pk_fma_f16 v50, v129, v132, v50 op_sel_hi:[1,0,1]
	v_pk_fma_f16 v52, v129, v132, v52 op_sel:[0,1,0]
	v_pk_fma_f16 v49, v129, v135, v49 op_sel:[0,1,0]
	v_pk_fma_f16 v54, v117, v121, v54 op_sel_hi:[1,0,1]
	v_pk_fma_f16 v55, v117, v121, v55 op_sel:[0,1,0]
	v_pk_fma_f16 v58, v117, v122, v58 op_sel_hi:[1,0,1]
	v_pk_fma_f16 v56, v117, v122, v56 op_sel:[0,1,0]
	v_pk_fma_f16 v59, v117, v123, v59 op_sel_hi:[1,0,1]
	v_pk_fma_f16 v57, v118, v126, v57 op_sel_hi:[1,0,1]
	v_pk_fma_f16 v60, v118, v126, v60 op_sel:[0,1,0]
	v_pk_fma_f16 v61, v118, v127, v61 op_sel_hi:[1,0,1]
	v_pk_fma_f16 v51, v130, v136, v51 op_sel_hi:[1,0,1]
	v_pk_fma_f16 v53, v130, v136, v53 op_sel:[0,1,0]
	v_pk_fma_f16 v46, v130, v137, v46 op_sel_hi:[1,0,1]
	v_pk_fma_f16 v47, v130, v137, v47 op_sel:[0,1,0]
	v_pk_fma_f16 v48, v130, v139, v48 op_sel:[0,1,0]
	v_pk_fma_f16 v50, v131, v136, v50 op_sel_hi:[1,0,1]
	v_pk_fma_f16 v52, v131, v136, v52 op_sel:[0,1,0]
	v_pk_fma_f16 v49, v131, v139, v49 op_sel:[0,1,0]
	v_pk_fma_f16 v54, v119, v125, v54 op_sel_hi:[1,0,1]
	v_pk_fma_f16 v55, v119, v125, v55 op_sel:[0,1,0]
	v_pk_fma_f16 v58, v119, v126, v58 op_sel_hi:[1,0,1]
	v_pk_fma_f16 v56, v119, v126, v56 op_sel:[0,1,0]
	v_pk_fma_f16 v59, v119, v127, v59 op_sel_hi:[1,0,1]
	v_pk_fma_f16 v57, v128, v134, v57 op_sel_hi:[1,0,1]
	v_pk_fma_f16 v60, v128, v134, v60 op_sel:[0,1,0]
	v_pk_fma_f16 v61, v128, v135, v61 op_sel_hi:[1,0,1]
	v_pk_fma_f16 v51, v140, v144, v51 op_sel_hi:[1,0,1]
	v_pk_fma_f16 v53, v140, v144, v53 op_sel:[0,1,0]
	v_pk_fma_f16 v46, v140, v145, v46 op_sel_hi:[1,0,1]
	v_pk_fma_f16 v47, v140, v145, v47 op_sel:[0,1,0]
	v_pk_fma_f16 v48, v140, v147, v48 op_sel:[0,1,0]
	v_pk_fma_f16 v50, v141, v144, v50 op_sel_hi:[1,0,1]
	v_pk_fma_f16 v52, v141, v144, v52 op_sel:[0,1,0]
	v_pk_fma_f16 v49, v141, v147, v49 op_sel:[0,1,0]
	v_pk_fma_f16 v54, v129, v133, v54 op_sel_hi:[1,0,1]
	v_pk_fma_f16 v55, v129, v133, v55 op_sel:[0,1,0]
	v_pk_fma_f16 v58, v129, v134, v58 op_sel_hi:[1,0,1]
	v_pk_fma_f16 v56, v129, v134, v56 op_sel:[0,1,0]
	v_pk_fma_f16 v59, v129, v135, v59 op_sel_hi:[1,0,1]
	v_pk_fma_f16 v57, v130, v138, v57 op_sel_hi:[1,0,1]
	v_pk_fma_f16 v60, v130, v138, v60 op_sel:[0,1,0]
	v_pk_fma_f16 v61, v130, v139, v61 op_sel_hi:[1,0,1]
	v_pk_fma_f16 v51, v142, v148, v51 op_sel_hi:[1,0,1]
	v_pk_fma_f16 v53, v142, v148, v53 op_sel:[0,1,0]
	v_pk_fma_f16 v46, v142, v149, v46 op_sel_hi:[1,0,1]
	v_pk_fma_f16 v47, v142, v149, v47 op_sel:[0,1,0]
	v_pk_fma_f16 v48, v142, v151, v48 op_sel:[0,1,0]
	v_pk_fma_f16 v50, v143, v148, v50 op_sel_hi:[1,0,1]
	v_pk_fma_f16 v52, v143, v148, v52 op_sel:[0,1,0]
	v_pk_fma_f16 v49, v143, v151, v49 op_sel:[0,1,0]
	v_pk_fma_f16 v54, v131, v137, v54 op_sel_hi:[1,0,1]
	v_pk_fma_f16 v55, v131, v137, v55 op_sel:[0,1,0]
	v_pk_fma_f16 v58, v131, v138, v58 op_sel_hi:[1,0,1]
	v_pk_fma_f16 v56, v131, v138, v56 op_sel:[0,1,0]
	v_pk_fma_f16 v59, v131, v139, v59 op_sel_hi:[1,0,1]
	v_pk_fma_f16 v57, v140, v146, v57 op_sel_hi:[1,0,1]
	v_pk_fma_f16 v60, v140, v146, v60 op_sel:[0,1,0]
	v_pk_fma_f16 v61, v140, v147, v61 op_sel_hi:[1,0,1]
	v_pk_fma_f16 v51, v152, v156, v51 op_sel_hi:[1,0,1]
	v_pk_fma_f16 v53, v152, v156, v53 op_sel:[0,1,0]
	v_pk_fma_f16 v46, v152, v157, v46 op_sel_hi:[1,0,1]
	v_pk_fma_f16 v47, v152, v157, v47 op_sel:[0,1,0]
	v_pk_fma_f16 v48, v152, v159, v48 op_sel:[0,1,0]
	v_pk_fma_f16 v50, v153, v156, v50 op_sel_hi:[1,0,1]
	v_pk_fma_f16 v52, v153, v156, v52 op_sel:[0,1,0]
	v_pk_fma_f16 v49, v153, v159, v49 op_sel:[0,1,0]
	v_pk_fma_f16 v54, v141, v145, v54 op_sel_hi:[1,0,1]
	v_pk_fma_f16 v55, v141, v145, v55 op_sel:[0,1,0]
	v_pk_fma_f16 v58, v141, v146, v58 op_sel_hi:[1,0,1]
	v_pk_fma_f16 v56, v141, v146, v56 op_sel:[0,1,0]
	v_pk_fma_f16 v59, v141, v147, v59 op_sel_hi:[1,0,1]
	v_pk_fma_f16 v57, v142, v150, v57 op_sel_hi:[1,0,1]
	v_pk_fma_f16 v60, v142, v150, v60 op_sel:[0,1,0]
	v_pk_fma_f16 v61, v142, v151, v61 op_sel_hi:[1,0,1]
	v_pk_fma_f16 v51, v154, v160, v51 op_sel_hi:[1,0,1]
	v_pk_fma_f16 v53, v154, v160, v53 op_sel:[0,1,0]
	v_pk_fma_f16 v46, v154, v161, v46 op_sel_hi:[1,0,1]
	v_pk_fma_f16 v47, v154, v161, v47 op_sel:[0,1,0]
	v_pk_fma_f16 v48, v154, v163, v48 op_sel:[0,1,0]
	v_pk_fma_f16 v50, v155, v160, v50 op_sel_hi:[1,0,1]
	v_pk_fma_f16 v52, v155, v160, v52 op_sel:[0,1,0]
	v_pk_fma_f16 v49, v155, v163, v49 op_sel:[0,1,0]
	v_pk_fma_f16 v54, v143, v149, v54 op_sel_hi:[1,0,1]
	v_pk_fma_f16 v55, v143, v149, v55 op_sel:[0,1,0]
	v_pk_fma_f16 v58, v143, v150, v58 op_sel_hi:[1,0,1]
	v_pk_fma_f16 v56, v143, v150, v56 op_sel:[0,1,0]
	v_pk_fma_f16 v59, v143, v151, v59 op_sel_hi:[1,0,1]
	v_pk_fma_f16 v57, v152, v158, v57 op_sel_hi:[1,0,1]
	v_pk_fma_f16 v60, v152, v158, v60 op_sel:[0,1,0]
	v_pk_fma_f16 v61, v152, v159, v61 op_sel_hi:[1,0,1]
	v_pk_fma_f16 v51, v164, v168, v51 op_sel_hi:[1,0,1]
	v_pk_fma_f16 v53, v164, v168, v53 op_sel:[0,1,0]
	v_pk_fma_f16 v46, v164, v169, v46 op_sel_hi:[1,0,1]
	v_pk_fma_f16 v47, v164, v169, v47 op_sel:[0,1,0]
	v_pk_fma_f16 v48, v164, v171, v48 op_sel:[0,1,0]
	v_pk_fma_f16 v50, v165, v168, v50 op_sel_hi:[1,0,1]
	v_pk_fma_f16 v52, v165, v168, v52 op_sel:[0,1,0]
	v_pk_fma_f16 v49, v165, v171, v49 op_sel:[0,1,0]
	v_pk_fma_f16 v54, v153, v157, v54 op_sel_hi:[1,0,1]
	v_pk_fma_f16 v55, v153, v157, v55 op_sel:[0,1,0]
	v_pk_fma_f16 v58, v153, v158, v58 op_sel_hi:[1,0,1]
	v_pk_fma_f16 v56, v153, v158, v56 op_sel:[0,1,0]
	v_pk_fma_f16 v59, v153, v159, v59 op_sel_hi:[1,0,1]
	v_pk_fma_f16 v57, v154, v162, v57 op_sel_hi:[1,0,1]
	v_pk_fma_f16 v60, v154, v162, v60 op_sel:[0,1,0]
	v_pk_fma_f16 v61, v154, v163, v61 op_sel_hi:[1,0,1]
	v_pk_fma_f16 v51, v166, v172, v51 op_sel_hi:[1,0,1]
	v_pk_fma_f16 v53, v166, v172, v53 op_sel:[0,1,0]
	v_pk_fma_f16 v46, v166, v173, v46 op_sel_hi:[1,0,1]
	v_pk_fma_f16 v47, v166, v173, v47 op_sel:[0,1,0]
	v_pk_fma_f16 v48, v166, v175, v48 op_sel:[0,1,0]
	v_pk_fma_f16 v50, v167, v172, v50 op_sel_hi:[1,0,1]
	v_pk_fma_f16 v52, v167, v172, v52 op_sel:[0,1,0]
	v_pk_fma_f16 v49, v167, v175, v49 op_sel:[0,1,0]
	v_pk_fma_f16 v54, v155, v161, v54 op_sel_hi:[1,0,1]
	v_pk_fma_f16 v55, v155, v161, v55 op_sel:[0,1,0]
	v_pk_fma_f16 v58, v155, v162, v58 op_sel_hi:[1,0,1]
	v_pk_fma_f16 v56, v155, v162, v56 op_sel:[0,1,0]
	v_pk_fma_f16 v59, v155, v163, v59 op_sel_hi:[1,0,1]
	v_pk_fma_f16 v57, v164, v170, v57 op_sel_hi:[1,0,1]
	v_pk_fma_f16 v60, v164, v170, v60 op_sel:[0,1,0]
	v_pk_fma_f16 v61, v164, v171, v61 op_sel_hi:[1,0,1]
	v_pk_fma_f16 v62, v176, v180, v51 op_sel_hi:[1,0,1]
	v_pk_fma_f16 v63, v176, v180, v53 op_sel:[0,1,0]
	v_pk_fma_f16 v64, v176, v181, v46 op_sel_hi:[1,0,1]
	v_pk_fma_f16 v65, v176, v181, v47 op_sel:[0,1,0]
	v_pk_fma_f16 v66, v176, v183, v48 op_sel:[0,1,0]
	v_pk_fma_f16 v67, v177, v180, v50 op_sel_hi:[1,0,1]
	v_pk_fma_f16 v68, v177, v180, v52 op_sel:[0,1,0]
	v_pk_fma_f16 v69, v177, v183, v49 op_sel:[0,1,0]
	s_waitcnt vmcnt(1)
	ds_store_b128 v37, v[188:191]
	s_waitcnt vmcnt(0)
	ds_store_b128 v38, v[192:195]
	s_waitcnt lgkmcnt(0)
	s_barrier
	buffer_gl0_inv
	ds_load_2addr_b64 v[46:49], v39 offset1:32
	ds_load_b128 v[50:53], v36 offset:512
	v_pk_fma_f16 v54, v165, v169, v54 op_sel_hi:[1,0,1]
	v_pk_fma_f16 v55, v165, v169, v55 op_sel:[0,1,0]
	v_pk_fma_f16 v58, v165, v170, v58 op_sel_hi:[1,0,1]
	v_pk_fma_f16 v56, v165, v170, v56 op_sel:[0,1,0]
	v_pk_fma_f16 v59, v165, v171, v59 op_sel_hi:[1,0,1]
	v_pk_fma_f16 v57, v166, v174, v57 op_sel_hi:[1,0,1]
	v_pk_fma_f16 v60, v166, v174, v60 op_sel:[0,1,0]
	v_pk_fma_f16 v61, v166, v175, v61 op_sel_hi:[1,0,1]
	v_pk_fma_f16 v54, v167, v173, v54 op_sel_hi:[1,0,1]
	v_pk_fma_f16 v55, v167, v173, v55 op_sel:[0,1,0]
	v_pk_fma_f16 v58, v167, v174, v58 op_sel_hi:[1,0,1]
	v_pk_fma_f16 v56, v167, v174, v56 op_sel:[0,1,0]
	v_pk_fma_f16 v59, v167, v175, v59 op_sel_hi:[1,0,1]
	v_pk_fma_f16 v57, v176, v182, v57 op_sel_hi:[1,0,1]
	v_pk_fma_f16 v60, v176, v182, v60 op_sel:[0,1,0]
	v_pk_fma_f16 v61, v176, v183, v61 op_sel_hi:[1,0,1]
	;; [unrolled: 8-line block ×3, first 2 shown]
	v_pk_fma_f16 v86, v178, v185, v65 op_sel:[0,1,0]
	v_pk_fma_f16 v87, v178, v186, v57 op_sel_hi:[1,0,1]
	v_pk_fma_f16 v88, v178, v186, v60 op_sel:[0,1,0]
	v_pk_fma_f16 v89, v178, v187, v61 op_sel_hi:[1,0,1]
	v_pk_fma_f16 v66, v178, v187, v66 op_sel:[0,1,0]
	v_pk_fma_f16 v67, v179, v184, v67 op_sel_hi:[1,0,1]
	v_pk_fma_f16 v68, v179, v184, v68 op_sel:[0,1,0]
	v_pk_fma_f16 v90, v179, v185, v54 op_sel_hi:[1,0,1]
	v_pk_fma_f16 v91, v179, v185, v55 op_sel:[0,1,0]
	v_pk_fma_f16 v92, v179, v186, v58 op_sel_hi:[1,0,1]
	v_pk_fma_f16 v93, v179, v186, v56 op_sel:[0,1,0]
	v_pk_fma_f16 v94, v179, v187, v59 op_sel_hi:[1,0,1]
	ds_load_b128 v[54:57], v36 offset:528
	ds_load_b128 v[58:61], v36 offset:544
	;; [unrolled: 1-line block ×3, first 2 shown]
	v_pk_fma_f16 v95, v179, v187, v69 op_sel:[0,1,0]
	s_waitcnt lgkmcnt(3)
	v_pk_fma_f16 v70, v46, v50, v70 op_sel_hi:[1,0,1]
	v_pk_fma_f16 v84, v46, v50, v84 op_sel:[0,1,0]
	v_pk_fma_f16 v85, v46, v51, v85 op_sel_hi:[1,0,1]
	v_pk_fma_f16 v86, v46, v51, v86 op_sel:[0,1,0]
	;; [unrolled: 2-line block ×5, first 2 shown]
	ds_load_2addr_b64 v[66:69], v39 offset0:64 offset1:96
	v_pk_fma_f16 v90, v47, v51, v90 op_sel_hi:[1,0,1]
	v_pk_fma_f16 v51, v47, v51, v91 op_sel:[0,1,0]
	v_pk_fma_f16 v91, v47, v52, v92 op_sel_hi:[1,0,1]
	v_pk_fma_f16 v52, v47, v52, v93 op_sel:[0,1,0]
	v_pk_fma_f16 v92, v47, v53, v94 op_sel_hi:[1,0,1]
	v_pk_fma_f16 v47, v47, v53, v95 op_sel:[0,1,0]
	s_waitcnt lgkmcnt(3)
	v_pk_fma_f16 v53, v48, v54, v70 op_sel_hi:[1,0,1]
	v_pk_fma_f16 v70, v48, v54, v84 op_sel:[0,1,0]
	v_pk_fma_f16 v84, v48, v55, v85 op_sel_hi:[1,0,1]
	v_pk_fma_f16 v85, v48, v55, v86 op_sel:[0,1,0]
	;; [unrolled: 2-line block ×8, first 2 shown]
	s_waitcnt lgkmcnt(0)
	v_pk_fma_f16 v89, v66, v58, v53 op_sel_hi:[1,0,1]
	v_pk_fma_f16 v70, v66, v58, v70 op_sel:[0,1,0]
	v_pk_fma_f16 v84, v66, v59, v84 op_sel_hi:[1,0,1]
	v_pk_fma_f16 v85, v66, v59, v85 op_sel:[0,1,0]
	;; [unrolled: 2-line block ×7, first 2 shown]
	ds_load_2addr_b64 v[46:49], v39 offset0:128 offset1:160
	ds_load_b128 v[50:53], v36 offset:576
	v_pk_fma_f16 v56, v67, v61, v56 op_sel_hi:[1,0,1]
	v_pk_fma_f16 v61, v67, v61, v57 op_sel:[0,1,0]
	v_pk_fma_f16 v67, v68, v62, v89 op_sel_hi:[1,0,1]
	v_pk_fma_f16 v70, v68, v62, v70 op_sel:[0,1,0]
	;; [unrolled: 2-line block ×7, first 2 shown]
	v_pk_fma_f16 v63, v69, v64, v55 op_sel_hi:[1,0,1]
	v_pk_fma_f16 v89, v69, v65, v56 op_sel_hi:[1,0,1]
	ds_load_b128 v[54:57], v36 offset:592
	v_pk_fma_f16 v60, v69, v64, v60 op_sel:[0,1,0]
	v_pk_fma_f16 v69, v69, v65, v61 op_sel:[0,1,0]
	s_waitcnt lgkmcnt(1)
	v_pk_fma_f16 v67, v46, v50, v67 op_sel_hi:[1,0,1]
	v_pk_fma_f16 v70, v46, v50, v70 op_sel:[0,1,0]
	v_pk_fma_f16 v84, v46, v51, v84 op_sel_hi:[1,0,1]
	v_pk_fma_f16 v85, v46, v51, v85 op_sel:[0,1,0]
	;; [unrolled: 2-line block ×7, first 2 shown]
	ds_load_2addr_b64 v[58:61], v39 offset0:192 offset1:224
	ds_load_b128 v[62:65], v36 offset:608
	v_pk_fma_f16 v89, v47, v53, v89 op_sel_hi:[1,0,1]
	v_pk_fma_f16 v47, v47, v53, v69 op_sel:[0,1,0]
	s_waitcnt lgkmcnt(2)
	v_pk_fma_f16 v67, v48, v54, v67 op_sel_hi:[1,0,1]
	v_pk_fma_f16 v69, v48, v54, v70 op_sel:[0,1,0]
	v_pk_fma_f16 v70, v48, v55, v84 op_sel_hi:[1,0,1]
	v_pk_fma_f16 v84, v48, v55, v85 op_sel:[0,1,0]
	;; [unrolled: 2-line block ×7, first 2 shown]
	ds_load_b128 v[50:53], v36 offset:624
	v_pk_fma_f16 v88, v49, v57, v89 op_sel_hi:[1,0,1]
	v_pk_fma_f16 v89, v49, v57, v47 op_sel:[0,1,0]
	s_waitcnt lgkmcnt(1)
	v_pk_fma_f16 v67, v58, v62, v67 op_sel_hi:[1,0,1]
	v_pk_fma_f16 v69, v58, v62, v69 op_sel:[0,1,0]
	v_pk_fma_f16 v70, v58, v63, v70 op_sel_hi:[1,0,1]
	v_pk_fma_f16 v84, v58, v63, v84 op_sel:[0,1,0]
	;; [unrolled: 2-line block ×7, first 2 shown]
	ds_load_2addr_b64 v[46:49], v45 offset1:32
	ds_load_b128 v[54:57], v36 offset:640
	v_pk_fma_f16 v88, v59, v65, v88 op_sel_hi:[1,0,1]
	v_pk_fma_f16 v59, v59, v65, v89 op_sel:[0,1,0]
	s_waitcnt lgkmcnt(2)
	v_pk_fma_f16 v67, v60, v50, v67 op_sel_hi:[1,0,1]
	v_pk_fma_f16 v69, v60, v50, v69 op_sel:[0,1,0]
	v_pk_fma_f16 v70, v60, v51, v70 op_sel_hi:[1,0,1]
	v_pk_fma_f16 v84, v60, v51, v84 op_sel:[0,1,0]
	v_pk_fma_f16 v85, v60, v52, v85 op_sel_hi:[1,0,1]
	v_pk_fma_f16 v86, v60, v52, v86 op_sel:[0,1,0]
	v_pk_fma_f16 v87, v60, v53, v87 op_sel_hi:[1,0,1]
	v_pk_fma_f16 v58, v60, v53, v58 op_sel:[0,1,0]
	v_pk_fma_f16 v60, v61, v50, v90 op_sel_hi:[1,0,1]
	v_pk_fma_f16 v50, v61, v50, v62 op_sel:[0,1,0]
	v_pk_fma_f16 v66, v61, v51, v66 op_sel_hi:[1,0,1]
	v_pk_fma_f16 v51, v61, v51, v63 op_sel:[0,1,0]
	v_pk_fma_f16 v68, v61, v52, v68 op_sel_hi:[1,0,1]
	v_pk_fma_f16 v52, v61, v52, v64 op_sel:[0,1,0]
	ds_load_b128 v[62:65], v36 offset:656
	v_pk_fma_f16 v88, v61, v53, v88 op_sel_hi:[1,0,1]
	v_pk_fma_f16 v89, v61, v53, v59 op_sel:[0,1,0]
	s_waitcnt lgkmcnt(1)
	v_pk_fma_f16 v67, v46, v54, v67 op_sel_hi:[1,0,1]
	v_pk_fma_f16 v69, v46, v54, v69 op_sel:[0,1,0]
	v_pk_fma_f16 v70, v46, v55, v70 op_sel_hi:[1,0,1]
	v_pk_fma_f16 v84, v46, v55, v84 op_sel:[0,1,0]
	v_pk_fma_f16 v85, v46, v56, v85 op_sel_hi:[1,0,1]
	v_pk_fma_f16 v86, v46, v56, v86 op_sel:[0,1,0]
	v_pk_fma_f16 v87, v46, v57, v87 op_sel_hi:[1,0,1]
	v_pk_fma_f16 v46, v46, v57, v58 op_sel:[0,1,0]
	v_pk_fma_f16 v90, v47, v54, v60 op_sel_hi:[1,0,1]
	v_pk_fma_f16 v54, v47, v54, v50 op_sel:[0,1,0]
	v_pk_fma_f16 v66, v47, v55, v66 op_sel_hi:[1,0,1]
	v_pk_fma_f16 v55, v47, v55, v51 op_sel:[0,1,0]
	v_pk_fma_f16 v68, v47, v56, v68 op_sel_hi:[1,0,1]
	v_pk_fma_f16 v56, v47, v56, v52 op_sel:[0,1,0]
	ds_load_2addr_b64 v[50:53], v45 offset0:64 offset1:96
	ds_load_b128 v[58:61], v36 offset:672
	v_pk_fma_f16 v88, v47, v57, v88 op_sel_hi:[1,0,1]
	v_pk_fma_f16 v47, v47, v57, v89 op_sel:[0,1,0]
	s_waitcnt lgkmcnt(2)
	v_pk_fma_f16 v67, v48, v62, v67 op_sel_hi:[1,0,1]
	v_pk_fma_f16 v69, v48, v62, v69 op_sel:[0,1,0]
	v_pk_fma_f16 v70, v48, v63, v70 op_sel_hi:[1,0,1]
	v_pk_fma_f16 v84, v48, v63, v84 op_sel:[0,1,0]
	v_pk_fma_f16 v85, v48, v64, v85 op_sel_hi:[1,0,1]
	v_pk_fma_f16 v86, v48, v64, v86 op_sel:[0,1,0]
	v_pk_fma_f16 v87, v48, v65, v87 op_sel_hi:[1,0,1]
	v_pk_fma_f16 v46, v48, v65, v46 op_sel:[0,1,0]
	v_pk_fma_f16 v48, v49, v62, v90 op_sel_hi:[1,0,1]
	v_pk_fma_f16 v62, v49, v62, v54 op_sel:[0,1,0]
	v_pk_fma_f16 v66, v49, v63, v66 op_sel_hi:[1,0,1]
	v_pk_fma_f16 v63, v49, v63, v55 op_sel:[0,1,0]
	v_pk_fma_f16 v68, v49, v64, v68 op_sel_hi:[1,0,1]
	v_pk_fma_f16 v64, v49, v64, v56 op_sel:[0,1,0]
	ds_load_b128 v[54:57], v36 offset:688
	v_pk_fma_f16 v88, v49, v65, v88 op_sel_hi:[1,0,1]
	v_pk_fma_f16 v89, v49, v65, v47 op_sel:[0,1,0]
	s_waitcnt lgkmcnt(1)
	v_pk_fma_f16 v67, v50, v58, v67 op_sel_hi:[1,0,1]
	v_pk_fma_f16 v69, v50, v58, v69 op_sel:[0,1,0]
	v_pk_fma_f16 v70, v50, v59, v70 op_sel_hi:[1,0,1]
	v_pk_fma_f16 v84, v50, v59, v84 op_sel:[0,1,0]
	v_pk_fma_f16 v85, v50, v60, v85 op_sel_hi:[1,0,1]
	v_pk_fma_f16 v86, v50, v60, v86 op_sel:[0,1,0]
	v_pk_fma_f16 v87, v50, v61, v87 op_sel_hi:[1,0,1]
	v_pk_fma_f16 v50, v50, v61, v46 op_sel:[0,1,0]
	v_pk_fma_f16 v90, v51, v58, v48 op_sel_hi:[1,0,1]
	v_pk_fma_f16 v58, v51, v58, v62 op_sel:[0,1,0]
	v_pk_fma_f16 v66, v51, v59, v66 op_sel_hi:[1,0,1]
	v_pk_fma_f16 v59, v51, v59, v63 op_sel:[0,1,0]
	v_pk_fma_f16 v68, v51, v60, v68 op_sel_hi:[1,0,1]
	v_pk_fma_f16 v60, v51, v60, v64 op_sel:[0,1,0]
	ds_load_2addr_b64 v[46:49], v45 offset0:128 offset1:160
	;; [unrolled: 37-line block ×3, first 2 shown]
	ds_load_b128 v[54:57], v36 offset:736
	v_pk_fma_f16 v45, v47, v65, v88 op_sel_hi:[1,0,1]
	v_pk_fma_f16 v65, v47, v65, v89 op_sel:[0,1,0]
	s_waitcnt lgkmcnt(2)
	v_pk_fma_f16 v67, v48, v58, v67 op_sel_hi:[1,0,1]
	v_pk_fma_f16 v69, v48, v58, v69 op_sel:[0,1,0]
	v_pk_fma_f16 v70, v48, v59, v70 op_sel_hi:[1,0,1]
	v_pk_fma_f16 v84, v48, v59, v84 op_sel:[0,1,0]
	;; [unrolled: 2-line block ×5, first 2 shown]
	v_pk_fma_f16 v62, v49, v59, v66 op_sel_hi:[1,0,1]
	v_pk_fma_f16 v66, v49, v61, v45 op_sel_hi:[1,0,1]
	ds_load_b128 v[45:48], v36 offset:752
	v_pk_fma_f16 v59, v49, v59, v63 op_sel:[0,1,0]
	v_pk_fma_f16 v63, v49, v60, v68 op_sel_hi:[1,0,1]
	v_pk_fma_f16 v60, v49, v60, v64 op_sel:[0,1,0]
	v_pk_fma_f16 v49, v49, v61, v65 op_sel:[0,1,0]
	s_waitcnt lgkmcnt(1)
	v_pk_fma_f16 v67, v50, v54, v67 op_sel_hi:[1,0,1]
	v_pk_fma_f16 v68, v50, v54, v69 op_sel:[0,1,0]
	v_pk_fma_f16 v69, v50, v55, v70 op_sel_hi:[1,0,1]
	v_pk_fma_f16 v70, v50, v55, v84 op_sel:[0,1,0]
	;; [unrolled: 2-line block ×7, first 2 shown]
	ds_load_2addr_b64 v[58:61], v44 offset1:32
	ds_load_b128 v[62:65], v36 offset:768
	v_pk_fma_f16 v66, v51, v57, v66 op_sel_hi:[1,0,1]
	v_pk_fma_f16 v57, v51, v57, v49 op_sel:[0,1,0]
	s_waitcnt lgkmcnt(2)
	v_pk_fma_f16 v67, v52, v45, v67 op_sel_hi:[1,0,1]
	v_pk_fma_f16 v68, v52, v45, v68 op_sel:[0,1,0]
	v_pk_fma_f16 v69, v52, v46, v69 op_sel_hi:[1,0,1]
	v_pk_fma_f16 v70, v52, v46, v70 op_sel:[0,1,0]
	;; [unrolled: 2-line block ×4, first 2 shown]
	ds_load_b128 v[49:52], v36 offset:784
	v_pk_fma_f16 v87, v53, v45, v87 op_sel_hi:[1,0,1]
	v_pk_fma_f16 v45, v53, v45, v54 op_sel:[0,1,0]
	v_pk_fma_f16 v54, v53, v46, v88 op_sel_hi:[1,0,1]
	v_pk_fma_f16 v46, v53, v46, v55 op_sel:[0,1,0]
	;; [unrolled: 2-line block ×4, first 2 shown]
	s_waitcnt lgkmcnt(1)
	v_pk_fma_f16 v67, v58, v62, v67 op_sel_hi:[1,0,1]
	v_pk_fma_f16 v68, v58, v62, v68 op_sel:[0,1,0]
	v_pk_fma_f16 v69, v58, v63, v69 op_sel_hi:[1,0,1]
	v_pk_fma_f16 v70, v58, v63, v70 op_sel:[0,1,0]
	;; [unrolled: 2-line block ×7, first 2 shown]
	ds_load_2addr_b64 v[45:48], v44 offset0:64 offset1:96
	ds_load_b128 v[53:56], v36 offset:800
	v_pk_fma_f16 v66, v59, v65, v66 op_sel_hi:[1,0,1]
	v_pk_fma_f16 v65, v59, v65, v57 op_sel:[0,1,0]
	s_waitcnt lgkmcnt(2)
	v_pk_fma_f16 v67, v60, v49, v67 op_sel_hi:[1,0,1]
	v_pk_fma_f16 v68, v60, v49, v68 op_sel:[0,1,0]
	v_pk_fma_f16 v69, v60, v50, v69 op_sel_hi:[1,0,1]
	v_pk_fma_f16 v70, v60, v50, v70 op_sel:[0,1,0]
	;; [unrolled: 2-line block ×4, first 2 shown]
	ds_load_b128 v[57:60], v36 offset:816
	v_pk_fma_f16 v87, v61, v49, v87 op_sel_hi:[1,0,1]
	v_pk_fma_f16 v49, v61, v49, v62 op_sel:[0,1,0]
	v_pk_fma_f16 v62, v61, v50, v88 op_sel_hi:[1,0,1]
	v_pk_fma_f16 v50, v61, v50, v63 op_sel:[0,1,0]
	;; [unrolled: 2-line block ×4, first 2 shown]
	s_waitcnt lgkmcnt(1)
	v_pk_fma_f16 v67, v45, v53, v67 op_sel_hi:[1,0,1]
	v_pk_fma_f16 v68, v45, v53, v68 op_sel:[0,1,0]
	v_pk_fma_f16 v69, v45, v54, v69 op_sel_hi:[1,0,1]
	v_pk_fma_f16 v70, v45, v54, v70 op_sel:[0,1,0]
	v_pk_fma_f16 v84, v45, v55, v84 op_sel_hi:[1,0,1]
	v_pk_fma_f16 v85, v45, v55, v85 op_sel:[0,1,0]
	v_pk_fma_f16 v86, v45, v56, v86 op_sel_hi:[1,0,1]
	v_pk_fma_f16 v45, v45, v56, v90 op_sel:[0,1,0]
	v_pk_fma_f16 v87, v46, v53, v87 op_sel_hi:[1,0,1]
	v_pk_fma_f16 v53, v46, v53, v49 op_sel:[0,1,0]
	v_pk_fma_f16 v88, v46, v54, v62 op_sel_hi:[1,0,1]
	v_pk_fma_f16 v54, v46, v54, v50 op_sel:[0,1,0]
	v_pk_fma_f16 v89, v46, v55, v63 op_sel_hi:[1,0,1]
	v_pk_fma_f16 v55, v46, v55, v51 op_sel:[0,1,0]
	ds_load_2addr_b64 v[49:52], v44 offset0:128 offset1:160
	ds_load_b128 v[61:64], v36 offset:832
	v_pk_fma_f16 v66, v46, v56, v66 op_sel_hi:[1,0,1]
	v_pk_fma_f16 v46, v46, v56, v65 op_sel:[0,1,0]
	s_waitcnt lgkmcnt(2)
	v_pk_fma_f16 v65, v47, v57, v67 op_sel_hi:[1,0,1]
	v_pk_fma_f16 v67, v47, v57, v68 op_sel:[0,1,0]
	v_pk_fma_f16 v68, v47, v58, v69 op_sel_hi:[1,0,1]
	v_pk_fma_f16 v69, v47, v58, v70 op_sel:[0,1,0]
	;; [unrolled: 2-line block ×7, first 2 shown]
	ds_load_b128 v[53:56], v36 offset:848
	v_pk_fma_f16 v66, v48, v60, v66 op_sel_hi:[1,0,1]
	v_pk_fma_f16 v48, v48, v60, v46 op_sel:[0,1,0]
	s_waitcnt lgkmcnt(1)
	v_pk_fma_f16 v65, v49, v61, v65 op_sel_hi:[1,0,1]
	v_pk_fma_f16 v67, v49, v61, v67 op_sel:[0,1,0]
	v_pk_fma_f16 v68, v49, v62, v68 op_sel_hi:[1,0,1]
	v_pk_fma_f16 v69, v49, v62, v69 op_sel:[0,1,0]
	;; [unrolled: 2-line block ×7, first 2 shown]
	ds_load_2addr_b64 v[44:47], v44 offset0:192 offset1:224
	ds_load_b128 v[57:60], v36 offset:864
	v_pk_fma_f16 v66, v50, v64, v66 op_sel_hi:[1,0,1]
	v_pk_fma_f16 v64, v50, v64, v48 op_sel:[0,1,0]
	s_waitcnt lgkmcnt(2)
	v_pk_fma_f16 v65, v51, v53, v65 op_sel_hi:[1,0,1]
	v_pk_fma_f16 v67, v51, v53, v67 op_sel:[0,1,0]
	v_pk_fma_f16 v68, v51, v54, v68 op_sel_hi:[1,0,1]
	v_pk_fma_f16 v69, v51, v54, v69 op_sel:[0,1,0]
	v_pk_fma_f16 v70, v51, v55, v70 op_sel_hi:[1,0,1]
	v_pk_fma_f16 v84, v51, v55, v84 op_sel:[0,1,0]
	v_pk_fma_f16 v85, v51, v56, v85 op_sel_hi:[1,0,1]
	v_pk_fma_f16 v89, v51, v56, v49 op_sel:[0,1,0]
	ds_load_b128 v[48:51], v36 offset:880
	v_pk_fma_f16 v88, v52, v53, v88 op_sel_hi:[1,0,1]
	v_pk_fma_f16 v53, v52, v53, v61 op_sel:[0,1,0]
	v_pk_fma_f16 v61, v52, v54, v86 op_sel_hi:[1,0,1]
	v_pk_fma_f16 v54, v52, v54, v62 op_sel:[0,1,0]
	;; [unrolled: 2-line block ×4, first 2 shown]
	s_waitcnt lgkmcnt(1)
	v_pk_fma_f16 v65, v44, v57, v65 op_sel_hi:[1,0,1]
	v_pk_fma_f16 v66, v44, v57, v67 op_sel:[0,1,0]
	v_pk_fma_f16 v67, v44, v58, v68 op_sel_hi:[1,0,1]
	v_pk_fma_f16 v68, v44, v58, v69 op_sel:[0,1,0]
	v_pk_fma_f16 v69, v44, v59, v70 op_sel_hi:[1,0,1]
	v_pk_fma_f16 v70, v44, v59, v84 op_sel:[0,1,0]
	v_pk_fma_f16 v84, v44, v60, v85 op_sel_hi:[1,0,1]
	v_pk_fma_f16 v44, v44, v60, v89 op_sel:[0,1,0]
	v_pk_fma_f16 v85, v45, v57, v88 op_sel_hi:[1,0,1]
	v_pk_fma_f16 v86, v45, v57, v53 op_sel:[0,1,0]
	v_pk_fma_f16 v61, v45, v58, v61 op_sel_hi:[1,0,1]
	v_pk_fma_f16 v87, v45, v58, v54 op_sel:[0,1,0]
	v_pk_fma_f16 v62, v45, v59, v62 op_sel_hi:[1,0,1]
	v_pk_fma_f16 v88, v45, v59, v55 op_sel:[0,1,0]
	ds_load_2addr_b64 v[52:55], v43 offset1:32
	ds_load_b128 v[56:59], v36 offset:896
	v_pk_fma_f16 v63, v45, v60, v63 op_sel_hi:[1,0,1]
	v_pk_fma_f16 v45, v45, v60, v64 op_sel:[0,1,0]
	s_waitcnt lgkmcnt(2)
	v_pk_fma_f16 v64, v46, v48, v65 op_sel_hi:[1,0,1]
	v_pk_fma_f16 v65, v46, v48, v66 op_sel:[0,1,0]
	v_pk_fma_f16 v66, v46, v49, v67 op_sel_hi:[1,0,1]
	v_pk_fma_f16 v67, v46, v49, v68 op_sel:[0,1,0]
	;; [unrolled: 2-line block ×5, first 2 shown]
	v_pk_fma_f16 v84, v47, v49, v61 op_sel_hi:[1,0,1]
	v_pk_fma_f16 v85, v47, v50, v62 op_sel_hi:[1,0,1]
	;; [unrolled: 1-line block ×3, first 2 shown]
	ds_load_b128 v[60:63], v36 offset:912
	v_pk_fma_f16 v49, v47, v49, v87 op_sel:[0,1,0]
	v_pk_fma_f16 v50, v47, v50, v88 op_sel:[0,1,0]
	;; [unrolled: 1-line block ×3, first 2 shown]
	s_waitcnt lgkmcnt(1)
	v_pk_fma_f16 v64, v52, v56, v64 op_sel_hi:[1,0,1]
	v_pk_fma_f16 v65, v52, v56, v65 op_sel:[0,1,0]
	v_pk_fma_f16 v66, v52, v57, v66 op_sel_hi:[1,0,1]
	v_pk_fma_f16 v67, v52, v57, v67 op_sel:[0,1,0]
	;; [unrolled: 2-line block ×7, first 2 shown]
	ds_load_2addr_b64 v[44:47], v43 offset0:64 offset1:96
	ds_load_b128 v[48:51], v36 offset:928
	v_pk_fma_f16 v86, v53, v59, v86 op_sel_hi:[1,0,1]
	v_pk_fma_f16 v53, v53, v59, v87 op_sel:[0,1,0]
	s_waitcnt lgkmcnt(2)
	v_pk_fma_f16 v64, v54, v60, v64 op_sel_hi:[1,0,1]
	v_pk_fma_f16 v65, v54, v60, v65 op_sel:[0,1,0]
	v_pk_fma_f16 v66, v54, v61, v66 op_sel_hi:[1,0,1]
	v_pk_fma_f16 v67, v54, v61, v67 op_sel:[0,1,0]
	v_pk_fma_f16 v68, v54, v62, v68 op_sel_hi:[1,0,1]
	v_pk_fma_f16 v69, v54, v62, v69 op_sel:[0,1,0]
	v_pk_fma_f16 v70, v54, v63, v70 op_sel_hi:[1,0,1]
	v_pk_fma_f16 v52, v54, v63, v52 op_sel:[0,1,0]
	v_pk_fma_f16 v54, v55, v60, v88 op_sel_hi:[1,0,1]
	v_pk_fma_f16 v60, v55, v60, v56 op_sel:[0,1,0]
	v_pk_fma_f16 v84, v55, v61, v84 op_sel_hi:[1,0,1]
	v_pk_fma_f16 v61, v55, v61, v57 op_sel:[0,1,0]
	v_pk_fma_f16 v85, v55, v62, v85 op_sel_hi:[1,0,1]
	v_pk_fma_f16 v62, v55, v62, v58 op_sel:[0,1,0]
	ds_load_b128 v[56:59], v36 offset:944
	v_pk_fma_f16 v86, v55, v63, v86 op_sel_hi:[1,0,1]
	v_pk_fma_f16 v87, v55, v63, v53 op_sel:[0,1,0]
	s_waitcnt lgkmcnt(1)
	v_pk_fma_f16 v64, v44, v48, v64 op_sel_hi:[1,0,1]
	v_pk_fma_f16 v65, v44, v48, v65 op_sel:[0,1,0]
	v_pk_fma_f16 v66, v44, v49, v66 op_sel_hi:[1,0,1]
	v_pk_fma_f16 v67, v44, v49, v67 op_sel:[0,1,0]
	;; [unrolled: 2-line block ×7, first 2 shown]
	ds_load_2addr_b64 v[52:55], v43 offset0:128 offset1:160
	ds_load_b128 v[60:63], v36 offset:960
	v_pk_fma_f16 v86, v45, v51, v86 op_sel_hi:[1,0,1]
	v_pk_fma_f16 v45, v45, v51, v87 op_sel:[0,1,0]
	s_waitcnt lgkmcnt(2)
	v_pk_fma_f16 v64, v46, v56, v64 op_sel_hi:[1,0,1]
	v_pk_fma_f16 v65, v46, v56, v65 op_sel:[0,1,0]
	v_pk_fma_f16 v66, v46, v57, v66 op_sel_hi:[1,0,1]
	v_pk_fma_f16 v67, v46, v57, v67 op_sel:[0,1,0]
	;; [unrolled: 2-line block ×7, first 2 shown]
	ds_load_b128 v[48:51], v36 offset:976
	v_pk_fma_f16 v86, v47, v59, v86 op_sel_hi:[1,0,1]
	v_pk_fma_f16 v47, v47, v59, v45 op_sel:[0,1,0]
	s_waitcnt lgkmcnt(1)
	v_pk_fma_f16 v64, v52, v60, v64 op_sel_hi:[1,0,1]
	v_pk_fma_f16 v65, v52, v60, v65 op_sel:[0,1,0]
	v_pk_fma_f16 v66, v52, v61, v66 op_sel_hi:[1,0,1]
	v_pk_fma_f16 v67, v52, v61, v67 op_sel:[0,1,0]
	;; [unrolled: 2-line block ×7, first 2 shown]
	ds_load_2addr_b64 v[56:59], v43 offset0:192 offset1:224
	ds_load_b128 v[43:46], v36 offset:992
	v_pk_fma_f16 v86, v53, v63, v86 op_sel_hi:[1,0,1]
	v_pk_fma_f16 v47, v53, v63, v47 op_sel:[0,1,0]
	s_waitcnt lgkmcnt(2)
	v_pk_fma_f16 v53, v54, v48, v64 op_sel_hi:[1,0,1]
	v_pk_fma_f16 v64, v54, v48, v65 op_sel:[0,1,0]
	v_pk_fma_f16 v65, v54, v49, v66 op_sel_hi:[1,0,1]
	v_pk_fma_f16 v66, v54, v49, v67 op_sel:[0,1,0]
	;; [unrolled: 2-line block ×7, first 2 shown]
	ds_load_b128 v[60:63], v36 offset:1008
	s_waitcnt lgkmcnt(0)
	s_barrier
	buffer_gl0_inv
	s_load_b32 s19, s[4:5], 0x4
	v_pk_fma_f16 v85, v55, v51, v86 op_sel_hi:[1,0,1]
	v_pk_fma_f16 v47, v55, v51, v47 op_sel:[0,1,0]
	v_pk_fma_f16 v51, v56, v43, v53 op_sel_hi:[1,0,1]
	v_pk_fma_f16 v53, v56, v43, v64 op_sel:[0,1,0]
	;; [unrolled: 2-line block ×9, first 2 shown]
	v_pk_fma_f16 v57, v58, v60, v51 op_sel_hi:[1,0,1]
	s_waitcnt lgkmcnt(0)
	s_lshl_b32 s19, s19, 6
	v_pk_fma_f16 v55, v58, v60, v53 op_sel:[0,1,0]
	v_pk_fma_f16 v53, v58, v61, v64 op_sel_hi:[1,0,1]
	v_pk_fma_f16 v51, v58, v61, v65 op_sel:[0,1,0]
	v_pk_fma_f16 v49, v58, v62, v66 op_sel_hi:[1,0,1]
	;; [unrolled: 2-line block ×7, first 2 shown]
	v_pk_fma_f16 v43, v59, v63, v86 op_sel:[0,1,0]
	s_add_i32 s3, s19, s3
	s_delay_alu instid0(SALU_CYCLE_1)
	s_cmp_ge_i32 s3, s34
	s_cbranch_scc1 .LBB75_75
; %bb.74:                               ;   in Loop: Header=BB75_9 Depth=1
	v_dual_mov_b32 v69, v0 :: v_dual_mov_b32 v70, v1
	v_dual_mov_b32 v67, v2 :: v_dual_mov_b32 v66, v3
	;; [unrolled: 1-line block ×8, first 2 shown]
	s_branch .LBB75_9
.LBB75_75:
	v_mov_b32_e32 v10, v17
.LBB75_76:
	v_cmp_lt_i32_e32 vcc_lo, v80, v16
	s_cmp_lg_u64 s[24:25], 0
	s_cselect_b32 s3, -1, 0
	s_cmp_eq_u32 s14, 0
	v_cndmask_b32_e32 v8, v10, v80, vcc_lo
	v_cmp_lt_i32_e32 vcc_lo, v79, v16
	s_cselect_b32 s4, -1, 0
	s_delay_alu instid0(SALU_CYCLE_1) | instskip(NEXT) | instid1(VALU_DEP_2)
	s_and_b32 s3, s4, s3
	v_lshlrev_b32_e32 v8, 2, v8
	ds_bpermute_b32 v11, v8, v72
	s_waitcnt lgkmcnt(0)
	v_add_f32_e32 v11, v72, v11
	ds_bpermute_b32 v17, v8, v83
	ds_bpermute_b32 v9, v8, v71
	;; [unrolled: 1-line block ×5, first 2 shown]
	v_cndmask_b32_e32 v18, v10, v79, vcc_lo
	ds_bpermute_b32 v12, v8, v73
	ds_bpermute_b32 v8, v8, v82
	v_cmp_lt_i32_e32 vcc_lo, v77, v16
	s_waitcnt lgkmcnt(6)
	v_dual_add_f32 v17, v83, v17 :: v_dual_lshlrev_b32 v18, 2, v18
	s_waitcnt lgkmcnt(4)
	v_add_f32_e32 v13, v74, v13
	s_waitcnt lgkmcnt(3)
	v_dual_add_f32 v9, v71, v9 :: v_dual_add_f32 v14, v78, v14
	s_waitcnt lgkmcnt(2)
	v_add_f32_e32 v15, v81, v15
	ds_bpermute_b32 v20, v18, v11
	v_cndmask_b32_e32 v38, v10, v77, vcc_lo
	ds_bpermute_b32 v19, v18, v9
	s_waitcnt lgkmcnt(2)
	v_add_f32_e32 v8, v82, v8
	ds_bpermute_b32 v36, v18, v15
	ds_bpermute_b32 v22, v18, v13
	;; [unrolled: 1-line block ×4, first 2 shown]
	v_cmp_lt_i32_e32 vcc_lo, v76, v16
	s_waitcnt lgkmcnt(5)
	v_dual_add_f32 v11, v11, v20 :: v_dual_lshlrev_b32 v38, 2, v38
	s_waitcnt lgkmcnt(4)
	v_add_f32_e32 v9, v9, v19
	s_waitcnt lgkmcnt(3)
	v_add_f32_e32 v15, v15, v36
	;; [unrolled: 2-line block ×3, first 2 shown]
	ds_bpermute_b32 v19, v38, v11
	v_add_f32_e32 v12, v73, v12
	s_waitcnt lgkmcnt(1)
	v_dual_add_f32 v14, v14, v23 :: v_dual_add_f32 v17, v17, v37
	ds_bpermute_b32 v23, v38, v15
	ds_bpermute_b32 v22, v38, v14
	;; [unrolled: 1-line block ×3, first 2 shown]
	s_waitcnt lgkmcnt(3)
	v_add_f32_e32 v11, v11, v19
	ds_bpermute_b32 v21, v18, v12
	ds_bpermute_b32 v18, v18, v8
	s_waitcnt lgkmcnt(3)
	v_dual_add_f32 v15, v15, v23 :: v_dual_add_f32 v14, v14, v22
	s_waitcnt lgkmcnt(1)
	v_dual_add_f32 v17, v17, v36 :: v_dual_add_f32 v12, v12, v21
	ds_bpermute_b32 v21, v38, v13
	s_waitcnt lgkmcnt(1)
	v_add_f32_e32 v8, v8, v18
	ds_bpermute_b32 v18, v38, v9
	ds_bpermute_b32 v20, v38, v12
	s_waitcnt lgkmcnt(2)
	v_add_f32_e32 v13, v13, v21
	ds_bpermute_b32 v37, v38, v8
	s_waitcnt lgkmcnt(2)
	v_dual_cndmask_b32 v38, v10, v76 :: v_dual_add_f32 v9, v9, v18
	v_cmp_lt_i32_e32 vcc_lo, v75, v16
	s_delay_alu instid0(VALU_DEP_2)
	v_lshlrev_b32_e32 v38, 2, v38
	ds_bpermute_b32 v18, v38, v9
	ds_bpermute_b32 v19, v38, v11
	s_waitcnt lgkmcnt(3)
	v_add_f32_e32 v12, v12, v20
	ds_bpermute_b32 v21, v38, v13
	ds_bpermute_b32 v23, v38, v15
	;; [unrolled: 1-line block ×4, first 2 shown]
	v_cndmask_b32_e32 v10, v10, v75, vcc_lo
	s_and_b32 vcc_lo, exec_lo, s3
	s_waitcnt lgkmcnt(5)
	v_dual_add_f32 v8, v8, v37 :: v_dual_add_f32 v9, v9, v18
	s_waitcnt lgkmcnt(4)
	v_add_f32_e32 v11, v11, v19
	ds_bpermute_b32 v20, v38, v12
	ds_bpermute_b32 v37, v38, v8
	s_waitcnt lgkmcnt(5)
	v_dual_add_f32 v13, v13, v21 :: v_dual_lshlrev_b32 v10, 2, v10
	s_waitcnt lgkmcnt(3)
	v_dual_add_f32 v15, v15, v23 :: v_dual_add_f32 v14, v14, v22
	ds_bpermute_b32 v18, v10, v11
	ds_bpermute_b32 v22, v10, v15
	s_waitcnt lgkmcnt(4)
	v_add_f32_e32 v16, v17, v36
	s_waitcnt lgkmcnt(3)
	v_add_f32_e32 v12, v12, v20
	;; [unrolled: 2-line block ×3, first 2 shown]
	ds_bpermute_b32 v8, v10, v9
	ds_bpermute_b32 v20, v10, v13
	;; [unrolled: 1-line block ×4, first 2 shown]
	s_waitcnt lgkmcnt(3)
	v_dual_add_f32 v8, v9, v8 :: v_dual_add_f32 v9, v11, v18
	ds_bpermute_b32 v19, v10, v12
	s_waitcnt lgkmcnt(3)
	v_add_f32_e32 v11, v13, v20
	v_add_f32_e32 v13, v15, v22
	ds_bpermute_b32 v23, v10, v16
	s_waitcnt lgkmcnt(1)
	v_dual_add_f32 v15, v17, v36 :: v_dual_add_f32 v10, v12, v19
	v_add_f32_e32 v12, v14, v21
	s_waitcnt lgkmcnt(0)
	v_add_f32_e32 v14, v16, v23
	s_cbranch_vccz .LBB75_79
; %bb.77:
	s_ashr_i32 s3, s2, 31
	v_dual_mov_b32 v16, 0 :: v_dual_max_f32 v17, v1, v1
	s_lshl_b64 s[4:5], s[2:3], 2
	v_dual_max_f32 v18, v2, v2 :: v_dual_max_f32 v21, v5, v5
	s_add_u32 s4, s24, s4
	s_addc_u32 s5, s25, s5
	v_max_f32_e32 v19, v3, v3
	global_load_b128 v[36:39], v16, s[4:5]
	v_max_f32_e32 v16, v0, v0
	v_max_f32_e32 v22, v6, v6
	v_dual_max_f32 v20, v4, v4 :: v_dual_max_f32 v59, v7, v7
	s_waitcnt vmcnt(0)
	v_max_f32_e32 v41, v38, v38
	v_dual_max_f32 v23, v36, v36 :: v_dual_max_f32 v40, v37, v37
	v_max_f32_e32 v42, v39, v39
	s_delay_alu instid0(VALU_DEP_2) | instskip(NEXT) | instid1(VALU_DEP_3)
	v_dual_max_f32 v18, v18, v41 :: v_dual_max_f32 v21, v21, v40
	v_dual_max_f32 v17, v17, v40 :: v_dual_max_f32 v16, v16, v23
	s_delay_alu instid0(VALU_DEP_3) | instskip(SKIP_1) | instid1(VALU_DEP_3)
	v_dual_max_f32 v19, v19, v42 :: v_dual_max_f32 v20, v20, v23
	v_dual_max_f32 v23, v59, v42 :: v_dual_max_f32 v22, v22, v41
	v_sub_f32_e32 v41, v36, v16
	s_delay_alu instid0(VALU_DEP_4)
	v_dual_sub_f32 v40, v0, v16 :: v_dual_sub_f32 v59, v37, v17
	v_dual_sub_f32 v42, v1, v17 :: v_dual_sub_f32 v61, v38, v18
	;; [unrolled: 1-line block ×7, first 2 shown]
	v_dual_mov_b32 v0, v16 :: v_dual_mov_b32 v3, v19
	v_dual_sub_f32 v38, v38, v22 :: v_dual_mov_b32 v1, v17
	v_dual_mov_b32 v2, v18 :: v_dual_mov_b32 v5, v21
	v_dual_mov_b32 v4, v20 :: v_dual_mov_b32 v7, v23
	v_dual_mov_b32 v6, v22 :: v_dual_mul_f32 v17, 0x3fb8aa3b, v41
	v_dual_mul_f32 v16, 0x3fb8aa3b, v40 :: v_dual_mul_f32 v19, 0x3fb8aa3b, v59
	v_dual_mul_f32 v18, 0x3fb8aa3b, v42 :: v_dual_mul_f32 v21, 0x3fb8aa3b, v61
	s_delay_alu instid0(VALU_DEP_3) | instskip(NEXT) | instid1(VALU_DEP_3)
	v_fma_f32 v78, 0x3fb8aa3b, v41, -v17
	v_fma_f32 v76, 0x3fb8aa3b, v40, -v16
	v_rndne_f32_e32 v77, v16
	v_rndne_f32_e32 v79, v17
	;; [unrolled: 1-line block ×3, first 2 shown]
	v_dual_mul_f32 v20, 0x3fb8aa3b, v60 :: v_dual_mul_f32 v23, 0x3fb8aa3b, v63
	s_delay_alu instid0(VALU_DEP_3)
	v_dual_fmac_f32 v76, 0x32a5705f, v40 :: v_dual_sub_f32 v17, v17, v79
	v_sub_f32_e32 v16, v16, v77
	v_dual_mul_f32 v22, 0x3fb8aa3b, v62 :: v_dual_mul_f32 v69, 0x3fb8aa3b, v36
	v_dual_mul_f32 v72, 0x3fb8aa3b, v66 :: v_dual_mul_f32 v75, 0x3fb8aa3b, v39
	v_fma_f32 v80, 0x3fb8aa3b, v42, -v18
	v_rndne_f32_e32 v81, v18
	v_fma_f32 v82, 0x3fb8aa3b, v59, -v19
	v_rndne_f32_e32 v87, v21
	v_dual_fmac_f32 v78, 0x32a5705f, v41 :: v_dual_sub_f32 v19, v19, v83
	v_add_f32_e32 v16, v16, v76
	v_fma_f32 v86, 0x3fb8aa3b, v61, -v21
	v_rndne_f32_e32 v91, v23
	v_rndne_f32_e32 v95, v69
	;; [unrolled: 1-line block ×3, first 2 shown]
	v_fmac_f32_e32 v80, 0x32a5705f, v42
	v_dual_sub_f32 v18, v18, v81 :: v_dual_sub_f32 v21, v21, v87
	v_dual_mul_f32 v74, 0x3fb8aa3b, v67 :: v_dual_add_f32 v17, v17, v78
	v_exp_f32_e32 v16, v16
	v_dual_mul_f32 v68, 0x3fb8aa3b, v64 :: v_dual_mul_f32 v71, 0x3fb8aa3b, v37
	v_dual_mul_f32 v70, 0x3fb8aa3b, v65 :: v_dual_mul_f32 v73, 0x3fb8aa3b, v38
	v_fma_f32 v84, 0x3fb8aa3b, v60, -v20
	v_rndne_f32_e32 v85, v20
	v_rndne_f32_e32 v89, v22
	v_fma_f32 v90, 0x3fb8aa3b, v63, -v23
	v_fma_f32 v94, 0x3fb8aa3b, v36, -v69
	;; [unrolled: 1-line block ×3, first 2 shown]
	v_cvt_i32_f32_e32 v77, v77
	v_dual_fmac_f32 v86, 0x32a5705f, v61 :: v_dual_sub_f32 v75, v75, v107
	v_fmac_f32_e32 v82, 0x32a5705f, v59
	v_sub_f32_e32 v23, v23, v91
	v_sub_f32_e32 v69, v69, v95
	s_delay_alu instid0(VALU_DEP_4)
	v_dual_add_f32 v21, v21, v86 :: v_dual_add_f32 v18, v18, v80
	v_exp_f32_e32 v17, v17
	v_fma_f32 v88, 0x3fb8aa3b, v62, -v22
	v_rndne_f32_e32 v99, v71
	v_rndne_f32_e32 v103, v73
	v_cvt_i32_f32_e32 v79, v79
	v_fmac_f32_e32 v84, 0x32a5705f, v60
	v_sub_f32_e32 v20, v20, v85
	v_dual_sub_f32 v22, v22, v89 :: v_dual_add_f32 v19, v19, v82
	v_exp_f32_e32 v18, v18
	v_ldexp_f32 v16, v16, v77
	v_cmp_ngt_f32_e32 vcc_lo, 0xc2ce8ed0, v40
	v_fma_f32 v98, 0x3fb8aa3b, v37, -v71
	v_fma_f32 v102, 0x3fb8aa3b, v38, -v73
	v_cvt_i32_f32_e32 v81, v81
	v_sub_f32_e32 v71, v71, v99
	v_dual_sub_f32 v73, v73, v103 :: v_dual_add_f32 v20, v20, v84
	v_exp_f32_e32 v19, v19
	v_ldexp_f32 v17, v17, v79
	v_cndmask_b32_e32 v16, 0, v16, vcc_lo
	v_cmp_ngt_f32_e32 vcc_lo, 0xc2ce8ed0, v41
	v_cvt_i32_f32_e32 v83, v83
	v_fmac_f32_e32 v88, 0x32a5705f, v62
	v_fmac_f32_e32 v102, 0x32a5705f, v38
	v_exp_f32_e32 v20, v20
	v_ldexp_f32 v18, v18, v81
	v_cndmask_b32_e32 v17, 0, v17, vcc_lo
	v_cmp_ngt_f32_e32 vcc_lo, 0xc2ce8ed0, v42
	v_fma_f32 v92, 0x3fb8aa3b, v64, -v68
	v_rndne_f32_e32 v97, v70
	v_cvt_i32_f32_e32 v85, v85
	v_dual_fmac_f32 v94, 0x32a5705f, v36 :: v_dual_add_f32 v73, v73, v102
	v_fmac_f32_e32 v90, 0x32a5705f, v63
	v_add_f32_e32 v22, v22, v88
	v_exp_f32_e32 v21, v21
	v_ldexp_f32 v19, v19, v83
	v_cndmask_b32_e32 v18, 0, v18, vcc_lo
	v_cmp_ngt_f32_e32 vcc_lo, 0xc2ce8ed0, v59
	v_fma_f32 v96, 0x3fb8aa3b, v65, -v70
	v_cvt_i32_f32_e32 v87, v87
	v_dual_sub_f32 v70, v70, v97 :: v_dual_add_f32 v69, v69, v94
	v_dual_cndmask_b32 v19, 0, v19 :: v_dual_fmac_f32 v92, 0x32a5705f, v64
	v_add_f32_e32 v23, v23, v90
	v_exp_f32_e32 v22, v22
	v_ldexp_f32 v20, v20, v85
	v_cmp_ngt_f32_e32 vcc_lo, 0xc2ce8ed0, v60
	v_fma_f32 v100, 0x3fb8aa3b, v66, -v72
	v_cvt_i32_f32_e32 v89, v89
	v_exp_f32_e32 v23, v23
	v_ldexp_f32 v21, v21, v87
	v_cndmask_b32_e32 v20, 0, v20, vcc_lo
	v_cmp_ngt_f32_e32 vcc_lo, 0xc2ce8ed0, v61
	v_cvt_i32_f32_e32 v91, v91
	v_fmac_f32_e32 v100, 0x32a5705f, v66
	v_ldexp_f32 v22, v22, v89
	v_rndne_f32_e32 v93, v68
	v_cndmask_b32_e32 v21, 0, v21, vcc_lo
	v_cmp_ngt_f32_e32 vcc_lo, 0xc2ce8ed0, v62
	v_ldexp_f32 v23, v23, v91
	v_fmac_f32_e32 v106, 0x32a5705f, v39
	v_fmac_f32_e32 v96, 0x32a5705f, v65
	v_exp_f32_e32 v69, v69
	v_cndmask_b32_e32 v22, 0, v22, vcc_lo
	v_cmp_ngt_f32_e32 vcc_lo, 0xc2ce8ed0, v63
	v_dual_fmac_f32 v98, 0x32a5705f, v37 :: v_dual_add_f32 v75, v75, v106
	v_add_f32_e32 v70, v70, v96
	v_cvt_i32_f32_e32 v95, v95
	v_dual_cndmask_b32 v23, 0, v23 :: v_dual_sub_f32 v68, v68, v93
	s_delay_alu instid0(VALU_DEP_4)
	v_add_f32_e32 v71, v71, v98
	v_cvt_i32_f32_e32 v93, v93
	v_exp_f32_e32 v70, v70
	v_cmp_ngt_f32_e32 vcc_lo, 0xc2ce8ed0, v64
	v_add_f32_e32 v68, v68, v92
	v_cvt_i32_f32_e32 v97, v97
	v_exp_f32_e32 v71, v71
	v_ldexp_f32 v69, v69, v95
	v_rndne_f32_e32 v101, v72
	v_exp_f32_e32 v68, v68
	v_cvt_i32_f32_e32 v99, v99
	v_exp_f32_e32 v73, v73
	v_ldexp_f32 v70, v70, v97
	v_exp_f32_e32 v75, v75
	v_fma_f32 v104, 0x3fb8aa3b, v67, -v74
	v_rndne_f32_e32 v105, v74
	v_ldexp_f32 v71, v71, v99
	v_cvt_i32_f32_e32 v103, v103
	v_cvt_i32_f32_e32 v107, v107
	v_ldexp_f32 v68, v68, v93
	s_delay_alu instid0(TRANS32_DEP_2) | instid1(VALU_DEP_3)
	v_ldexp_f32 v73, v73, v103
	s_delay_alu instid0(TRANS32_DEP_1) | instid1(VALU_DEP_3)
	v_ldexp_f32 v75, v75, v107
	s_delay_alu instid0(VALU_DEP_3)
	v_cndmask_b32_e32 v68, 0, v68, vcc_lo
	v_cmp_ngt_f32_e32 vcc_lo, 0xc2ce8ed0, v36
	v_sub_f32_e32 v74, v74, v105
	v_cvt_i32_f32_e32 v105, v105
	v_cndmask_b32_e32 v69, 0, v69, vcc_lo
	v_cmp_ngt_f32_e32 vcc_lo, 0xc2ce8ed0, v65
	v_cndmask_b32_e32 v70, 0, v70, vcc_lo
	v_cmp_ngt_f32_e32 vcc_lo, 0xc2ce8ed0, v37
	v_sub_f32_e32 v72, v72, v101
	v_cvt_i32_f32_e32 v101, v101
	s_delay_alu instid0(VALU_DEP_2) | instskip(SKIP_1) | instid1(VALU_DEP_2)
	v_dual_cndmask_b32 v71, 0, v71 :: v_dual_add_f32 v72, v72, v100
	v_cmp_ngt_f32_e32 vcc_lo, 0xc2ce8ed0, v66
	v_exp_f32_e32 v72, v72
	s_waitcnt_depctr 0xfff
	v_ldexp_f32 v72, v72, v101
	s_delay_alu instid0(VALU_DEP_1) | instskip(SKIP_2) | instid1(VALU_DEP_1)
	v_cndmask_b32_e32 v72, 0, v72, vcc_lo
	v_cmp_ngt_f32_e32 vcc_lo, 0xc2ce8ed0, v38
	v_dual_fmac_f32 v104, 0x32a5705f, v67 :: v_dual_cndmask_b32 v73, 0, v73
	v_add_f32_e32 v74, v74, v104
	v_cmp_ngt_f32_e32 vcc_lo, 0xc2ce8ed0, v67
	s_delay_alu instid0(VALU_DEP_2) | instskip(SKIP_2) | instid1(VALU_DEP_1)
	v_exp_f32_e32 v74, v74
	s_waitcnt_depctr 0xfff
	v_ldexp_f32 v74, v74, v105
	v_cndmask_b32_e32 v74, 0, v74, vcc_lo
	v_cmp_ngt_f32_e32 vcc_lo, 0xc2ce8ed0, v39
	v_cndmask_b32_e32 v75, 0, v75, vcc_lo
	v_cmp_nlt_f32_e32 vcc_lo, 0x42b17218, v40
	v_cndmask_b32_e32 v40, 0x7f800000, v16, vcc_lo
	v_cmp_nlt_f32_e32 vcc_lo, 0x42b17218, v41
	;; [unrolled: 2-line block ×3, first 2 shown]
	s_delay_alu instid0(VALU_DEP_2) | instskip(SKIP_4) | instid1(VALU_DEP_3)
	v_dual_fmac_f32 v16, v8, v40 :: v_dual_cndmask_b32 v41, 0x7f800000, v18
	v_cmp_nlt_f32_e32 vcc_lo, 0x42b17218, v59
	v_cvt_f16_f32_e32 v8, v40
	v_cndmask_b32_e32 v17, 0x7f800000, v19, vcc_lo
	v_cmp_nlt_f32_e32 vcc_lo, 0x42b17218, v60
	v_pk_mul_f16 v57, v8, v57 op_sel_hi:[0,1]
	v_pk_mul_f16 v58, v8, v58 op_sel_hi:[0,1]
	s_delay_alu instid0(VALU_DEP_4)
	v_dual_mov_b32 v8, v16 :: v_dual_fmac_f32 v17, v9, v41
	v_cndmask_b32_e32 v42, 0x7f800000, v20, vcc_lo
	v_cmp_nlt_f32_e32 vcc_lo, 0x42b17218, v61
	v_cvt_f16_f32_e32 v9, v41
	v_cndmask_b32_e32 v18, 0x7f800000, v21, vcc_lo
	v_cmp_nlt_f32_e32 vcc_lo, 0x42b17218, v62
	s_delay_alu instid0(VALU_DEP_3) | instskip(SKIP_1) | instid1(VALU_DEP_4)
	v_pk_mul_f16 v55, v9, v55 op_sel_hi:[0,1]
	v_pk_mul_f16 v56, v9, v56 op_sel_hi:[0,1]
	v_dual_mov_b32 v9, v17 :: v_dual_fmac_f32 v18, v10, v42
	v_cndmask_b32_e32 v59, 0x7f800000, v22, vcc_lo
	v_cmp_nlt_f32_e32 vcc_lo, 0x42b17218, v63
	v_cvt_f16_f32_e32 v10, v42
	v_cndmask_b32_e32 v19, 0x7f800000, v23, vcc_lo
	v_cmp_nlt_f32_e32 vcc_lo, 0x42b17218, v64
	s_delay_alu instid0(VALU_DEP_3) | instskip(SKIP_1) | instid1(VALU_DEP_4)
	v_pk_mul_f16 v53, v10, v53 op_sel_hi:[0,1]
	v_pk_mul_f16 v54, v10, v54 op_sel_hi:[0,1]
	;; [unrolled: 9-line block ×5, first 2 shown]
	v_dual_mov_b32 v13, v21 :: v_dual_fmac_f32 v22, v14, v37
	v_cndmask_b32_e32 v38, 0x7f800000, v74, vcc_lo
	v_cmp_nlt_f32_e32 vcc_lo, 0x42b17218, v39
	v_cvt_f16_f32_e32 v14, v37
	v_cndmask_b32_e32 v23, 0x7f800000, v75, vcc_lo
	s_delay_alu instid0(VALU_DEP_2) | instskip(SKIP_1) | instid1(VALU_DEP_3)
	v_pk_mul_f16 v45, v14, v45 op_sel_hi:[0,1]
	v_pk_mul_f16 v46, v14, v46 op_sel_hi:[0,1]
	v_dual_mov_b32 v14, v22 :: v_dual_fmac_f32 v23, v15, v38
	v_cvt_f16_f32_e32 v15, v38
	s_delay_alu instid0(VALU_DEP_1) | instskip(SKIP_1) | instid1(VALU_DEP_4)
	v_pk_mul_f16 v44, v15, v44 op_sel_hi:[0,1]
	v_pk_mul_f16 v43, v15, v43 op_sel_hi:[0,1]
	v_mov_b32_e32 v15, v23
	s_mov_b32 s3, exec_lo
	v_cmpx_gt_i32_e64 s6, v25
	s_cbranch_execnz .LBB75_80
.LBB75_78:
	s_nop 0
	s_sendmsg sendmsg(MSG_DEALLOC_VGPRS)
	s_endpgm
.LBB75_79:
	s_delay_alu instid0(VALU_DEP_1)
	v_dual_mov_b32 v23, v15 :: v_dual_mov_b32 v22, v14
	v_dual_mov_b32 v21, v13 :: v_dual_mov_b32 v20, v12
	;; [unrolled: 1-line block ×4, first 2 shown]
	s_mov_b32 s3, exec_lo
	v_cmpx_gt_i32_e64 s6, v25
	s_cbranch_execz .LBB75_78
.LBB75_80:
	s_load_b32 s1, s[0:1], 0xd4
	v_mov_b32_e32 v37, 1.0
	s_waitcnt lgkmcnt(0)
	s_cmp_lg_u32 s1, 1
	s_cselect_b32 s5, -1, 0
	s_cmp_eq_u32 s1, 1
	s_cselect_b32 s4, -1, 0
	s_and_b32 vcc_lo, exec_lo, s5
	s_cbranch_vccnz .LBB75_82
; %bb.81:
	v_div_scale_f32 v25, null, v8, v8, 1.0
	s_delay_alu instid0(VALU_DEP_1) | instskip(SKIP_2) | instid1(VALU_DEP_1)
	v_rcp_f32_e32 v36, v25
	s_waitcnt_depctr 0xfff
	v_fma_f32 v37, -v25, v36, 1.0
	v_fmac_f32_e32 v36, v37, v36
	v_div_scale_f32 v37, vcc_lo, 1.0, v8, 1.0
	s_delay_alu instid0(VALU_DEP_1) | instskip(NEXT) | instid1(VALU_DEP_1)
	v_mul_f32_e32 v38, v37, v36
	v_fma_f32 v39, -v25, v38, v37
	s_delay_alu instid0(VALU_DEP_1) | instskip(NEXT) | instid1(VALU_DEP_1)
	v_fmac_f32_e32 v38, v39, v36
	v_fma_f32 v25, -v25, v38, v37
	s_delay_alu instid0(VALU_DEP_1) | instskip(NEXT) | instid1(VALU_DEP_1)
	v_div_fmas_f32 v25, v25, v36, v38
	v_div_fixup_f32 v37, v25, v8, 1.0
.LBB75_82:
	s_mul_i32 s3, s12, s6
	v_cmp_eq_u32_e32 vcc_lo, 0, v35
	s_add_i32 s3, s3, s15
	v_cvt_f32_f16_e32 v35, v57
	v_dual_mov_b32 v39, 0 :: v_dual_add_nc_u32 v8, s3, v24
	v_cvt_f32_f16_e32 v40, v58
	s_and_b32 s5, vcc_lo, s5
	s_delay_alu instid0(VALU_DEP_2) | instskip(NEXT) | instid1(VALU_DEP_2)
	v_mul_lo_u32 v36, v8, s7
	v_mul_f32_e32 v40, v37, v40
	s_delay_alu instid0(VALU_DEP_2) | instskip(NEXT) | instid1(VALU_DEP_1)
	v_add_nc_u32_e32 v8, s2, v36
	v_mad_u64_u32 v[24:25], null, s1, v8, s[14:15]
	v_lshrrev_b32_e32 v8, 16, v57
	v_lshrrev_b32_e32 v25, 16, v58
	s_delay_alu instid0(VALU_DEP_2) | instskip(NEXT) | instid1(VALU_DEP_4)
	v_cvt_f32_f16_e32 v8, v8
	v_lshl_add_u32 v38, v24, 7, v32
	s_delay_alu instid0(VALU_DEP_3) | instskip(NEXT) | instid1(VALU_DEP_2)
	v_cvt_f32_f16_e32 v25, v25
	v_lshlrev_b64 v[57:58], 2, v[38:39]
	s_delay_alu instid0(VALU_DEP_2) | instskip(SKIP_2) | instid1(VALU_DEP_4)
	v_mul_f32_e32 v41, v37, v25
	v_mul_f32_e32 v38, v37, v35
	;; [unrolled: 1-line block ×3, first 2 shown]
	v_add_co_u32 v57, s0, s28, v57
	s_delay_alu instid0(VALU_DEP_1)
	v_add_co_ci_u32_e64 v58, s0, s29, v58, s0
	global_store_b128 v[57:58], v[38:41], off
	s_and_saveexec_b32 s0, s5
	s_cbranch_execz .LBB75_84
; %bb.83:
	v_ashrrev_i32_e32 v25, 31, v24
	v_mov_b32_e32 v37, v0
	v_mov_b32_e32 v38, v16
	s_delay_alu instid0(VALU_DEP_3) | instskip(NEXT) | instid1(VALU_DEP_1)
	v_lshlrev_b64 v[24:25], 3, v[24:25]
	v_add_co_u32 v24, vcc_lo, s30, v24
	s_delay_alu instid0(VALU_DEP_2)
	v_add_co_ci_u32_e32 v25, vcc_lo, s31, v25, vcc_lo
	global_store_b64 v[24:25], v[37:38], off
.LBB75_84:
	s_or_b32 exec_lo, exec_lo, s0
	v_cndmask_b32_e64 v24, 0, 1, s4
	v_mov_b32_e32 v0, 1.0
	s_and_not1_b32 vcc_lo, exec_lo, s4
	s_cbranch_vccnz .LBB75_86
; %bb.85:
	v_div_scale_f32 v0, null, v9, v9, 1.0
	s_delay_alu instid0(VALU_DEP_1) | instskip(SKIP_2) | instid1(VALU_DEP_1)
	v_rcp_f32_e32 v8, v0
	s_waitcnt_depctr 0xfff
	v_fma_f32 v16, -v0, v8, 1.0
	v_fmac_f32_e32 v8, v16, v8
	v_div_scale_f32 v16, vcc_lo, 1.0, v9, 1.0
	s_delay_alu instid0(VALU_DEP_1) | instskip(NEXT) | instid1(VALU_DEP_1)
	v_mul_f32_e32 v25, v16, v8
	v_fma_f32 v35, -v0, v25, v16
	s_delay_alu instid0(VALU_DEP_1) | instskip(NEXT) | instid1(VALU_DEP_1)
	v_fmac_f32_e32 v25, v35, v8
	v_fma_f32 v0, -v0, v25, v16
	s_delay_alu instid0(VALU_DEP_1) | instskip(NEXT) | instid1(VALU_DEP_1)
	v_div_fmas_f32 v0, v0, v8, v25
	v_div_fixup_f32 v0, v0, v9, 1.0
.LBB75_86:
	s_add_i32 s8, s2, 1
	v_cvt_f32_f16_e32 v25, v55
	v_add_nc_u32_e32 v16, s8, v36
	v_cvt_f32_f16_e32 v35, v56
	v_mov_b32_e32 v38, 0
	s_delay_alu instid0(VALU_DEP_3) | instskip(NEXT) | instid1(VALU_DEP_3)
	v_mad_u64_u32 v[8:9], null, s1, v16, s[14:15]
	v_mul_f32_e32 v39, v0, v35
	v_lshrrev_b32_e32 v9, 16, v55
	v_lshrrev_b32_e32 v16, 16, v56
	s_delay_alu instid0(VALU_DEP_2) | instskip(SKIP_1) | instid1(VALU_DEP_3)
	v_cvt_f32_f16_e32 v9, v9
	v_lshl_add_u32 v37, v8, 7, v32
	v_cvt_f32_f16_e32 v16, v16
	s_delay_alu instid0(VALU_DEP_2) | instskip(SKIP_2) | instid1(VALU_DEP_4)
	v_lshlrev_b64 v[41:42], 2, v[37:38]
	v_mul_f32_e32 v37, v0, v25
	v_mul_f32_e32 v38, v0, v9
	;; [unrolled: 1-line block ×3, first 2 shown]
	s_delay_alu instid0(VALU_DEP_4)
	v_add_co_u32 v41, vcc_lo, s28, v41
	v_add_co_ci_u32_e32 v42, vcc_lo, s29, v42, vcc_lo
	global_store_b128 v[41:42], v[37:40], off
	s_and_saveexec_b32 s0, s5
	s_cbranch_execz .LBB75_88
; %bb.87:
	v_ashrrev_i32_e32 v9, 31, v8
	v_mov_b32_e32 v16, v1
	s_delay_alu instid0(VALU_DEP_2) | instskip(NEXT) | instid1(VALU_DEP_1)
	v_lshlrev_b64 v[8:9], 3, v[8:9]
	v_add_co_u32 v8, vcc_lo, s30, v8
	s_delay_alu instid0(VALU_DEP_2)
	v_add_co_ci_u32_e32 v9, vcc_lo, s31, v9, vcc_lo
	global_store_b64 v[8:9], v[16:17], off
.LBB75_88:
	s_or_b32 exec_lo, exec_lo, s0
	v_cmp_ne_u32_e32 vcc_lo, 1, v24
	v_mov_b32_e32 v8, 1.0
	s_cbranch_vccnz .LBB75_90
; %bb.89:
	v_div_scale_f32 v0, null, v10, v10, 1.0
	s_delay_alu instid0(VALU_DEP_1) | instskip(SKIP_2) | instid1(VALU_DEP_1)
	v_rcp_f32_e32 v1, v0
	s_waitcnt_depctr 0xfff
	v_fma_f32 v8, -v0, v1, 1.0
	v_fmac_f32_e32 v1, v8, v1
	v_div_scale_f32 v8, vcc_lo, 1.0, v10, 1.0
	s_delay_alu instid0(VALU_DEP_1) | instskip(NEXT) | instid1(VALU_DEP_1)
	v_mul_f32_e32 v9, v8, v1
	v_fma_f32 v16, -v0, v9, v8
	s_delay_alu instid0(VALU_DEP_1) | instskip(NEXT) | instid1(VALU_DEP_1)
	v_fmac_f32_e32 v9, v16, v1
	v_fma_f32 v0, -v0, v9, v8
	s_delay_alu instid0(VALU_DEP_1) | instskip(NEXT) | instid1(VALU_DEP_1)
	v_div_fmas_f32 v0, v0, v1, v9
	v_div_fixup_f32 v8, v0, v10, 1.0
.LBB75_90:
	s_add_i32 s4, s2, 2
	v_lshrrev_b32_e32 v16, 16, v54
	v_dual_mov_b32 v10, 0 :: v_dual_add_nc_u32 v9, s4, v36
	v_cvt_f32_f16_e32 v17, v53
	v_cvt_f32_f16_e32 v25, v54
	s_delay_alu instid0(VALU_DEP_4) | instskip(NEXT) | instid1(VALU_DEP_4)
	v_cvt_f32_f16_e32 v16, v16
	v_mad_u64_u32 v[0:1], null, s1, v9, s[14:15]
	v_lshrrev_b32_e32 v1, 16, v53
	v_mul_f32_e32 v37, v8, v17
	v_mul_f32_e32 v39, v8, v25
	;; [unrolled: 1-line block ×3, first 2 shown]
	s_delay_alu instid0(VALU_DEP_4) | instskip(SKIP_1) | instid1(VALU_DEP_2)
	v_cvt_f32_f16_e32 v1, v1
	v_lshl_add_u32 v9, v0, 7, v32
	v_mul_f32_e32 v38, v8, v1
	s_delay_alu instid0(VALU_DEP_2) | instskip(NEXT) | instid1(VALU_DEP_1)
	v_lshlrev_b64 v[9:10], 2, v[9:10]
	v_add_co_u32 v8, vcc_lo, s28, v9
	s_delay_alu instid0(VALU_DEP_2)
	v_add_co_ci_u32_e32 v9, vcc_lo, s29, v10, vcc_lo
	global_store_b128 v[8:9], v[37:40], off
	s_and_saveexec_b32 s0, s5
	s_cbranch_execz .LBB75_92
; %bb.91:
	v_ashrrev_i32_e32 v1, 31, v0
	v_mov_b32_e32 v17, v2
	s_delay_alu instid0(VALU_DEP_2) | instskip(NEXT) | instid1(VALU_DEP_1)
	v_lshlrev_b64 v[0:1], 3, v[0:1]
	v_add_co_u32 v0, vcc_lo, s30, v0
	s_delay_alu instid0(VALU_DEP_2)
	v_add_co_ci_u32_e32 v1, vcc_lo, s31, v1, vcc_lo
	global_store_b64 v[0:1], v[17:18], off
.LBB75_92:
	s_or_b32 exec_lo, exec_lo, s0
	v_cmp_ne_u32_e32 vcc_lo, 1, v24
	v_mov_b32_e32 v2, 1.0
	s_cbranch_vccnz .LBB75_94
; %bb.93:
	v_div_scale_f32 v0, null, v11, v11, 1.0
	s_delay_alu instid0(VALU_DEP_1) | instskip(SKIP_2) | instid1(VALU_DEP_1)
	v_rcp_f32_e32 v1, v0
	s_waitcnt_depctr 0xfff
	v_fma_f32 v2, -v0, v1, 1.0
	v_fmac_f32_e32 v1, v2, v1
	v_div_scale_f32 v2, vcc_lo, 1.0, v11, 1.0
	s_delay_alu instid0(VALU_DEP_1) | instskip(NEXT) | instid1(VALU_DEP_1)
	v_mul_f32_e32 v8, v2, v1
	v_fma_f32 v9, -v0, v8, v2
	s_delay_alu instid0(VALU_DEP_1) | instskip(NEXT) | instid1(VALU_DEP_1)
	v_fmac_f32_e32 v8, v9, v1
	v_fma_f32 v0, -v0, v8, v2
	s_delay_alu instid0(VALU_DEP_1) | instskip(NEXT) | instid1(VALU_DEP_1)
	v_div_fmas_f32 v0, v0, v1, v8
	v_div_fixup_f32 v2, v0, v11, 1.0
.LBB75_94:
	s_add_i32 s0, s2, 3
	v_lshrrev_b32_e32 v10, 16, v52
	v_dual_mov_b32 v9, 0 :: v_dual_add_nc_u32 v8, s0, v36
	v_cvt_f32_f16_e32 v11, v51
	v_cvt_f32_f16_e32 v18, v52
	s_delay_alu instid0(VALU_DEP_4) | instskip(NEXT) | instid1(VALU_DEP_4)
	v_cvt_f32_f16_e32 v25, v10
	v_mad_u64_u32 v[0:1], null, s1, v8, s[14:15]
	v_lshrrev_b32_e32 v1, 16, v51
	s_delay_alu instid0(VALU_DEP_4) | instskip(NEXT) | instid1(VALU_DEP_2)
	v_mul_f32_e32 v10, v2, v18
	v_cvt_f32_f16_e32 v1, v1
	s_delay_alu instid0(VALU_DEP_4) | instskip(NEXT) | instid1(VALU_DEP_1)
	v_lshl_add_u32 v8, v0, 7, v32
	v_lshlrev_b64 v[16:17], 2, v[8:9]
	s_delay_alu instid0(VALU_DEP_3) | instskip(SKIP_2) | instid1(VALU_DEP_4)
	v_mul_f32_e32 v9, v2, v1
	v_mul_f32_e32 v8, v2, v11
	;; [unrolled: 1-line block ×3, first 2 shown]
	v_add_co_u32 v1, vcc_lo, s28, v16
	v_add_co_ci_u32_e32 v2, vcc_lo, s29, v17, vcc_lo
	global_store_b128 v[1:2], v[8:11], off
	s_and_saveexec_b32 s9, s5
	s_cbranch_execz .LBB75_96
; %bb.95:
	v_ashrrev_i32_e32 v1, 31, v0
	v_mov_b32_e32 v18, v3
	s_delay_alu instid0(VALU_DEP_2) | instskip(NEXT) | instid1(VALU_DEP_1)
	v_lshlrev_b64 v[0:1], 3, v[0:1]
	v_add_co_u32 v0, vcc_lo, s30, v0
	s_delay_alu instid0(VALU_DEP_2)
	v_add_co_ci_u32_e32 v1, vcc_lo, s31, v1, vcc_lo
	global_store_b64 v[0:1], v[18:19], off
.LBB75_96:
	s_or_b32 exec_lo, exec_lo, s9
	v_cmp_gt_i32_e32 vcc_lo, s6, v34
	s_and_b32 exec_lo, exec_lo, vcc_lo
	s_cbranch_execz .LBB75_78
; %bb.97:
	v_cmp_ne_u32_e32 vcc_lo, 1, v24
	v_mov_b32_e32 v2, 1.0
	s_cbranch_vccnz .LBB75_99
; %bb.98:
	v_div_scale_f32 v0, null, v12, v12, 1.0
	s_delay_alu instid0(VALU_DEP_1) | instskip(SKIP_2) | instid1(VALU_DEP_1)
	v_rcp_f32_e32 v1, v0
	s_waitcnt_depctr 0xfff
	v_fma_f32 v2, -v0, v1, 1.0
	v_fmac_f32_e32 v1, v2, v1
	v_div_scale_f32 v2, vcc_lo, 1.0, v12, 1.0
	s_delay_alu instid0(VALU_DEP_1) | instskip(NEXT) | instid1(VALU_DEP_1)
	v_mul_f32_e32 v3, v2, v1
	v_fma_f32 v8, -v0, v3, v2
	s_delay_alu instid0(VALU_DEP_1) | instskip(NEXT) | instid1(VALU_DEP_1)
	v_fmac_f32_e32 v3, v8, v1
	v_fma_f32 v0, -v0, v3, v2
	s_delay_alu instid0(VALU_DEP_1) | instskip(NEXT) | instid1(VALU_DEP_1)
	v_div_fmas_f32 v0, v0, v1, v3
	v_div_fixup_f32 v2, v0, v12, 1.0
.LBB75_99:
	v_add_nc_u32_e32 v0, s3, v33
	v_lshrrev_b32_e32 v3, 16, v50
	v_cvt_f32_f16_e32 v10, v49
	v_cvt_f32_f16_e32 v11, v50
	s_delay_alu instid0(VALU_DEP_4) | instskip(SKIP_2) | instid1(VALU_DEP_3)
	v_mad_u64_u32 v[8:9], null, v0, s7, s[2:3]
	v_mov_b32_e32 v9, 0
	v_cvt_f32_f16_e32 v3, v3
	v_mad_u64_u32 v[0:1], null, s1, v8, s[14:15]
	v_lshrrev_b32_e32 v1, 16, v49
	s_delay_alu instid0(VALU_DEP_1) | instskip(NEXT) | instid1(VALU_DEP_3)
	v_cvt_f32_f16_e32 v1, v1
	v_lshl_add_u32 v8, v0, 7, v32
	s_delay_alu instid0(VALU_DEP_1) | instskip(NEXT) | instid1(VALU_DEP_3)
	v_lshlrev_b64 v[16:17], 2, v[8:9]
	v_mul_f32_e32 v9, v2, v1
	v_mul_f32_e32 v8, v2, v10
	;; [unrolled: 1-line block ×4, first 2 shown]
	v_add_co_u32 v1, vcc_lo, s28, v16
	v_add_co_ci_u32_e32 v2, vcc_lo, s29, v17, vcc_lo
	global_store_b128 v[1:2], v[8:11], off
	s_and_saveexec_b32 s2, s5
	s_cbranch_execz .LBB75_101
; %bb.100:
	v_ashrrev_i32_e32 v1, 31, v0
	v_mov_b32_e32 v19, v4
	s_delay_alu instid0(VALU_DEP_2) | instskip(NEXT) | instid1(VALU_DEP_1)
	v_lshlrev_b64 v[0:1], 3, v[0:1]
	v_add_co_u32 v0, vcc_lo, s30, v0
	s_delay_alu instid0(VALU_DEP_2)
	v_add_co_ci_u32_e32 v1, vcc_lo, s31, v1, vcc_lo
	global_store_b64 v[0:1], v[19:20], off
.LBB75_101:
	s_or_b32 exec_lo, exec_lo, s2
	v_cmp_gt_i32_e32 vcc_lo, s6, v31
	s_and_b32 exec_lo, exec_lo, vcc_lo
	s_cbranch_execz .LBB75_78
; %bb.102:
	v_cmp_ne_u32_e32 vcc_lo, 1, v24
	v_mov_b32_e32 v2, 1.0
	s_cbranch_vccnz .LBB75_104
; %bb.103:
	v_div_scale_f32 v0, null, v13, v13, 1.0
	s_delay_alu instid0(VALU_DEP_1) | instskip(SKIP_2) | instid1(VALU_DEP_1)
	v_rcp_f32_e32 v1, v0
	s_waitcnt_depctr 0xfff
	v_fma_f32 v2, -v0, v1, 1.0
	v_fmac_f32_e32 v1, v2, v1
	v_div_scale_f32 v2, vcc_lo, 1.0, v13, 1.0
	s_delay_alu instid0(VALU_DEP_1) | instskip(NEXT) | instid1(VALU_DEP_1)
	v_mul_f32_e32 v3, v2, v1
	v_fma_f32 v4, -v0, v3, v2
	s_delay_alu instid0(VALU_DEP_1) | instskip(NEXT) | instid1(VALU_DEP_1)
	v_fmac_f32_e32 v3, v4, v1
	v_fma_f32 v0, -v0, v3, v2
	s_delay_alu instid0(VALU_DEP_1) | instskip(NEXT) | instid1(VALU_DEP_1)
	v_div_fmas_f32 v0, v0, v1, v3
	v_div_fixup_f32 v2, v0, v13, 1.0
.LBB75_104:
	v_add_nc_u32_e32 v0, s3, v30
	v_lshrrev_b32_e32 v8, 16, v48
	v_cvt_f32_f16_e32 v9, v47
	v_cvt_f32_f16_e32 v10, v48
	s_delay_alu instid0(VALU_DEP_4) | instskip(NEXT) | instid1(VALU_DEP_4)
	v_mad_u64_u32 v[3:4], null, v0, s7, s[8:9]
	v_cvt_f32_f16_e32 v11, v8
	v_mov_b32_e32 v4, 0
	v_mul_f32_e32 v8, v2, v9
	v_mul_f32_e32 v10, v2, v10
	s_delay_alu instid0(VALU_DEP_4) | instskip(SKIP_2) | instid1(VALU_DEP_1)
	v_mul_f32_e32 v11, v2, v11
	v_mad_u64_u32 v[0:1], null, s1, v3, s[14:15]
	v_lshrrev_b32_e32 v1, 16, v47
	v_cvt_f32_f16_e32 v1, v1
	s_delay_alu instid0(VALU_DEP_3) | instskip(NEXT) | instid1(VALU_DEP_2)
	v_lshl_add_u32 v3, v0, 7, v32
	v_mul_f32_e32 v9, v2, v1
	s_delay_alu instid0(VALU_DEP_2) | instskip(NEXT) | instid1(VALU_DEP_1)
	v_lshlrev_b64 v[3:4], 2, v[3:4]
	v_add_co_u32 v1, vcc_lo, s28, v3
	s_delay_alu instid0(VALU_DEP_2)
	v_add_co_ci_u32_e32 v2, vcc_lo, s29, v4, vcc_lo
	global_store_b128 v[1:2], v[8:11], off
	s_and_saveexec_b32 s2, s5
	s_cbranch_execz .LBB75_106
; %bb.105:
	v_ashrrev_i32_e32 v1, 31, v0
	v_mov_b32_e32 v20, v5
	s_delay_alu instid0(VALU_DEP_2) | instskip(NEXT) | instid1(VALU_DEP_1)
	v_lshlrev_b64 v[0:1], 3, v[0:1]
	v_add_co_u32 v0, vcc_lo, s30, v0
	s_delay_alu instid0(VALU_DEP_2)
	v_add_co_ci_u32_e32 v1, vcc_lo, s31, v1, vcc_lo
	global_store_b64 v[0:1], v[20:21], off
.LBB75_106:
	s_or_b32 exec_lo, exec_lo, s2
	v_cmp_gt_i32_e32 vcc_lo, s6, v29
	s_and_b32 exec_lo, exec_lo, vcc_lo
	s_cbranch_execz .LBB75_78
; %bb.107:
	v_cmp_ne_u32_e32 vcc_lo, 1, v24
	v_mov_b32_e32 v2, 1.0
	s_cbranch_vccnz .LBB75_109
; %bb.108:
	v_div_scale_f32 v0, null, v14, v14, 1.0
	s_delay_alu instid0(VALU_DEP_1) | instskip(SKIP_2) | instid1(VALU_DEP_1)
	v_rcp_f32_e32 v1, v0
	s_waitcnt_depctr 0xfff
	v_fma_f32 v2, -v0, v1, 1.0
	v_fmac_f32_e32 v1, v2, v1
	v_div_scale_f32 v2, vcc_lo, 1.0, v14, 1.0
	s_delay_alu instid0(VALU_DEP_1) | instskip(NEXT) | instid1(VALU_DEP_1)
	v_mul_f32_e32 v3, v2, v1
	v_fma_f32 v4, -v0, v3, v2
	s_delay_alu instid0(VALU_DEP_1) | instskip(NEXT) | instid1(VALU_DEP_1)
	v_fmac_f32_e32 v3, v4, v1
	v_fma_f32 v0, -v0, v3, v2
	s_delay_alu instid0(VALU_DEP_1) | instskip(NEXT) | instid1(VALU_DEP_1)
	v_div_fmas_f32 v0, v0, v1, v3
	v_div_fixup_f32 v2, v0, v14, 1.0
.LBB75_109:
	v_add_nc_u32_e32 v0, s3, v28
	v_lshrrev_b32_e32 v5, 16, v46
	v_cvt_f32_f16_e32 v9, v46
	v_cvt_f32_f16_e32 v8, v45
	s_delay_alu instid0(VALU_DEP_4) | instskip(NEXT) | instid1(VALU_DEP_4)
	v_mad_u64_u32 v[3:4], null, v0, s7, s[4:5]
	v_cvt_f32_f16_e32 v5, v5
	v_mov_b32_e32 v4, 0
	v_mul_f32_e32 v10, v2, v9
	v_mul_f32_e32 v8, v2, v8
	s_delay_alu instid0(VALU_DEP_4) | instskip(SKIP_2) | instid1(VALU_DEP_1)
	v_mul_f32_e32 v11, v2, v5
	v_mad_u64_u32 v[0:1], null, s1, v3, s[14:15]
	v_lshrrev_b32_e32 v1, 16, v45
	v_cvt_f32_f16_e32 v1, v1
	s_delay_alu instid0(VALU_DEP_3) | instskip(NEXT) | instid1(VALU_DEP_2)
	v_lshl_add_u32 v3, v0, 7, v32
	v_mul_f32_e32 v9, v2, v1
	s_delay_alu instid0(VALU_DEP_2) | instskip(NEXT) | instid1(VALU_DEP_1)
	v_lshlrev_b64 v[3:4], 2, v[3:4]
	v_add_co_u32 v1, vcc_lo, s28, v3
	s_delay_alu instid0(VALU_DEP_2)
	v_add_co_ci_u32_e32 v2, vcc_lo, s29, v4, vcc_lo
	global_store_b128 v[1:2], v[8:11], off
	s_and_saveexec_b32 s2, s5
	s_cbranch_execz .LBB75_111
; %bb.110:
	v_ashrrev_i32_e32 v1, 31, v0
	v_mov_b32_e32 v21, v6
	s_delay_alu instid0(VALU_DEP_2) | instskip(NEXT) | instid1(VALU_DEP_1)
	v_lshlrev_b64 v[0:1], 3, v[0:1]
	v_add_co_u32 v0, vcc_lo, s30, v0
	s_delay_alu instid0(VALU_DEP_2)
	v_add_co_ci_u32_e32 v1, vcc_lo, s31, v1, vcc_lo
	global_store_b64 v[0:1], v[21:22], off
.LBB75_111:
	s_or_b32 exec_lo, exec_lo, s2
	v_cmp_gt_i32_e32 vcc_lo, s6, v27
	s_and_b32 exec_lo, exec_lo, vcc_lo
	s_cbranch_execz .LBB75_78
; %bb.112:
	v_cmp_ne_u32_e32 vcc_lo, 1, v24
	v_mov_b32_e32 v2, 1.0
	s_cbranch_vccnz .LBB75_114
; %bb.113:
	v_div_scale_f32 v0, null, v15, v15, 1.0
	s_delay_alu instid0(VALU_DEP_1) | instskip(SKIP_2) | instid1(VALU_DEP_1)
	v_rcp_f32_e32 v1, v0
	s_waitcnt_depctr 0xfff
	v_fma_f32 v2, -v0, v1, 1.0
	v_fmac_f32_e32 v1, v2, v1
	v_div_scale_f32 v2, vcc_lo, 1.0, v15, 1.0
	s_delay_alu instid0(VALU_DEP_1) | instskip(NEXT) | instid1(VALU_DEP_1)
	v_mul_f32_e32 v3, v2, v1
	v_fma_f32 v4, -v0, v3, v2
	s_delay_alu instid0(VALU_DEP_1) | instskip(NEXT) | instid1(VALU_DEP_1)
	v_fmac_f32_e32 v3, v4, v1
	v_fma_f32 v0, -v0, v3, v2
	s_delay_alu instid0(VALU_DEP_1) | instskip(NEXT) | instid1(VALU_DEP_1)
	v_div_fmas_f32 v0, v0, v1, v3
	v_div_fixup_f32 v2, v0, v15, 1.0
.LBB75_114:
	v_add_nc_u32_e32 v0, s3, v26
	v_cvt_f32_f16_e32 v6, v44
	v_lshrrev_b32_e32 v5, 16, v43
	v_cvt_f32_f16_e32 v10, v43
	s_delay_alu instid0(VALU_DEP_4) | instskip(SKIP_1) | instid1(VALU_DEP_4)
	v_mad_u64_u32 v[3:4], null, v0, s7, s[0:1]
	v_mov_b32_e32 v4, 0
	v_cvt_f32_f16_e32 v11, v5
	s_delay_alu instid0(VALU_DEP_4) | instskip(NEXT) | instid1(VALU_DEP_4)
	v_mul_f32_e32 v5, v2, v10
	v_mad_u64_u32 v[0:1], null, s1, v3, s[14:15]
	v_lshrrev_b32_e32 v1, 16, v44
	s_delay_alu instid0(VALU_DEP_1) | instskip(NEXT) | instid1(VALU_DEP_3)
	v_cvt_f32_f16_e32 v1, v1
	v_lshl_add_u32 v3, v0, 7, v32
	s_delay_alu instid0(VALU_DEP_1) | instskip(SKIP_1) | instid1(VALU_DEP_4)
	v_lshlrev_b64 v[8:9], 2, v[3:4]
	v_mul_f32_e32 v3, v2, v6
	v_mul_f32_e32 v4, v2, v1
	;; [unrolled: 1-line block ×3, first 2 shown]
	s_delay_alu instid0(VALU_DEP_4)
	v_add_co_u32 v1, vcc_lo, s28, v8
	v_add_co_ci_u32_e32 v2, vcc_lo, s29, v9, vcc_lo
	global_store_b128 v[1:2], v[3:6], off
	s_and_b32 exec_lo, exec_lo, s5
	s_cbranch_execz .LBB75_78
; %bb.115:
	v_ashrrev_i32_e32 v1, 31, v0
	v_mov_b32_e32 v22, v7
	s_delay_alu instid0(VALU_DEP_2) | instskip(NEXT) | instid1(VALU_DEP_1)
	v_lshlrev_b64 v[0:1], 3, v[0:1]
	v_add_co_u32 v0, vcc_lo, s30, v0
	s_delay_alu instid0(VALU_DEP_2)
	v_add_co_ci_u32_e32 v1, vcc_lo, s31, v1, vcc_lo
	global_store_b64 v[0:1], v[22:23], off
	s_nop 0
	s_sendmsg sendmsg(MSG_DEALLOC_VGPRS)
	s_endpgm
	.section	.rodata,"a",@progbits
	.p2align	6, 0x0
	.amdhsa_kernel _ZL15flash_attn_tileILi128ELi128ELi16ELi4ELb1EEvPKcS1_S1_S1_S1_PKiPfP15HIP_vector_typeIfLj2EEffffjfiS5_IjLj3EEiiiiiiiiiiiliiliiiiil
		.amdhsa_group_segment_fixed_size 33792
		.amdhsa_private_segment_fixed_size 0
		.amdhsa_kernarg_size 464
		.amdhsa_user_sgpr_count 13
		.amdhsa_user_sgpr_dispatch_ptr 0
		.amdhsa_user_sgpr_queue_ptr 0
		.amdhsa_user_sgpr_kernarg_segment_ptr 1
		.amdhsa_user_sgpr_dispatch_id 0
		.amdhsa_user_sgpr_private_segment_size 0
		.amdhsa_wavefront_size32 1
		.amdhsa_uses_dynamic_stack 0
		.amdhsa_enable_private_segment 0
		.amdhsa_system_sgpr_workgroup_id_x 1
		.amdhsa_system_sgpr_workgroup_id_y 1
		.amdhsa_system_sgpr_workgroup_id_z 1
		.amdhsa_system_sgpr_workgroup_info 0
		.amdhsa_system_vgpr_workitem_id 1
		.amdhsa_next_free_vgpr 211
		.amdhsa_next_free_sgpr 43
		.amdhsa_reserve_vcc 1
		.amdhsa_float_round_mode_32 0
		.amdhsa_float_round_mode_16_64 0
		.amdhsa_float_denorm_mode_32 3
		.amdhsa_float_denorm_mode_16_64 3
		.amdhsa_dx10_clamp 1
		.amdhsa_ieee_mode 1
		.amdhsa_fp16_overflow 0
		.amdhsa_workgroup_processor_mode 1
		.amdhsa_memory_ordered 1
		.amdhsa_forward_progress 0
		.amdhsa_shared_vgpr_count 0
		.amdhsa_exception_fp_ieee_invalid_op 0
		.amdhsa_exception_fp_denorm_src 0
		.amdhsa_exception_fp_ieee_div_zero 0
		.amdhsa_exception_fp_ieee_overflow 0
		.amdhsa_exception_fp_ieee_underflow 0
		.amdhsa_exception_fp_ieee_inexact 0
		.amdhsa_exception_int_div_zero 0
	.end_amdhsa_kernel
	.section	.text._ZL15flash_attn_tileILi128ELi128ELi16ELi4ELb1EEvPKcS1_S1_S1_S1_PKiPfP15HIP_vector_typeIfLj2EEffffjfiS5_IjLj3EEiiiiiiiiiiiliiliiiiil,"axG",@progbits,_ZL15flash_attn_tileILi128ELi128ELi16ELi4ELb1EEvPKcS1_S1_S1_S1_PKiPfP15HIP_vector_typeIfLj2EEffffjfiS5_IjLj3EEiiiiiiiiiiiliiliiiiil,comdat
.Lfunc_end75:
	.size	_ZL15flash_attn_tileILi128ELi128ELi16ELi4ELb1EEvPKcS1_S1_S1_S1_PKiPfP15HIP_vector_typeIfLj2EEffffjfiS5_IjLj3EEiiiiiiiiiiiliiliiiiil, .Lfunc_end75-_ZL15flash_attn_tileILi128ELi128ELi16ELi4ELb1EEvPKcS1_S1_S1_S1_PKiPfP15HIP_vector_typeIfLj2EEffffjfiS5_IjLj3EEiiiiiiiiiiiliiliiiiil
                                        ; -- End function
	.section	.AMDGPU.csdata,"",@progbits
; Kernel info:
; codeLenInByte = 47968
; NumSgprs: 45
; NumVgprs: 211
; ScratchSize: 0
; MemoryBound: 0
; FloatMode: 240
; IeeeMode: 1
; LDSByteSize: 33792 bytes/workgroup (compile time only)
; SGPRBlocks: 5
; VGPRBlocks: 26
; NumSGPRsForWavesPerEU: 45
; NumVGPRsForWavesPerEU: 211
; Occupancy: 6
; WaveLimiterHint : 1
; COMPUTE_PGM_RSRC2:SCRATCH_EN: 0
; COMPUTE_PGM_RSRC2:USER_SGPR: 13
; COMPUTE_PGM_RSRC2:TRAP_HANDLER: 0
; COMPUTE_PGM_RSRC2:TGID_X_EN: 1
; COMPUTE_PGM_RSRC2:TGID_Y_EN: 1
; COMPUTE_PGM_RSRC2:TGID_Z_EN: 1
; COMPUTE_PGM_RSRC2:TIDIG_COMP_CNT: 1
	.section	.text._ZL15flash_attn_tileILi128ELi128ELi8ELi4ELb1EEvPKcS1_S1_S1_S1_PKiPfP15HIP_vector_typeIfLj2EEffffjfiS5_IjLj3EEiiiiiiiiiiiliiliiiiil,"axG",@progbits,_ZL15flash_attn_tileILi128ELi128ELi8ELi4ELb1EEvPKcS1_S1_S1_S1_PKiPfP15HIP_vector_typeIfLj2EEffffjfiS5_IjLj3EEiiiiiiiiiiiliiliiiiil,comdat
	.globl	_ZL15flash_attn_tileILi128ELi128ELi8ELi4ELb1EEvPKcS1_S1_S1_S1_PKiPfP15HIP_vector_typeIfLj2EEffffjfiS5_IjLj3EEiiiiiiiiiiiliiliiiiil ; -- Begin function _ZL15flash_attn_tileILi128ELi128ELi8ELi4ELb1EEvPKcS1_S1_S1_S1_PKiPfP15HIP_vector_typeIfLj2EEffffjfiS5_IjLj3EEiiiiiiiiiiiliiliiiiil
	.p2align	8
	.type	_ZL15flash_attn_tileILi128ELi128ELi8ELi4ELb1EEvPKcS1_S1_S1_S1_PKiPfP15HIP_vector_typeIfLj2EEffffjfiS5_IjLj3EEiiiiiiiiiiiliiliiiiil,@function
_ZL15flash_attn_tileILi128ELi128ELi8ELi4ELb1EEvPKcS1_S1_S1_S1_PKiPfP15HIP_vector_typeIfLj2EEffffjfiS5_IjLj3EEiiiiiiiiiiiliiliiiiil: ; @_ZL15flash_attn_tileILi128ELi128ELi8ELi4ELb1EEvPKcS1_S1_S1_S1_PKiPfP15HIP_vector_typeIfLj2EEffffjfiS5_IjLj3EEiiiiiiiiiiiliiliiiiil
; %bb.0:
	s_clause 0x3
	s_load_b128 s[4:7], s[0:1], 0x5c
	s_load_b64 s[34:35], s[0:1], 0x80
	s_load_b512 s[16:31], s[0:1], 0x0
	s_load_b64 s[38:39], s[0:1], 0xb8
	s_mov_b64 s[36:37], 0
	s_waitcnt lgkmcnt(0)
	s_ashr_i32 s2, s7, 31
	s_delay_alu instid0(SALU_CYCLE_1) | instskip(NEXT) | instid1(SALU_CYCLE_1)
	s_lshr_b32 s2, s2, 30
	s_add_i32 s2, s7, s2
	s_delay_alu instid0(SALU_CYCLE_1) | instskip(NEXT) | instid1(SALU_CYCLE_1)
	s_ashr_i32 s2, s2, 2
	v_cvt_f32_u32_e32 v1, s2
	s_sub_i32 s8, 0, s2
	s_delay_alu instid0(VALU_DEP_1) | instskip(SKIP_2) | instid1(VALU_DEP_1)
	v_rcp_iflag_f32_e32 v1, v1
	s_waitcnt_depctr 0xfff
	v_mul_f32_e32 v1, 0x4f7ffffe, v1
	v_cvt_u32_f32_e32 v1, v1
	s_delay_alu instid0(VALU_DEP_1) | instskip(NEXT) | instid1(VALU_DEP_1)
	v_readfirstlane_b32 s3, v1
	s_mul_i32 s8, s8, s3
	s_delay_alu instid0(SALU_CYCLE_1) | instskip(NEXT) | instid1(SALU_CYCLE_1)
	s_mul_hi_u32 s8, s3, s8
	s_add_i32 s3, s3, s8
	s_delay_alu instid0(SALU_CYCLE_1) | instskip(NEXT) | instid1(SALU_CYCLE_1)
	s_mul_hi_u32 s3, s15, s3
	s_mul_i32 s8, s3, s2
	s_add_i32 s9, s3, 1
	s_sub_i32 s8, s15, s8
	s_delay_alu instid0(SALU_CYCLE_1)
	s_sub_i32 s10, s8, s2
	s_cmp_ge_u32 s8, s2
	s_cselect_b32 s3, s9, s3
	s_cselect_b32 s8, s10, s8
	s_add_i32 s9, s3, 1
	s_cmp_ge_u32 s8, s2
	s_cselect_b32 s12, s9, s3
	s_abs_i32 s3, s35
	s_abs_i32 s11, s7
	v_cvt_f32_u32_e32 v1, s3
	s_sub_i32 s8, 0, s3
	s_lshl_b32 s9, s15, 2
	s_mul_i32 s10, s12, s7
	s_delay_alu instid0(VALU_DEP_1) | instskip(SKIP_2) | instid1(VALU_DEP_1)
	v_rcp_iflag_f32_e32 v1, v1
	s_waitcnt_depctr 0xfff
	v_mul_f32_e32 v1, 0x4f7ffffe, v1
	v_cvt_u32_f32_e32 v1, v1
	s_delay_alu instid0(VALU_DEP_1) | instskip(NEXT) | instid1(VALU_DEP_1)
	v_readfirstlane_b32 s2, v1
	s_mul_i32 s8, s8, s2
	s_delay_alu instid0(SALU_CYCLE_1) | instskip(NEXT) | instid1(SALU_CYCLE_1)
	s_mul_hi_u32 s8, s2, s8
	s_add_i32 s8, s2, s8
	s_sub_i32 s2, s9, s10
	s_mul_hi_u32 s8, s11, s8
	s_xor_b32 s9, s7, s35
	s_mul_i32 s10, s8, s3
	s_ashr_i32 s9, s9, 31
	s_sub_i32 s10, s11, s10
	s_add_i32 s11, s8, 1
	s_sub_i32 s15, s10, s3
	s_cmp_ge_u32 s10, s3
	s_cselect_b32 s8, s11, s8
	s_cselect_b32 s10, s15, s10
	s_add_i32 s11, s8, 1
	s_cmp_ge_u32 s10, s3
	s_cselect_b32 s3, s11, s8
	s_delay_alu instid0(SALU_CYCLE_1) | instskip(NEXT) | instid1(SALU_CYCLE_1)
	s_xor_b32 s3, s3, s9
	s_sub_i32 s33, s3, s9
	s_delay_alu instid0(SALU_CYCLE_1) | instskip(SKIP_2) | instid1(VALU_DEP_1)
	s_abs_i32 s15, s33
	s_cmp_eq_u64 s[22:23], 0
	v_cvt_f32_u32_e32 v1, s15
	v_rcp_iflag_f32_e32 v1, v1
	s_waitcnt_depctr 0xfff
	v_mul_f32_e32 v1, 0x4f7ffffe, v1
	s_delay_alu instid0(VALU_DEP_1) | instskip(NEXT) | instid1(VALU_DEP_1)
	v_cvt_u32_f32_e32 v1, v1
	v_readfirstlane_b32 s35, v1
	s_cbranch_scc1 .LBB76_2
; %bb.1:
	s_abs_i32 s3, s38
	s_abs_i32 s10, s12
	v_cvt_f32_u32_e32 v1, s3
	s_sub_i32 s9, 0, s3
	s_delay_alu instid0(VALU_DEP_1) | instskip(SKIP_2) | instid1(VALU_DEP_1)
	v_rcp_iflag_f32_e32 v1, v1
	s_waitcnt_depctr 0xfff
	v_mul_f32_e32 v1, 0x4f7ffffe, v1
	v_cvt_u32_f32_e32 v1, v1
	s_delay_alu instid0(VALU_DEP_1) | instskip(NEXT) | instid1(VALU_DEP_1)
	v_readfirstlane_b32 s8, v1
	s_mul_i32 s9, s9, s8
	s_delay_alu instid0(SALU_CYCLE_1) | instskip(NEXT) | instid1(SALU_CYCLE_1)
	s_mul_hi_u32 s9, s8, s9
	s_add_i32 s11, s8, s9
	s_load_b64 s[8:9], s[0:1], 0xc8
	s_mul_hi_u32 s11, s10, s11
	s_delay_alu instid0(SALU_CYCLE_1) | instskip(NEXT) | instid1(SALU_CYCLE_1)
	s_mul_i32 s11, s11, s3
	s_sub_i32 s10, s10, s11
	s_ashr_i32 s11, s12, 31
	s_sub_i32 s36, s10, s3
	s_cmp_ge_u32 s10, s3
	s_cselect_b32 s10, s36, s10
	s_delay_alu instid0(SALU_CYCLE_1) | instskip(SKIP_2) | instid1(SALU_CYCLE_1)
	s_sub_i32 s36, s10, s3
	s_cmp_ge_u32 s10, s3
	s_cselect_b32 s3, s36, s10
	s_xor_b32 s3, s3, s11
	s_delay_alu instid0(SALU_CYCLE_1)
	s_sub_i32 s3, s3, s11
	s_waitcnt lgkmcnt(0)
	s_mul_i32 s9, s3, s9
	s_mul_hi_u32 s10, s3, s8
	s_ashr_i32 s11, s3, 31
	s_add_i32 s9, s10, s9
	s_mul_i32 s11, s11, s8
	s_mul_i32 s3, s3, s8
	s_add_i32 s9, s9, s11
	s_add_u32 s36, s22, s3
	s_addc_u32 s37, s23, s9
.LBB76_2:
	v_bfe_u32 v4, v0, 10, 10
	s_load_b128 s[8:11], s[0:1], 0x70
	v_and_b32_e32 v13, 0x3ff, v0
	s_delay_alu instid0(VALU_DEP_2) | instskip(NEXT) | instid1(VALU_DEP_1)
	v_lshl_add_u32 v12, s13, 3, v4
	v_mul_hi_u32 v1, s4, v12
	s_delay_alu instid0(VALU_DEP_1) | instskip(SKIP_3) | instid1(VALU_DEP_1)
	v_add_nc_u32_e32 v1, v12, v1
	s_waitcnt lgkmcnt(0)
	s_mul_i32 s3, s12, s10
	s_mul_i32 s4, s2, s9
	v_lshrrev_b32_e32 v1, s5, v1
	s_ashr_i32 s5, s3, 31
	s_add_u32 s3, s16, s3
	s_addc_u32 s5, s17, s5
	s_ashr_i32 s10, s4, 31
	v_mul_lo_u32 v1, v1, s6
	s_add_u32 s3, s3, s4
	s_addc_u32 s4, s5, s10
	s_ashr_i32 s5, s8, 31
	s_delay_alu instid0(SALU_CYCLE_1) | instskip(SKIP_1) | instid1(VALU_DEP_2)
	v_alignbit_b32 v3, s5, s8, 2
	s_lshr_b32 s5, s5, 2
	v_sub_nc_u32_e32 v5, v12, v1
	s_delay_alu instid0(VALU_DEP_1) | instskip(NEXT) | instid1(VALU_DEP_1)
	v_mad_u64_u32 v[1:2], null, v3, v5, 0
	v_mad_u64_u32 v[6:7], null, s5, v5, v[2:3]
	s_ashr_i32 s5, s9, 31
	s_delay_alu instid0(SALU_CYCLE_1) | instskip(NEXT) | instid1(VALU_DEP_2)
	v_alignbit_b32 v3, s5, s9, 2
	v_mov_b32_e32 v2, v6
	s_delay_alu instid0(VALU_DEP_1) | instskip(SKIP_1) | instid1(VALU_DEP_2)
	v_lshlrev_b64 v[0:1], 2, v[1:2]
	v_lshlrev_b32_e32 v2, 4, v13
	v_add_co_u32 v0, vcc_lo, s3, v0
	s_delay_alu instid0(VALU_DEP_3) | instskip(SKIP_1) | instid1(VALU_DEP_2)
	v_add_co_ci_u32_e32 v1, vcc_lo, s4, v1, vcc_lo
	s_mov_b32 s4, s9
	v_add_co_u32 v6, vcc_lo, v0, v2
	s_delay_alu instid0(VALU_DEP_2) | instskip(SKIP_3) | instid1(VALU_DEP_1)
	v_add_co_ci_u32_e32 v7, vcc_lo, 0, v1, vcc_lo
	s_and_b32 s3, s9, -4
	s_lshr_b64 s[8:9], s[4:5], 2
	s_lshr_b32 s4, s5, 2
	v_mad_u64_u32 v[10:11], null, v3, 12, v[6:7]
	s_lshl_b64 s[8:9], s[8:9], 3
	global_load_b128 v[0:3], v[6:7], off
	s_cmp_eq_u64 s[26:27], 0
	v_mov_b32_e32 v8, v11
	s_delay_alu instid0(VALU_DEP_1) | instskip(SKIP_3) | instid1(VALU_DEP_4)
	v_mad_u64_u32 v[14:15], null, s4, 12, v[8:9]
	v_add_co_u32 v8, vcc_lo, v6, s3
	v_add_co_ci_u32_e32 v9, vcc_lo, s5, v7, vcc_lo
	v_add_co_u32 v15, vcc_lo, v6, s8
	v_mov_b32_e32 v11, v14
	v_add_co_ci_u32_e32 v16, vcc_lo, s9, v7, vcc_lo
	s_clause 0x2
	global_load_b128 v[6:9], v[8:9], off
	global_load_b128 v[14:17], v[15:16], off
	;; [unrolled: 1-line block ×3, first 2 shown]
	s_load_b32 s3, s[0:1], 0x40
	v_lshlrev_b32_e32 v10, 8, v4
	v_lshlrev_b32_e32 v11, 1, v13
	s_delay_alu instid0(VALU_DEP_1) | instskip(SKIP_3) | instid1(VALU_DEP_3)
	v_add_lshl_u32 v22, v11, v10, 2
	s_waitcnt vmcnt(3) lgkmcnt(0)
	v_fma_mixlo_f16 v10, v0, s3, 0
	v_fma_mixlo_f16 v11, v2, s3, 0
	v_add_nc_u32_e32 v0, 0x6800, v22
	s_delay_alu instid0(VALU_DEP_3) | instskip(NEXT) | instid1(VALU_DEP_3)
	v_fma_mixhi_f16 v10, v1, s3, 0
	v_fma_mixhi_f16 v11, v3, s3, 0
	s_waitcnt vmcnt(2)
	v_fma_mixlo_f16 v2, v8, s3, 0
	v_fma_mixlo_f16 v1, v6, s3, 0
	s_waitcnt vmcnt(1)
	v_fma_mixlo_f16 v22, v14, s3, 0
	v_fma_mixlo_f16 v23, v16, s3, 0
	s_waitcnt vmcnt(0)
	v_fma_mixlo_f16 v8, v18, s3, 0
	v_fma_mixhi_f16 v2, v9, s3, 0
	v_fma_mixlo_f16 v9, v20, s3, 0
	v_fma_mixhi_f16 v1, v7, s3, 0
	v_fma_mixhi_f16 v23, v17, s3, 0
	v_fma_mixhi_f16 v22, v15, s3, 0
	v_fma_mixhi_f16 v8, v19, s3, 0
	v_fma_mixhi_f16 v9, v21, s3, 0
	ds_store_2addr_b64 v0, v[10:11], v[1:2] offset1:32
	ds_store_2addr_b64 v0, v[22:23], v[8:9] offset0:64 offset1:96
	s_waitcnt lgkmcnt(0)
	s_barrier
	buffer_gl0_inv
	s_cbranch_scc1 .LBB76_4
; %bb.3:
	s_load_b32 s3, s[0:1], 0xd0
	s_mov_b32 s5, 0
	s_waitcnt lgkmcnt(0)
	s_mul_i32 s3, s3, s12
	s_delay_alu instid0(SALU_CYCLE_1) | instskip(NEXT) | instid1(SALU_CYCLE_1)
	s_add_i32 s4, s3, s13
	s_lshl_b64 s[4:5], s[4:5], 2
	s_delay_alu instid0(SALU_CYCLE_1)
	s_add_u32 s4, s26, s4
	s_addc_u32 s5, s27, s5
	s_load_b32 s34, s[4:5], 0x0
.LBB76_4:
	v_mbcnt_lo_u32_b32 v32, -1, 0
	s_lshl_b32 s3, s14, 7
	s_waitcnt lgkmcnt(0)
	s_cmp_lt_i32 s3, s34
	s_cbranch_scc1 .LBB76_6
; %bb.5:
	v_mbcnt_lo_u32_b32 v6, -1, 0
	v_mov_b32_e32 v33, 32
	s_mov_b32 s4, 0
	s_mov_b32 s5, 0xfeffffff
	s_delay_alu instid0(VALU_DEP_2)
	v_xor_b32_e32 v68, 16, v6
	v_xor_b32_e32 v67, 8, v6
	;; [unrolled: 1-line block ×5, first 2 shown]
	s_branch .LBB76_7
.LBB76_6:
	s_mov_b32 s4, -1
                                        ; implicit-def: $sgpr5
                                        ; implicit-def: $vgpr6
                                        ; implicit-def: $vgpr33
                                        ; implicit-def: $vgpr68
                                        ; implicit-def: $vgpr67
                                        ; implicit-def: $vgpr66
                                        ; implicit-def: $vgpr65
                                        ; implicit-def: $vgpr64
.LBB76_7:
	s_delay_alu instid0(SALU_CYCLE_1) | instskip(SKIP_2) | instid1(VALU_DEP_3)
	v_cndmask_b32_e64 v0, 0, 1, s4
	v_dual_mov_b32 v3, s5 :: v_dual_mov_b32 v62, s4
	v_dual_mov_b32 v54, s4 :: v_dual_lshlrev_b32 v31, 2, v13
	v_cmp_ne_u32_e32 vcc_lo, 1, v0
	v_dual_mov_b32 v2, s5 :: v_dual_mov_b32 v1, s5
	v_dual_mov_b32 v0, s5 :: v_dual_mov_b32 v63, s4
	;; [unrolled: 1-line block ×6, first 2 shown]
	v_mov_b32_e32 v49, s4
	s_cbranch_vccnz .LBB76_76
; %bb.8:
	s_clause 0x1
	s_load_b128 s[8:11], s[0:1], 0x98
	s_load_b64 s[4:5], s[0:1], 0x8c
	s_sub_i32 s13, 0, s15
	s_abs_i32 s22, s2
	s_mul_i32 s13, s13, s35
	s_ashr_i32 s26, s33, 31
	s_mul_hi_u32 s13, s35, s13
	s_ashr_i32 s27, s39, 1
	s_add_i32 s35, s35, s13
	s_ashr_i32 s23, s2, 31
	s_mul_hi_u32 s33, s22, s35
	s_ashr_i32 s35, s12, 31
	s_load_b64 s[16:17], s[0:1], 0xa8
	s_mul_i32 s38, s33, s15
	v_lshrrev_b32_e32 v0, 3, v13
	v_dual_mov_b32 v48, 0 :: v_dual_and_b32 v17, 28, v31
	v_mov_b32_e32 v50, 0
	v_dual_mov_b32 v53, 0 :: v_dual_lshlrev_b32 v16, 10, v4
	s_waitcnt lgkmcnt(0)
	s_mul_i32 s39, s35, s8
	s_ashr_i32 s13, s4, 2
	s_mul_i32 s4, s12, s9
	s_mul_hi_u32 s9, s12, s8
	s_mul_i32 s8, s12, s8
	s_add_i32 s4, s9, s4
	s_ashr_i32 s10, s10, 2
	s_add_i32 s4, s4, s39
	s_add_u32 s8, s18, s8
	s_addc_u32 s4, s19, s4
	s_sub_i32 s18, s22, s38
	s_xor_b32 s9, s23, s26
	s_add_i32 s19, s33, 1
	s_sub_i32 s22, s18, s15
	s_cmp_ge_u32 s18, s15
	v_lshl_add_u32 v1, v4, 2, v0
	s_cselect_b32 s19, s19, s33
	s_cselect_b32 s18, s22, s18
	s_add_i32 s22, s19, 1
	s_cmp_ge_u32 s18, s15
	v_lshlrev_b32_e32 v3, 2, v17
	s_cselect_b32 s15, s22, s19
	s_mul_i32 s17, s12, s17
	s_xor_b32 s15, s15, s9
	s_mul_hi_u32 s18, s12, s16
	s_sub_i32 s15, s15, s9
	s_mul_i32 s35, s35, s16
	s_mul_i32 s5, s15, s5
	v_mul_lo_u32 v0, s13, v1
	s_ashr_i32 s9, s5, 31
	s_add_u32 s8, s8, s5
	s_addc_u32 s9, s4, s9
	s_add_i32 s4, s18, s17
	s_mul_i32 s16, s12, s16
	s_mul_i32 s15, s15, s11
	s_add_i32 s4, s4, s35
	v_mad_u32_u24 v34, 0x90, v1, v3
	v_lshrrev_b32_e32 v3, 4, v13
	s_add_u32 s5, s20, s16
	s_addc_u32 s4, s21, s4
	s_ashr_i32 s16, s15, 31
	s_add_u32 s11, s5, s15
	s_addc_u32 s15, s4, s16
	s_lshl_b32 s4, s13, 5
	v_lshl_add_u32 v11, v4, 1, v3
	v_dual_mov_b32 v59, 0xfeffffff :: v_dual_add_nc_u32 v2, s4, v0
	v_mov_b32_e32 v33, 32
	v_and_b32_e32 v25, 60, v31
	s_delay_alu instid0(VALU_DEP_4) | instskip(NEXT) | instid1(VALU_DEP_4)
	v_mul_lo_u32 v10, s10, v11
	v_dual_mov_b32 v57, 0xfeffffff :: v_dual_add_nc_u32 v6, s4, v2
	s_load_b32 s16, s[0:1], 0x54
	s_delay_alu instid0(VALU_DEP_3) | instskip(NEXT) | instid1(VALU_DEP_2)
	v_dual_mov_b32 v55, 0 :: v_dual_lshlrev_b32 v18, 2, v25
	v_dual_mov_b32 v51, 0 :: v_dual_add_nc_u32 v8, s4, v6
	s_lshl_b32 s4, s10, 4
	v_mov_b32_e32 v56, 0
	v_add_nc_u32_e32 v4, s4, v10
	v_ashrrev_i32_e32 v1, 31, v0
	v_ashrrev_i32_e32 v3, 31, v2
	;; [unrolled: 1-line block ×4, first 2 shown]
	v_add_nc_u32_e32 v27, s4, v4
	v_mad_u64_u32 v[14:15], null, v5, s27, v[13:14]
	v_lshl_or_b32 v40, v11, 8, v18
	v_ashrrev_i32_e32 v11, 31, v10
	s_delay_alu instid0(VALU_DEP_4) | instskip(SKIP_3) | instid1(VALU_DEP_4)
	v_add_nc_u32_e32 v29, s4, v27
	v_ashrrev_i32_e32 v5, 31, v4
	v_ashrrev_i32_e32 v28, 31, v27
	v_dual_mov_b32 v58, 0 :: v_dual_add_nc_u32 v39, 0x6800, v16
	v_ashrrev_i32_e32 v30, 31, v29
	v_add_nc_u32_e32 v41, 0x4800, v16
	v_lshlrev_b64 v[15:16], 2, v[0:1]
	v_lshlrev_b32_e32 v46, 2, v17
	v_lshlrev_b64 v[17:18], 2, v[2:3]
	v_lshlrev_b64 v[19:20], 2, v[6:7]
	;; [unrolled: 1-line block ×3, first 2 shown]
	v_mov_b32_e32 v8, 0
	v_lshlrev_b64 v[23:24], 2, v[10:11]
	v_lshlrev_b64 v[27:28], 2, v[27:28]
	;; [unrolled: 1-line block ×3, first 2 shown]
	v_dual_mov_b32 v10, 0xfeffffff :: v_dual_lshlrev_b32 v47, 2, v25
	v_lshlrev_b64 v[25:26], 2, v[4:5]
	v_dual_mov_b32 v52, 0 :: v_dual_add_nc_u32 v35, 0x1200, v34
	v_dual_mov_b32 v49, 0 :: v_dual_add_nc_u32 v36, 0x2400, v34
	;; [unrolled: 1-line block ×3, first 2 shown]
	v_mul_u32_u24_e32 v38, 0x90, v13
	v_dual_mov_b32 v11, 0xfeffffff :: v_dual_lshlrev_b32 v42, 3, v13
	v_add_nc_u32_e32 v43, 0x1000, v40
	v_dual_mov_b32 v9, 0 :: v_dual_add_nc_u32 v44, 0x2000, v40
	v_add_nc_u32_e32 v45, 0x3000, v40
	s_add_u32 s4, s0, 0xd0
	s_addc_u32 s5, s1, 0
	s_mov_b32 s17, 0xbbbac73d
.LBB76_9:                               ; =>This Inner Loop Header: Depth=1
	s_mul_hi_i32 s19, s3, s13
	s_mul_i32 s18, s3, s13
	v_dual_mov_b32 v64, 0 :: v_dual_mov_b32 v73, 0
	s_lshl_b64 s[18:19], s[18:19], 2
	v_mov_b32_e32 v69, 0
	s_add_u32 s18, s8, s18
	s_addc_u32 s19, s9, s19
	v_add_co_u32 v0, vcc_lo, s18, v15
	v_add_co_ci_u32_e32 v1, vcc_lo, s19, v16, vcc_lo
	v_add_co_u32 v2, vcc_lo, s18, v17
	v_add_co_ci_u32_e32 v3, vcc_lo, s19, v18, vcc_lo
	s_delay_alu instid0(VALU_DEP_4) | instskip(NEXT) | instid1(VALU_DEP_4)
	v_add_co_u32 v0, vcc_lo, v0, v46
	v_add_co_ci_u32_e32 v1, vcc_lo, 0, v1, vcc_lo
	s_delay_alu instid0(VALU_DEP_4) | instskip(NEXT) | instid1(VALU_DEP_4)
	v_add_co_u32 v2, vcc_lo, v2, v46
	v_add_co_ci_u32_e32 v3, vcc_lo, 0, v3, vcc_lo
	v_add_co_u32 v4, vcc_lo, s18, v19
	v_add_co_ci_u32_e32 v5, vcc_lo, s19, v20, vcc_lo
	;; [unrolled: 2-line block ×3, first 2 shown]
	s_delay_alu instid0(VALU_DEP_4) | instskip(NEXT) | instid1(VALU_DEP_4)
	v_add_co_u32 v4, vcc_lo, v4, v46
	v_add_co_ci_u32_e32 v5, vcc_lo, 0, v5, vcc_lo
	s_delay_alu instid0(VALU_DEP_4) | instskip(NEXT) | instid1(VALU_DEP_4)
	v_add_co_u32 v6, vcc_lo, v6, v46
	v_add_co_ci_u32_e32 v7, vcc_lo, 0, v7, vcc_lo
	s_clause 0x3
	global_load_b128 v[60:63], v[0:1], off
	global_load_b128 v[65:68], v[2:3], off
	;; [unrolled: 1-line block ×4, first 2 shown]
	v_dual_mov_b32 v70, 0 :: v_dual_mov_b32 v71, 0
	v_mov_b32_e32 v72, 0
	s_waitcnt vmcnt(3)
	ds_store_b128 v34, v[60:63]
	s_waitcnt vmcnt(2)
	ds_store_b128 v35, v[65:68]
	;; [unrolled: 2-line block ×4, first 2 shown]
	v_mov_b32_e32 v63, 0
	s_waitcnt lgkmcnt(0)
	s_barrier
	buffer_gl0_inv
	ds_load_b128 v[77:80], v38
	ds_load_b128 v[81:84], v39
	ds_load_b128 v[85:88], v39 offset:256
	ds_load_b128 v[97:100], v38 offset:4608
	;; [unrolled: 1-line block ×6, first 2 shown]
	s_waitcnt lgkmcnt(6)
	;;#ASMSTART
	v_dot2_f32_f16 v64, v77, v81, v64
	;;#ASMEND
	;;#ASMSTART
	v_dot2_f32_f16 v64, v78, v82, v64
	;;#ASMEND
	;; [unrolled: 3-line block ×4, first 2 shown]
	s_waitcnt lgkmcnt(5)
	;;#ASMSTART
	v_dot2_f32_f16 v73, v77, v85, v73
	;;#ASMEND
	;;#ASMSTART
	v_dot2_f32_f16 v73, v78, v86, v73
	;;#ASMEND
	;; [unrolled: 3-line block ×3, first 2 shown]
	v_mov_b32_e32 v60, 0
	;;#ASMSTART
	v_dot2_f32_f16 v73, v80, v88, v73
	;;#ASMEND
	s_waitcnt lgkmcnt(3)
	;;#ASMSTART
	v_dot2_f32_f16 v69, v77, v89, v69
	;;#ASMEND
	;;#ASMSTART
	v_dot2_f32_f16 v69, v78, v90, v69
	;;#ASMEND
	;; [unrolled: 3-line block ×4, first 2 shown]
	s_waitcnt lgkmcnt(2)
	;;#ASMSTART
	v_dot2_f32_f16 v60, v77, v93, v60
	;;#ASMEND
	;;#ASMSTART
	v_dot2_f32_f16 v60, v78, v94, v60
	;;#ASMEND
	v_dual_mov_b32 v65, 0 :: v_dual_mov_b32 v74, 0
	;;#ASMSTART
	v_dot2_f32_f16 v60, v79, v95, v60
	;;#ASMEND
	;;#ASMSTART
	v_dot2_f32_f16 v60, v80, v96, v60
	;;#ASMEND
	;; [unrolled: 3-line block ×9, first 2 shown]
	v_mov_b32_e32 v61, 0
	;;#ASMSTART
	v_dot2_f32_f16 v74, v100, v88, v74
	;;#ASMEND
	;;#ASMSTART
	v_dot2_f32_f16 v70, v97, v89, v70
	;;#ASMEND
	;;#ASMSTART
	v_dot2_f32_f16 v70, v98, v90, v70
	;;#ASMEND
	;;#ASMSTART
	v_dot2_f32_f16 v70, v99, v91, v70
	;;#ASMEND
	;;#ASMSTART
	v_dot2_f32_f16 v70, v100, v92, v70
	;;#ASMEND
	;;#ASMSTART
	v_dot2_f32_f16 v61, v97, v93, v61
	;;#ASMEND
	;;#ASMSTART
	v_dot2_f32_f16 v61, v98, v94, v61
	;;#ASMEND
	v_dual_mov_b32 v66, 0 :: v_dual_mov_b32 v75, 0
	;;#ASMSTART
	v_dot2_f32_f16 v61, v99, v95, v61
	;;#ASMEND
	;;#ASMSTART
	v_dot2_f32_f16 v61, v100, v96, v61
	;;#ASMEND
	s_waitcnt lgkmcnt(1)
	;;#ASMSTART
	v_dot2_f32_f16 v66, v101, v81, v66
	;;#ASMEND
	;;#ASMSTART
	v_dot2_f32_f16 v66, v102, v82, v66
	;;#ASMEND
	;; [unrolled: 3-line block ×7, first 2 shown]
	v_mov_b32_e32 v62, 0
	;;#ASMSTART
	v_dot2_f32_f16 v75, v104, v88, v75
	;;#ASMEND
	;;#ASMSTART
	v_dot2_f32_f16 v71, v101, v89, v71
	;;#ASMEND
	;; [unrolled: 3-line block ×7, first 2 shown]
	v_dual_mov_b32 v67, 0 :: v_dual_mov_b32 v76, 0
	;;#ASMSTART
	v_dot2_f32_f16 v62, v103, v95, v62
	;;#ASMEND
	;;#ASMSTART
	v_dot2_f32_f16 v62, v104, v96, v62
	;;#ASMEND
	s_waitcnt lgkmcnt(0)
	;;#ASMSTART
	v_dot2_f32_f16 v67, v105, v81, v67
	;;#ASMEND
	;;#ASMSTART
	v_dot2_f32_f16 v67, v106, v82, v67
	;;#ASMEND
	;;#ASMSTART
	v_dot2_f32_f16 v67, v107, v83, v67
	;;#ASMEND
	;;#ASMSTART
	v_dot2_f32_f16 v67, v108, v84, v67
	;;#ASMEND
	;;#ASMSTART
	v_dot2_f32_f16 v76, v105, v85, v76
	;;#ASMEND
	;;#ASMSTART
	v_dot2_f32_f16 v76, v106, v86, v76
	;;#ASMEND
	;;#ASMSTART
	v_dot2_f32_f16 v76, v107, v87, v76
	;;#ASMEND
	;;#ASMSTART
	v_dot2_f32_f16 v76, v108, v88, v76
	;;#ASMEND
	;;#ASMSTART
	v_dot2_f32_f16 v72, v105, v89, v72
	;;#ASMEND
	;;#ASMSTART
	v_dot2_f32_f16 v72, v106, v90, v72
	;;#ASMEND
	;;#ASMSTART
	v_dot2_f32_f16 v72, v107, v91, v72
	;;#ASMEND
	;;#ASMSTART
	v_dot2_f32_f16 v72, v108, v92, v72
	;;#ASMEND
	;;#ASMSTART
	v_dot2_f32_f16 v63, v105, v93, v63
	;;#ASMEND
	;;#ASMSTART
	v_dot2_f32_f16 v63, v106, v94, v63
	;;#ASMEND
	;;#ASMSTART
	v_dot2_f32_f16 v63, v107, v95, v63
	;;#ASMEND
	;;#ASMSTART
	v_dot2_f32_f16 v63, v108, v96, v63
	;;#ASMEND
	ds_load_b128 v[77:80], v38 offset:16
	ds_load_b128 v[81:84], v39 offset:16
	;; [unrolled: 1-line block ×8, first 2 shown]
	s_waitcnt lgkmcnt(6)
	;;#ASMSTART
	v_dot2_f32_f16 v64, v77, v81, v64
	;;#ASMEND
	;;#ASMSTART
	v_dot2_f32_f16 v64, v78, v82, v64
	;;#ASMEND
	;;#ASMSTART
	v_dot2_f32_f16 v64, v79, v83, v64
	;;#ASMEND
	;;#ASMSTART
	v_dot2_f32_f16 v64, v80, v84, v64
	;;#ASMEND
	s_waitcnt lgkmcnt(5)
	;;#ASMSTART
	v_dot2_f32_f16 v73, v77, v85, v73
	;;#ASMEND
	;;#ASMSTART
	v_dot2_f32_f16 v73, v78, v86, v73
	;;#ASMEND
	;;#ASMSTART
	v_dot2_f32_f16 v73, v79, v87, v73
	;;#ASMEND
	;;#ASMSTART
	v_dot2_f32_f16 v73, v80, v88, v73
	;;#ASMEND
	;; [unrolled: 13-line block ×5, first 2 shown]
	;;#ASMSTART
	v_dot2_f32_f16 v74, v97, v85, v74
	;;#ASMEND
	;;#ASMSTART
	v_dot2_f32_f16 v74, v98, v86, v74
	;;#ASMEND
	;; [unrolled: 3-line block ×12, first 2 shown]
	s_waitcnt lgkmcnt(1)
	;;#ASMSTART
	v_dot2_f32_f16 v66, v101, v81, v66
	;;#ASMEND
	;;#ASMSTART
	v_dot2_f32_f16 v66, v102, v82, v66
	;;#ASMEND
	;; [unrolled: 3-line block ×16, first 2 shown]
	s_waitcnt lgkmcnt(0)
	;;#ASMSTART
	v_dot2_f32_f16 v67, v105, v81, v67
	;;#ASMEND
	;;#ASMSTART
	v_dot2_f32_f16 v67, v106, v82, v67
	;;#ASMEND
	;; [unrolled: 3-line block ×16, first 2 shown]
	ds_load_b128 v[77:80], v38 offset:32
	ds_load_b128 v[81:84], v39 offset:32
	;; [unrolled: 1-line block ×8, first 2 shown]
	s_waitcnt lgkmcnt(6)
	;;#ASMSTART
	v_dot2_f32_f16 v64, v77, v81, v64
	;;#ASMEND
	;;#ASMSTART
	v_dot2_f32_f16 v64, v78, v82, v64
	;;#ASMEND
	;;#ASMSTART
	v_dot2_f32_f16 v64, v79, v83, v64
	;;#ASMEND
	;;#ASMSTART
	v_dot2_f32_f16 v64, v80, v84, v64
	;;#ASMEND
	s_waitcnt lgkmcnt(5)
	;;#ASMSTART
	v_dot2_f32_f16 v73, v77, v85, v73
	;;#ASMEND
	;;#ASMSTART
	v_dot2_f32_f16 v73, v78, v86, v73
	;;#ASMEND
	;;#ASMSTART
	v_dot2_f32_f16 v73, v79, v87, v73
	;;#ASMEND
	;;#ASMSTART
	v_dot2_f32_f16 v73, v80, v88, v73
	;;#ASMEND
	;; [unrolled: 13-line block ×5, first 2 shown]
	;;#ASMSTART
	v_dot2_f32_f16 v74, v97, v85, v74
	;;#ASMEND
	;;#ASMSTART
	v_dot2_f32_f16 v74, v98, v86, v74
	;;#ASMEND
	;; [unrolled: 3-line block ×12, first 2 shown]
	s_waitcnt lgkmcnt(1)
	;;#ASMSTART
	v_dot2_f32_f16 v66, v101, v81, v66
	;;#ASMEND
	;;#ASMSTART
	v_dot2_f32_f16 v66, v102, v82, v66
	;;#ASMEND
	;; [unrolled: 3-line block ×16, first 2 shown]
	s_waitcnt lgkmcnt(0)
	;;#ASMSTART
	v_dot2_f32_f16 v67, v105, v81, v67
	;;#ASMEND
	;;#ASMSTART
	v_dot2_f32_f16 v67, v106, v82, v67
	;;#ASMEND
	;;#ASMSTART
	v_dot2_f32_f16 v67, v107, v83, v67
	;;#ASMEND
	;;#ASMSTART
	v_dot2_f32_f16 v67, v108, v84, v67
	;;#ASMEND
	;;#ASMSTART
	v_dot2_f32_f16 v76, v105, v85, v76
	;;#ASMEND
	;;#ASMSTART
	v_dot2_f32_f16 v76, v106, v86, v76
	;;#ASMEND
	;;#ASMSTART
	v_dot2_f32_f16 v76, v107, v87, v76
	;;#ASMEND
	;;#ASMSTART
	v_dot2_f32_f16 v76, v108, v88, v76
	;;#ASMEND
	;;#ASMSTART
	v_dot2_f32_f16 v72, v105, v89, v72
	;;#ASMEND
	;;#ASMSTART
	v_dot2_f32_f16 v72, v106, v90, v72
	;;#ASMEND
	;;#ASMSTART
	v_dot2_f32_f16 v72, v107, v91, v72
	;;#ASMEND
	;;#ASMSTART
	v_dot2_f32_f16 v72, v108, v92, v72
	;;#ASMEND
	;;#ASMSTART
	v_dot2_f32_f16 v63, v105, v93, v63
	;;#ASMEND
	;;#ASMSTART
	v_dot2_f32_f16 v63, v106, v94, v63
	;;#ASMEND
	;;#ASMSTART
	v_dot2_f32_f16 v63, v107, v95, v63
	;;#ASMEND
	;;#ASMSTART
	v_dot2_f32_f16 v63, v108, v96, v63
	;;#ASMEND
	ds_load_b128 v[77:80], v38 offset:48
	ds_load_b128 v[81:84], v39 offset:48
	;; [unrolled: 1-line block ×8, first 2 shown]
	s_waitcnt lgkmcnt(6)
	;;#ASMSTART
	v_dot2_f32_f16 v64, v77, v81, v64
	;;#ASMEND
	;;#ASMSTART
	v_dot2_f32_f16 v64, v78, v82, v64
	;;#ASMEND
	;;#ASMSTART
	v_dot2_f32_f16 v64, v79, v83, v64
	;;#ASMEND
	;;#ASMSTART
	v_dot2_f32_f16 v64, v80, v84, v64
	;;#ASMEND
	s_waitcnt lgkmcnt(5)
	;;#ASMSTART
	v_dot2_f32_f16 v73, v77, v85, v73
	;;#ASMEND
	;;#ASMSTART
	v_dot2_f32_f16 v73, v78, v86, v73
	;;#ASMEND
	;;#ASMSTART
	v_dot2_f32_f16 v73, v79, v87, v73
	;;#ASMEND
	;;#ASMSTART
	v_dot2_f32_f16 v73, v80, v88, v73
	;;#ASMEND
	;; [unrolled: 13-line block ×5, first 2 shown]
	;;#ASMSTART
	v_dot2_f32_f16 v74, v97, v85, v74
	;;#ASMEND
	;;#ASMSTART
	v_dot2_f32_f16 v74, v98, v86, v74
	;;#ASMEND
	;; [unrolled: 3-line block ×12, first 2 shown]
	s_waitcnt lgkmcnt(1)
	;;#ASMSTART
	v_dot2_f32_f16 v66, v101, v81, v66
	;;#ASMEND
	;;#ASMSTART
	v_dot2_f32_f16 v66, v102, v82, v66
	;;#ASMEND
	;; [unrolled: 3-line block ×16, first 2 shown]
	s_waitcnt lgkmcnt(0)
	;;#ASMSTART
	v_dot2_f32_f16 v67, v105, v81, v67
	;;#ASMEND
	;;#ASMSTART
	v_dot2_f32_f16 v67, v106, v82, v67
	;;#ASMEND
	;; [unrolled: 3-line block ×16, first 2 shown]
	ds_load_b128 v[77:80], v38 offset:64
	ds_load_b128 v[81:84], v39 offset:64
	;; [unrolled: 1-line block ×8, first 2 shown]
	s_waitcnt lgkmcnt(6)
	;;#ASMSTART
	v_dot2_f32_f16 v64, v77, v81, v64
	;;#ASMEND
	;;#ASMSTART
	v_dot2_f32_f16 v64, v78, v82, v64
	;;#ASMEND
	;;#ASMSTART
	v_dot2_f32_f16 v64, v79, v83, v64
	;;#ASMEND
	;;#ASMSTART
	v_dot2_f32_f16 v64, v80, v84, v64
	;;#ASMEND
	s_waitcnt lgkmcnt(5)
	;;#ASMSTART
	v_dot2_f32_f16 v73, v77, v85, v73
	;;#ASMEND
	;;#ASMSTART
	v_dot2_f32_f16 v73, v78, v86, v73
	;;#ASMEND
	;;#ASMSTART
	v_dot2_f32_f16 v73, v79, v87, v73
	;;#ASMEND
	;;#ASMSTART
	v_dot2_f32_f16 v73, v80, v88, v73
	;;#ASMEND
	s_waitcnt lgkmcnt(4)
	;;#ASMSTART
	v_dot2_f32_f16 v69, v77, v89, v69
	;;#ASMEND
	;;#ASMSTART
	v_dot2_f32_f16 v69, v78, v90, v69
	;;#ASMEND
	;;#ASMSTART
	v_dot2_f32_f16 v69, v79, v91, v69
	;;#ASMEND
	;;#ASMSTART
	v_dot2_f32_f16 v69, v80, v92, v69
	;;#ASMEND
	s_waitcnt lgkmcnt(3)
	;;#ASMSTART
	v_dot2_f32_f16 v60, v77, v93, v60
	;;#ASMEND
	;;#ASMSTART
	v_dot2_f32_f16 v60, v78, v94, v60
	;;#ASMEND
	;;#ASMSTART
	v_dot2_f32_f16 v60, v79, v95, v60
	;;#ASMEND
	;;#ASMSTART
	v_dot2_f32_f16 v60, v80, v96, v60
	;;#ASMEND
	s_waitcnt lgkmcnt(2)
	;;#ASMSTART
	v_dot2_f32_f16 v65, v97, v81, v65
	;;#ASMEND
	;;#ASMSTART
	v_dot2_f32_f16 v65, v98, v82, v65
	;;#ASMEND
	;;#ASMSTART
	v_dot2_f32_f16 v65, v99, v83, v65
	;;#ASMEND
	;;#ASMSTART
	v_dot2_f32_f16 v65, v100, v84, v65
	;;#ASMEND
	;;#ASMSTART
	v_dot2_f32_f16 v74, v97, v85, v74
	;;#ASMEND
	;;#ASMSTART
	v_dot2_f32_f16 v74, v98, v86, v74
	;;#ASMEND
	;; [unrolled: 3-line block ×12, first 2 shown]
	s_waitcnt lgkmcnt(1)
	;;#ASMSTART
	v_dot2_f32_f16 v66, v101, v81, v66
	;;#ASMEND
	;;#ASMSTART
	v_dot2_f32_f16 v66, v102, v82, v66
	;;#ASMEND
	;; [unrolled: 3-line block ×16, first 2 shown]
	s_waitcnt lgkmcnt(0)
	;;#ASMSTART
	v_dot2_f32_f16 v67, v105, v81, v67
	;;#ASMEND
	;;#ASMSTART
	v_dot2_f32_f16 v67, v106, v82, v67
	;;#ASMEND
	;;#ASMSTART
	v_dot2_f32_f16 v67, v107, v83, v67
	;;#ASMEND
	;;#ASMSTART
	v_dot2_f32_f16 v67, v108, v84, v67
	;;#ASMEND
	;;#ASMSTART
	v_dot2_f32_f16 v76, v105, v85, v76
	;;#ASMEND
	;;#ASMSTART
	v_dot2_f32_f16 v76, v106, v86, v76
	;;#ASMEND
	;;#ASMSTART
	v_dot2_f32_f16 v76, v107, v87, v76
	;;#ASMEND
	;;#ASMSTART
	v_dot2_f32_f16 v76, v108, v88, v76
	;;#ASMEND
	;;#ASMSTART
	v_dot2_f32_f16 v72, v105, v89, v72
	;;#ASMEND
	;;#ASMSTART
	v_dot2_f32_f16 v72, v106, v90, v72
	;;#ASMEND
	;;#ASMSTART
	v_dot2_f32_f16 v72, v107, v91, v72
	;;#ASMEND
	;;#ASMSTART
	v_dot2_f32_f16 v72, v108, v92, v72
	;;#ASMEND
	;;#ASMSTART
	v_dot2_f32_f16 v63, v105, v93, v63
	;;#ASMEND
	;;#ASMSTART
	v_dot2_f32_f16 v63, v106, v94, v63
	;;#ASMEND
	;;#ASMSTART
	v_dot2_f32_f16 v63, v107, v95, v63
	;;#ASMEND
	;;#ASMSTART
	v_dot2_f32_f16 v63, v108, v96, v63
	;;#ASMEND
	ds_load_b128 v[77:80], v38 offset:80
	ds_load_b128 v[81:84], v39 offset:80
	;; [unrolled: 1-line block ×8, first 2 shown]
	s_waitcnt lgkmcnt(6)
	;;#ASMSTART
	v_dot2_f32_f16 v64, v77, v81, v64
	;;#ASMEND
	;;#ASMSTART
	v_dot2_f32_f16 v64, v78, v82, v64
	;;#ASMEND
	;;#ASMSTART
	v_dot2_f32_f16 v64, v79, v83, v64
	;;#ASMEND
	;;#ASMSTART
	v_dot2_f32_f16 v64, v80, v84, v64
	;;#ASMEND
	s_waitcnt lgkmcnt(5)
	;;#ASMSTART
	v_dot2_f32_f16 v73, v77, v85, v73
	;;#ASMEND
	;;#ASMSTART
	v_dot2_f32_f16 v73, v78, v86, v73
	;;#ASMEND
	;;#ASMSTART
	v_dot2_f32_f16 v73, v79, v87, v73
	;;#ASMEND
	;;#ASMSTART
	v_dot2_f32_f16 v73, v80, v88, v73
	;;#ASMEND
	;; [unrolled: 13-line block ×5, first 2 shown]
	;;#ASMSTART
	v_dot2_f32_f16 v74, v97, v85, v74
	;;#ASMEND
	;;#ASMSTART
	v_dot2_f32_f16 v74, v98, v86, v74
	;;#ASMEND
	;; [unrolled: 3-line block ×12, first 2 shown]
	s_waitcnt lgkmcnt(1)
	;;#ASMSTART
	v_dot2_f32_f16 v66, v101, v81, v66
	;;#ASMEND
	;;#ASMSTART
	v_dot2_f32_f16 v66, v102, v82, v66
	;;#ASMEND
	;; [unrolled: 3-line block ×16, first 2 shown]
	s_waitcnt lgkmcnt(0)
	;;#ASMSTART
	v_dot2_f32_f16 v67, v105, v81, v67
	;;#ASMEND
	;;#ASMSTART
	v_dot2_f32_f16 v67, v106, v82, v67
	;;#ASMEND
	;; [unrolled: 3-line block ×16, first 2 shown]
	ds_load_b128 v[77:80], v38 offset:96
	ds_load_b128 v[81:84], v39 offset:96
	ds_load_b128 v[85:88], v39 offset:352
	ds_load_b128 v[89:92], v39 offset:608
	ds_load_b128 v[93:96], v39 offset:864
	ds_load_b128 v[97:100], v38 offset:4704
	ds_load_b128 v[101:104], v38 offset:9312
	ds_load_b128 v[105:108], v38 offset:13920
	s_waitcnt lgkmcnt(6)
	;;#ASMSTART
	v_dot2_f32_f16 v64, v77, v81, v64
	;;#ASMEND
	;;#ASMSTART
	v_dot2_f32_f16 v64, v78, v82, v64
	;;#ASMEND
	;;#ASMSTART
	v_dot2_f32_f16 v64, v79, v83, v64
	;;#ASMEND
	;;#ASMSTART
	v_dot2_f32_f16 v64, v80, v84, v64
	;;#ASMEND
	s_waitcnt lgkmcnt(5)
	;;#ASMSTART
	v_dot2_f32_f16 v73, v77, v85, v73
	;;#ASMEND
	;;#ASMSTART
	v_dot2_f32_f16 v73, v78, v86, v73
	;;#ASMEND
	;;#ASMSTART
	v_dot2_f32_f16 v73, v79, v87, v73
	;;#ASMEND
	;;#ASMSTART
	v_dot2_f32_f16 v73, v80, v88, v73
	;;#ASMEND
	;; [unrolled: 13-line block ×5, first 2 shown]
	;;#ASMSTART
	v_dot2_f32_f16 v74, v97, v85, v74
	;;#ASMEND
	;;#ASMSTART
	v_dot2_f32_f16 v74, v98, v86, v74
	;;#ASMEND
	;; [unrolled: 3-line block ×12, first 2 shown]
	s_waitcnt lgkmcnt(1)
	;;#ASMSTART
	v_dot2_f32_f16 v66, v101, v81, v66
	;;#ASMEND
	;;#ASMSTART
	v_dot2_f32_f16 v66, v102, v82, v66
	;;#ASMEND
	;; [unrolled: 3-line block ×16, first 2 shown]
	s_waitcnt lgkmcnt(0)
	;;#ASMSTART
	v_dot2_f32_f16 v67, v105, v81, v67
	;;#ASMEND
	;;#ASMSTART
	v_dot2_f32_f16 v67, v106, v82, v67
	;;#ASMEND
	;; [unrolled: 3-line block ×16, first 2 shown]
	ds_load_b128 v[77:80], v38 offset:112
	ds_load_b128 v[81:84], v39 offset:112
	;; [unrolled: 1-line block ×8, first 2 shown]
	s_waitcnt lgkmcnt(6)
	;;#ASMSTART
	v_dot2_f32_f16 v64, v77, v81, v64
	;;#ASMEND
	;;#ASMSTART
	v_dot2_f32_f16 v64, v78, v82, v64
	;;#ASMEND
	;;#ASMSTART
	v_dot2_f32_f16 v64, v79, v83, v64
	;;#ASMEND
	;;#ASMSTART
	v_dot2_f32_f16 v64, v80, v84, v64
	;;#ASMEND
	s_waitcnt lgkmcnt(5)
	;;#ASMSTART
	v_dot2_f32_f16 v73, v77, v85, v73
	;;#ASMEND
	;;#ASMSTART
	v_dot2_f32_f16 v73, v78, v86, v73
	;;#ASMEND
	;;#ASMSTART
	v_dot2_f32_f16 v73, v79, v87, v73
	;;#ASMEND
	;;#ASMSTART
	v_dot2_f32_f16 v73, v80, v88, v73
	;;#ASMEND
	s_waitcnt lgkmcnt(4)
	;;#ASMSTART
	v_dot2_f32_f16 v69, v77, v89, v69
	;;#ASMEND
	;;#ASMSTART
	v_dot2_f32_f16 v69, v78, v90, v69
	;;#ASMEND
	;;#ASMSTART
	v_dot2_f32_f16 v69, v79, v91, v69
	;;#ASMEND
	;;#ASMSTART
	v_dot2_f32_f16 v69, v80, v92, v69
	;;#ASMEND
	s_waitcnt lgkmcnt(3)
	;;#ASMSTART
	v_dot2_f32_f16 v60, v77, v93, v60
	;;#ASMEND
	;;#ASMSTART
	v_dot2_f32_f16 v60, v78, v94, v60
	;;#ASMEND
	;;#ASMSTART
	v_dot2_f32_f16 v60, v79, v95, v60
	;;#ASMEND
	;;#ASMSTART
	v_dot2_f32_f16 v60, v80, v96, v60
	;;#ASMEND
	s_waitcnt lgkmcnt(2)
	;;#ASMSTART
	v_dot2_f32_f16 v65, v97, v81, v65
	;;#ASMEND
	;;#ASMSTART
	v_dot2_f32_f16 v65, v98, v82, v65
	;;#ASMEND
	;;#ASMSTART
	v_dot2_f32_f16 v65, v99, v83, v65
	;;#ASMEND
	;;#ASMSTART
	v_dot2_f32_f16 v65, v100, v84, v65
	;;#ASMEND
	;;#ASMSTART
	v_dot2_f32_f16 v74, v97, v85, v74
	;;#ASMEND
	;;#ASMSTART
	v_dot2_f32_f16 v74, v98, v86, v74
	;;#ASMEND
	;; [unrolled: 3-line block ×12, first 2 shown]
	s_waitcnt lgkmcnt(1)
	;;#ASMSTART
	v_dot2_f32_f16 v66, v101, v81, v66
	;;#ASMEND
	;;#ASMSTART
	v_dot2_f32_f16 v66, v102, v82, v66
	;;#ASMEND
	;; [unrolled: 3-line block ×16, first 2 shown]
	s_waitcnt lgkmcnt(0)
	;;#ASMSTART
	v_dot2_f32_f16 v67, v105, v81, v67
	;;#ASMEND
	;;#ASMSTART
	v_dot2_f32_f16 v67, v106, v82, v67
	;;#ASMEND
	;; [unrolled: 3-line block ×16, first 2 shown]
	s_barrier
	buffer_gl0_inv
	s_clause 0x3
	global_load_b128 v[77:80], v[0:1], off offset:128
	global_load_b128 v[0:3], v[2:3], off offset:128
	;; [unrolled: 1-line block ×4, first 2 shown]
	s_waitcnt vmcnt(3)
	ds_store_b128 v34, v[77:80]
	s_waitcnt vmcnt(2)
	ds_store_b128 v35, v[0:3]
	;; [unrolled: 2-line block ×4, first 2 shown]
	s_waitcnt lgkmcnt(0)
	s_barrier
	buffer_gl0_inv
	ds_load_b128 v[0:3], v38
	ds_load_b128 v[4:7], v39 offset:128
	ds_load_b128 v[77:80], v39 offset:384
	;; [unrolled: 1-line block ×7, first 2 shown]
	s_waitcnt lgkmcnt(6)
	;;#ASMSTART
	v_dot2_f32_f16 v64, v0, v4, v64
	;;#ASMEND
	;;#ASMSTART
	v_dot2_f32_f16 v64, v1, v5, v64
	;;#ASMEND
	;;#ASMSTART
	v_dot2_f32_f16 v64, v2, v6, v64
	;;#ASMEND
	;;#ASMSTART
	v_dot2_f32_f16 v64, v3, v7, v64
	;;#ASMEND
	s_waitcnt lgkmcnt(5)
	;;#ASMSTART
	v_dot2_f32_f16 v73, v0, v77, v73
	;;#ASMEND
	;;#ASMSTART
	v_dot2_f32_f16 v73, v1, v78, v73
	;;#ASMEND
	;;#ASMSTART
	v_dot2_f32_f16 v73, v2, v79, v73
	;;#ASMEND
	;;#ASMSTART
	v_dot2_f32_f16 v73, v3, v80, v73
	;;#ASMEND
	;; [unrolled: 13-line block ×5, first 2 shown]
	;;#ASMSTART
	v_dot2_f32_f16 v74, v89, v77, v74
	;;#ASMEND
	;;#ASMSTART
	v_dot2_f32_f16 v74, v90, v78, v74
	;;#ASMEND
	;; [unrolled: 3-line block ×12, first 2 shown]
	s_waitcnt lgkmcnt(1)
	;;#ASMSTART
	v_dot2_f32_f16 v66, v93, v4, v66
	;;#ASMEND
	;;#ASMSTART
	v_dot2_f32_f16 v66, v94, v5, v66
	;;#ASMEND
	;; [unrolled: 3-line block ×16, first 2 shown]
	s_waitcnt lgkmcnt(0)
	;;#ASMSTART
	v_dot2_f32_f16 v67, v97, v4, v67
	;;#ASMEND
	;;#ASMSTART
	v_dot2_f32_f16 v67, v98, v5, v67
	;;#ASMEND
	;; [unrolled: 3-line block ×16, first 2 shown]
	ds_load_b128 v[0:3], v38 offset:16
	ds_load_b128 v[4:7], v39 offset:144
	;; [unrolled: 1-line block ×8, first 2 shown]
	s_waitcnt lgkmcnt(6)
	;;#ASMSTART
	v_dot2_f32_f16 v64, v0, v4, v64
	;;#ASMEND
	;;#ASMSTART
	v_dot2_f32_f16 v64, v1, v5, v64
	;;#ASMEND
	;;#ASMSTART
	v_dot2_f32_f16 v64, v2, v6, v64
	;;#ASMEND
	;;#ASMSTART
	v_dot2_f32_f16 v64, v3, v7, v64
	;;#ASMEND
	s_waitcnt lgkmcnt(5)
	;;#ASMSTART
	v_dot2_f32_f16 v73, v0, v77, v73
	;;#ASMEND
	;;#ASMSTART
	v_dot2_f32_f16 v73, v1, v78, v73
	;;#ASMEND
	;;#ASMSTART
	v_dot2_f32_f16 v73, v2, v79, v73
	;;#ASMEND
	;;#ASMSTART
	v_dot2_f32_f16 v73, v3, v80, v73
	;;#ASMEND
	;; [unrolled: 13-line block ×5, first 2 shown]
	;;#ASMSTART
	v_dot2_f32_f16 v74, v89, v77, v74
	;;#ASMEND
	;;#ASMSTART
	v_dot2_f32_f16 v74, v90, v78, v74
	;;#ASMEND
	;; [unrolled: 3-line block ×12, first 2 shown]
	s_waitcnt lgkmcnt(1)
	;;#ASMSTART
	v_dot2_f32_f16 v66, v93, v4, v66
	;;#ASMEND
	;;#ASMSTART
	v_dot2_f32_f16 v66, v94, v5, v66
	;;#ASMEND
	;; [unrolled: 3-line block ×16, first 2 shown]
	s_waitcnt lgkmcnt(0)
	;;#ASMSTART
	v_dot2_f32_f16 v67, v97, v4, v67
	;;#ASMEND
	;;#ASMSTART
	v_dot2_f32_f16 v67, v98, v5, v67
	;;#ASMEND
	;; [unrolled: 3-line block ×16, first 2 shown]
	ds_load_b128 v[0:3], v38 offset:32
	ds_load_b128 v[4:7], v39 offset:160
	;; [unrolled: 1-line block ×8, first 2 shown]
	s_waitcnt lgkmcnt(6)
	;;#ASMSTART
	v_dot2_f32_f16 v64, v0, v4, v64
	;;#ASMEND
	;;#ASMSTART
	v_dot2_f32_f16 v64, v1, v5, v64
	;;#ASMEND
	;;#ASMSTART
	v_dot2_f32_f16 v64, v2, v6, v64
	;;#ASMEND
	;;#ASMSTART
	v_dot2_f32_f16 v64, v3, v7, v64
	;;#ASMEND
	s_waitcnt lgkmcnt(5)
	;;#ASMSTART
	v_dot2_f32_f16 v73, v0, v77, v73
	;;#ASMEND
	;;#ASMSTART
	v_dot2_f32_f16 v73, v1, v78, v73
	;;#ASMEND
	;;#ASMSTART
	v_dot2_f32_f16 v73, v2, v79, v73
	;;#ASMEND
	;;#ASMSTART
	v_dot2_f32_f16 v73, v3, v80, v73
	;;#ASMEND
	s_waitcnt lgkmcnt(4)
	;;#ASMSTART
	v_dot2_f32_f16 v69, v0, v81, v69
	;;#ASMEND
	;;#ASMSTART
	v_dot2_f32_f16 v69, v1, v82, v69
	;;#ASMEND
	;;#ASMSTART
	v_dot2_f32_f16 v69, v2, v83, v69
	;;#ASMEND
	;;#ASMSTART
	v_dot2_f32_f16 v69, v3, v84, v69
	;;#ASMEND
	s_waitcnt lgkmcnt(3)
	;;#ASMSTART
	v_dot2_f32_f16 v60, v0, v85, v60
	;;#ASMEND
	;;#ASMSTART
	v_dot2_f32_f16 v60, v1, v86, v60
	;;#ASMEND
	;;#ASMSTART
	v_dot2_f32_f16 v60, v2, v87, v60
	;;#ASMEND
	;;#ASMSTART
	v_dot2_f32_f16 v60, v3, v88, v60
	;;#ASMEND
	s_waitcnt lgkmcnt(2)
	;;#ASMSTART
	v_dot2_f32_f16 v65, v89, v4, v65
	;;#ASMEND
	;;#ASMSTART
	v_dot2_f32_f16 v65, v90, v5, v65
	;;#ASMEND
	;;#ASMSTART
	v_dot2_f32_f16 v65, v91, v6, v65
	;;#ASMEND
	;;#ASMSTART
	v_dot2_f32_f16 v65, v92, v7, v65
	;;#ASMEND
	;;#ASMSTART
	v_dot2_f32_f16 v74, v89, v77, v74
	;;#ASMEND
	;;#ASMSTART
	v_dot2_f32_f16 v74, v90, v78, v74
	;;#ASMEND
	;; [unrolled: 3-line block ×12, first 2 shown]
	s_waitcnt lgkmcnt(1)
	;;#ASMSTART
	v_dot2_f32_f16 v66, v93, v4, v66
	;;#ASMEND
	;;#ASMSTART
	v_dot2_f32_f16 v66, v94, v5, v66
	;;#ASMEND
	;; [unrolled: 3-line block ×16, first 2 shown]
	s_waitcnt lgkmcnt(0)
	;;#ASMSTART
	v_dot2_f32_f16 v67, v97, v4, v67
	;;#ASMEND
	;;#ASMSTART
	v_dot2_f32_f16 v67, v98, v5, v67
	;;#ASMEND
	;; [unrolled: 3-line block ×16, first 2 shown]
	ds_load_b128 v[0:3], v38 offset:48
	ds_load_b128 v[4:7], v39 offset:176
	;; [unrolled: 1-line block ×8, first 2 shown]
	s_waitcnt lgkmcnt(6)
	;;#ASMSTART
	v_dot2_f32_f16 v64, v0, v4, v64
	;;#ASMEND
	;;#ASMSTART
	v_dot2_f32_f16 v64, v1, v5, v64
	;;#ASMEND
	;;#ASMSTART
	v_dot2_f32_f16 v64, v2, v6, v64
	;;#ASMEND
	;;#ASMSTART
	v_dot2_f32_f16 v64, v3, v7, v64
	;;#ASMEND
	s_waitcnt lgkmcnt(5)
	;;#ASMSTART
	v_dot2_f32_f16 v73, v0, v77, v73
	;;#ASMEND
	;;#ASMSTART
	v_dot2_f32_f16 v73, v1, v78, v73
	;;#ASMEND
	;;#ASMSTART
	v_dot2_f32_f16 v73, v2, v79, v73
	;;#ASMEND
	;;#ASMSTART
	v_dot2_f32_f16 v73, v3, v80, v73
	;;#ASMEND
	;; [unrolled: 13-line block ×5, first 2 shown]
	;;#ASMSTART
	v_dot2_f32_f16 v74, v89, v77, v74
	;;#ASMEND
	;;#ASMSTART
	v_dot2_f32_f16 v74, v90, v78, v74
	;;#ASMEND
	;; [unrolled: 3-line block ×12, first 2 shown]
	s_waitcnt lgkmcnt(1)
	;;#ASMSTART
	v_dot2_f32_f16 v66, v93, v4, v66
	;;#ASMEND
	;;#ASMSTART
	v_dot2_f32_f16 v66, v94, v5, v66
	;;#ASMEND
	;; [unrolled: 3-line block ×16, first 2 shown]
	s_waitcnt lgkmcnt(0)
	;;#ASMSTART
	v_dot2_f32_f16 v67, v97, v4, v67
	;;#ASMEND
	;;#ASMSTART
	v_dot2_f32_f16 v67, v98, v5, v67
	;;#ASMEND
	;; [unrolled: 3-line block ×16, first 2 shown]
	ds_load_b128 v[0:3], v38 offset:64
	ds_load_b128 v[4:7], v39 offset:192
	;; [unrolled: 1-line block ×8, first 2 shown]
	s_waitcnt lgkmcnt(6)
	;;#ASMSTART
	v_dot2_f32_f16 v64, v0, v4, v64
	;;#ASMEND
	;;#ASMSTART
	v_dot2_f32_f16 v64, v1, v5, v64
	;;#ASMEND
	;;#ASMSTART
	v_dot2_f32_f16 v64, v2, v6, v64
	;;#ASMEND
	;;#ASMSTART
	v_dot2_f32_f16 v64, v3, v7, v64
	;;#ASMEND
	s_waitcnt lgkmcnt(5)
	;;#ASMSTART
	v_dot2_f32_f16 v73, v0, v77, v73
	;;#ASMEND
	;;#ASMSTART
	v_dot2_f32_f16 v73, v1, v78, v73
	;;#ASMEND
	;;#ASMSTART
	v_dot2_f32_f16 v73, v2, v79, v73
	;;#ASMEND
	;;#ASMSTART
	v_dot2_f32_f16 v73, v3, v80, v73
	;;#ASMEND
	;; [unrolled: 13-line block ×5, first 2 shown]
	;;#ASMSTART
	v_dot2_f32_f16 v74, v89, v77, v74
	;;#ASMEND
	;;#ASMSTART
	v_dot2_f32_f16 v74, v90, v78, v74
	;;#ASMEND
	;; [unrolled: 3-line block ×12, first 2 shown]
	s_waitcnt lgkmcnt(1)
	;;#ASMSTART
	v_dot2_f32_f16 v66, v93, v4, v66
	;;#ASMEND
	;;#ASMSTART
	v_dot2_f32_f16 v66, v94, v5, v66
	;;#ASMEND
	;; [unrolled: 3-line block ×16, first 2 shown]
	s_waitcnt lgkmcnt(0)
	;;#ASMSTART
	v_dot2_f32_f16 v67, v97, v4, v67
	;;#ASMEND
	;;#ASMSTART
	v_dot2_f32_f16 v67, v98, v5, v67
	;;#ASMEND
	;; [unrolled: 3-line block ×16, first 2 shown]
	ds_load_b128 v[0:3], v38 offset:80
	ds_load_b128 v[4:7], v39 offset:208
	;; [unrolled: 1-line block ×8, first 2 shown]
	s_waitcnt lgkmcnt(6)
	;;#ASMSTART
	v_dot2_f32_f16 v64, v0, v4, v64
	;;#ASMEND
	;;#ASMSTART
	v_dot2_f32_f16 v64, v1, v5, v64
	;;#ASMEND
	;;#ASMSTART
	v_dot2_f32_f16 v64, v2, v6, v64
	;;#ASMEND
	;;#ASMSTART
	v_dot2_f32_f16 v64, v3, v7, v64
	;;#ASMEND
	s_waitcnt lgkmcnt(5)
	;;#ASMSTART
	v_dot2_f32_f16 v73, v0, v77, v73
	;;#ASMEND
	;;#ASMSTART
	v_dot2_f32_f16 v73, v1, v78, v73
	;;#ASMEND
	;;#ASMSTART
	v_dot2_f32_f16 v73, v2, v79, v73
	;;#ASMEND
	;;#ASMSTART
	v_dot2_f32_f16 v73, v3, v80, v73
	;;#ASMEND
	;; [unrolled: 13-line block ×5, first 2 shown]
	;;#ASMSTART
	v_dot2_f32_f16 v74, v89, v77, v74
	;;#ASMEND
	;;#ASMSTART
	v_dot2_f32_f16 v74, v90, v78, v74
	;;#ASMEND
	;; [unrolled: 3-line block ×12, first 2 shown]
	s_waitcnt lgkmcnt(1)
	;;#ASMSTART
	v_dot2_f32_f16 v66, v93, v4, v66
	;;#ASMEND
	;;#ASMSTART
	v_dot2_f32_f16 v66, v94, v5, v66
	;;#ASMEND
	;; [unrolled: 3-line block ×16, first 2 shown]
	s_waitcnt lgkmcnt(0)
	;;#ASMSTART
	v_dot2_f32_f16 v67, v97, v4, v67
	;;#ASMEND
	;;#ASMSTART
	v_dot2_f32_f16 v67, v98, v5, v67
	;;#ASMEND
	;;#ASMSTART
	v_dot2_f32_f16 v67, v99, v6, v67
	;;#ASMEND
	;;#ASMSTART
	v_dot2_f32_f16 v67, v100, v7, v67
	;;#ASMEND
	;;#ASMSTART
	v_dot2_f32_f16 v76, v97, v77, v76
	;;#ASMEND
	;;#ASMSTART
	v_dot2_f32_f16 v76, v98, v78, v76
	;;#ASMEND
	;;#ASMSTART
	v_dot2_f32_f16 v76, v99, v79, v76
	;;#ASMEND
	;;#ASMSTART
	v_dot2_f32_f16 v76, v100, v80, v76
	;;#ASMEND
	;;#ASMSTART
	v_dot2_f32_f16 v72, v97, v81, v72
	;;#ASMEND
	;;#ASMSTART
	v_dot2_f32_f16 v72, v98, v82, v72
	;;#ASMEND
	;;#ASMSTART
	v_dot2_f32_f16 v72, v99, v83, v72
	;;#ASMEND
	;;#ASMSTART
	v_dot2_f32_f16 v72, v100, v84, v72
	;;#ASMEND
	;;#ASMSTART
	v_dot2_f32_f16 v63, v97, v85, v63
	;;#ASMEND
	;;#ASMSTART
	v_dot2_f32_f16 v63, v98, v86, v63
	;;#ASMEND
	;;#ASMSTART
	v_dot2_f32_f16 v63, v99, v87, v63
	;;#ASMEND
	;;#ASMSTART
	v_dot2_f32_f16 v63, v100, v88, v63
	;;#ASMEND
	ds_load_b128 v[0:3], v38 offset:96
	ds_load_b128 v[4:7], v39 offset:224
	;; [unrolled: 1-line block ×8, first 2 shown]
	s_waitcnt lgkmcnt(6)
	;;#ASMSTART
	v_dot2_f32_f16 v64, v0, v4, v64
	;;#ASMEND
	;;#ASMSTART
	v_dot2_f32_f16 v64, v1, v5, v64
	;;#ASMEND
	;;#ASMSTART
	v_dot2_f32_f16 v64, v2, v6, v64
	;;#ASMEND
	;;#ASMSTART
	v_dot2_f32_f16 v64, v3, v7, v64
	;;#ASMEND
	s_waitcnt lgkmcnt(5)
	;;#ASMSTART
	v_dot2_f32_f16 v73, v0, v77, v73
	;;#ASMEND
	;;#ASMSTART
	v_dot2_f32_f16 v73, v1, v78, v73
	;;#ASMEND
	;;#ASMSTART
	v_dot2_f32_f16 v73, v2, v79, v73
	;;#ASMEND
	;;#ASMSTART
	v_dot2_f32_f16 v73, v3, v80, v73
	;;#ASMEND
	;; [unrolled: 13-line block ×5, first 2 shown]
	;;#ASMSTART
	v_dot2_f32_f16 v74, v89, v77, v74
	;;#ASMEND
	;;#ASMSTART
	v_dot2_f32_f16 v74, v90, v78, v74
	;;#ASMEND
	;; [unrolled: 3-line block ×12, first 2 shown]
	s_waitcnt lgkmcnt(1)
	;;#ASMSTART
	v_dot2_f32_f16 v66, v93, v4, v66
	;;#ASMEND
	;;#ASMSTART
	v_dot2_f32_f16 v66, v94, v5, v66
	;;#ASMEND
	;; [unrolled: 3-line block ×16, first 2 shown]
	s_waitcnt lgkmcnt(0)
	;;#ASMSTART
	v_dot2_f32_f16 v67, v97, v4, v67
	;;#ASMEND
	;;#ASMSTART
	v_dot2_f32_f16 v67, v98, v5, v67
	;;#ASMEND
	;; [unrolled: 3-line block ×16, first 2 shown]
	ds_load_b128 v[0:3], v38 offset:112
	ds_load_b128 v[4:7], v39 offset:240
	;; [unrolled: 1-line block ×8, first 2 shown]
	s_waitcnt lgkmcnt(6)
	;;#ASMSTART
	v_dot2_f32_f16 v64, v0, v4, v64
	;;#ASMEND
	;;#ASMSTART
	v_dot2_f32_f16 v64, v1, v5, v64
	;;#ASMEND
	;;#ASMSTART
	v_dot2_f32_f16 v64, v2, v6, v64
	;;#ASMEND
	;;#ASMSTART
	v_dot2_f32_f16 v64, v3, v7, v64
	;;#ASMEND
	s_waitcnt lgkmcnt(5)
	;;#ASMSTART
	v_dot2_f32_f16 v73, v0, v77, v73
	;;#ASMEND
	;;#ASMSTART
	v_dot2_f32_f16 v73, v1, v78, v73
	;;#ASMEND
	;;#ASMSTART
	v_dot2_f32_f16 v73, v2, v79, v73
	;;#ASMEND
	;;#ASMSTART
	v_dot2_f32_f16 v73, v3, v80, v73
	;;#ASMEND
	;; [unrolled: 13-line block ×5, first 2 shown]
	;;#ASMSTART
	v_dot2_f32_f16 v74, v89, v77, v74
	;;#ASMEND
	;;#ASMSTART
	v_dot2_f32_f16 v74, v90, v78, v74
	;;#ASMEND
	;; [unrolled: 3-line block ×12, first 2 shown]
	s_waitcnt lgkmcnt(1)
	;;#ASMSTART
	v_dot2_f32_f16 v66, v93, v4, v66
	;;#ASMEND
	;;#ASMSTART
	v_dot2_f32_f16 v66, v94, v5, v66
	;;#ASMEND
	;; [unrolled: 3-line block ×16, first 2 shown]
	s_waitcnt lgkmcnt(0)
	;;#ASMSTART
	v_dot2_f32_f16 v67, v97, v4, v67
	;;#ASMEND
	;;#ASMSTART
	v_dot2_f32_f16 v67, v98, v5, v67
	;;#ASMEND
	;; [unrolled: 3-line block ×9, first 2 shown]
	v_cmp_ngt_f32_e64 s18, 0x3f200000, |v64|
	;;#ASMSTART
	v_dot2_f32_f16 v72, v98, v82, v72
	;;#ASMEND
	;;#ASMSTART
	v_dot2_f32_f16 v72, v99, v83, v72
	;;#ASMEND
	;; [unrolled: 3-line block ×7, first 2 shown]
                                        ; implicit-def: $vgpr2
	s_and_saveexec_b32 s19, s18
	s_delay_alu instid0(SALU_CYCLE_1)
	s_xor_b32 s18, exec_lo, s19
	s_cbranch_execz .LBB76_11
; %bb.10:                               ;   in Loop: Header=BB76_9 Depth=1
	v_add_f32_e64 v0, |v64|, |v64|
	s_delay_alu instid0(VALU_DEP_1) | instskip(SKIP_1) | instid1(VALU_DEP_2)
	v_mul_f32_e32 v1, 0x3fb8aa3b, v0
	v_cmp_ngt_f32_e32 vcc_lo, 0xc2ce8ed0, v0
	v_rndne_f32_e32 v2, v1
	v_fma_f32 v3, 0x3fb8aa3b, v0, -v1
	s_delay_alu instid0(VALU_DEP_2) | instskip(NEXT) | instid1(VALU_DEP_2)
	v_sub_f32_e32 v1, v1, v2
	v_fmac_f32_e32 v3, 0x32a5705f, v0
	v_cvt_i32_f32_e32 v2, v2
	s_delay_alu instid0(VALU_DEP_2) | instskip(NEXT) | instid1(VALU_DEP_1)
	v_add_f32_e32 v1, v1, v3
	v_exp_f32_e32 v1, v1
	s_waitcnt_depctr 0xfff
	v_ldexp_f32 v1, v1, v2
	s_delay_alu instid0(VALU_DEP_1) | instskip(SKIP_1) | instid1(VALU_DEP_2)
	v_cndmask_b32_e32 v1, 0, v1, vcc_lo
	v_cmp_nlt_f32_e32 vcc_lo, 0x42b17218, v0
	v_cndmask_b32_e32 v0, 0x7f800000, v1, vcc_lo
	s_delay_alu instid0(VALU_DEP_1) | instskip(NEXT) | instid1(VALU_DEP_1)
	v_add_f32_e32 v0, 1.0, v0
	v_rcp_f32_e32 v0, v0
	s_waitcnt_depctr 0xfff
	v_fma_f32 v2, v0, -2.0, 1.0
.LBB76_11:                              ;   in Loop: Header=BB76_9 Depth=1
	s_and_not1_saveexec_b32 s18, s18
; %bb.12:                               ;   in Loop: Header=BB76_9 Depth=1
	v_mul_f32_e32 v0, v64, v64
	s_delay_alu instid0(VALU_DEP_1) | instskip(NEXT) | instid1(VALU_DEP_1)
	v_fmaak_f32 v1, s17, v0, 0x3ca908c9
	v_fmaak_f32 v1, v0, v1, 0xbd5c1c4e
	s_delay_alu instid0(VALU_DEP_1) | instskip(NEXT) | instid1(VALU_DEP_1)
	v_fmaak_f32 v1, v0, v1, 0x3e088382
	v_fmaak_f32 v1, v0, v1, 0xbeaaaa99
	s_delay_alu instid0(VALU_DEP_1) | instskip(NEXT) | instid1(VALU_DEP_1)
	v_mul_f32_e64 v1, |v64|, v1
	v_fma_f32 v2, v0, v1, |v64|
; %bb.13:                               ;   in Loop: Header=BB76_9 Depth=1
	s_or_b32 exec_lo, exec_lo, s18
	v_add_nc_u32_e32 v0, s3, v14
	v_cmp_ngt_f32_e64 s18, 0x3f200000, |v65|
                                        ; implicit-def: $vgpr3
	s_delay_alu instid0(VALU_DEP_2) | instskip(NEXT) | instid1(VALU_DEP_1)
	v_ashrrev_i32_e32 v1, 31, v0
	v_lshlrev_b64 v[0:1], 1, v[0:1]
	s_delay_alu instid0(VALU_DEP_1) | instskip(NEXT) | instid1(VALU_DEP_2)
	v_add_co_u32 v0, vcc_lo, s36, v0
	v_add_co_ci_u32_e32 v1, vcc_lo, s37, v1, vcc_lo
	flat_load_u16 v4, v[0:1]
	s_and_saveexec_b32 s19, s18
	s_delay_alu instid0(SALU_CYCLE_1)
	s_xor_b32 s18, exec_lo, s19
	s_cbranch_execz .LBB76_15
; %bb.14:                               ;   in Loop: Header=BB76_9 Depth=1
	v_add_f32_e64 v3, |v65|, |v65|
	s_delay_alu instid0(VALU_DEP_1) | instskip(SKIP_1) | instid1(VALU_DEP_2)
	v_mul_f32_e32 v5, 0x3fb8aa3b, v3
	v_cmp_ngt_f32_e32 vcc_lo, 0xc2ce8ed0, v3
	v_rndne_f32_e32 v6, v5
	v_fma_f32 v7, 0x3fb8aa3b, v3, -v5
	s_delay_alu instid0(VALU_DEP_2) | instskip(NEXT) | instid1(VALU_DEP_2)
	v_sub_f32_e32 v5, v5, v6
	v_fmac_f32_e32 v7, 0x32a5705f, v3
	v_cvt_i32_f32_e32 v6, v6
	s_delay_alu instid0(VALU_DEP_2) | instskip(NEXT) | instid1(VALU_DEP_1)
	v_add_f32_e32 v5, v5, v7
	v_exp_f32_e32 v5, v5
	s_waitcnt_depctr 0xfff
	v_ldexp_f32 v5, v5, v6
	s_delay_alu instid0(VALU_DEP_1) | instskip(SKIP_1) | instid1(VALU_DEP_2)
	v_cndmask_b32_e32 v5, 0, v5, vcc_lo
	v_cmp_nlt_f32_e32 vcc_lo, 0x42b17218, v3
	v_cndmask_b32_e32 v3, 0x7f800000, v5, vcc_lo
	s_delay_alu instid0(VALU_DEP_1) | instskip(NEXT) | instid1(VALU_DEP_1)
	v_add_f32_e32 v3, 1.0, v3
	v_rcp_f32_e32 v3, v3
	s_waitcnt_depctr 0xfff
	v_fma_f32 v3, v3, -2.0, 1.0
.LBB76_15:                              ;   in Loop: Header=BB76_9 Depth=1
	s_and_not1_saveexec_b32 s18, s18
; %bb.16:                               ;   in Loop: Header=BB76_9 Depth=1
	v_mul_f32_e32 v3, v65, v65
	s_delay_alu instid0(VALU_DEP_1) | instskip(NEXT) | instid1(VALU_DEP_1)
	v_fmaak_f32 v5, s17, v3, 0x3ca908c9
	v_fmaak_f32 v5, v3, v5, 0xbd5c1c4e
	s_delay_alu instid0(VALU_DEP_1) | instskip(NEXT) | instid1(VALU_DEP_1)
	v_fmaak_f32 v5, v3, v5, 0x3e088382
	v_fmaak_f32 v5, v3, v5, 0xbeaaaa99
	s_delay_alu instid0(VALU_DEP_1) | instskip(NEXT) | instid1(VALU_DEP_1)
	v_mul_f32_e64 v5, |v65|, v5
	v_fma_f32 v3, v3, v5, |v65|
; %bb.17:                               ;   in Loop: Header=BB76_9 Depth=1
	s_or_b32 exec_lo, exec_lo, s18
	flat_load_u16 v5, v[0:1] offset:64
	v_cmp_ngt_f32_e64 s18, 0x3f200000, |v66|
                                        ; implicit-def: $vgpr6
	s_delay_alu instid0(VALU_DEP_1) | instskip(NEXT) | instid1(SALU_CYCLE_1)
	s_and_saveexec_b32 s19, s18
	s_xor_b32 s18, exec_lo, s19
	s_cbranch_execz .LBB76_19
; %bb.18:                               ;   in Loop: Header=BB76_9 Depth=1
	v_add_f32_e64 v6, |v66|, |v66|
	s_delay_alu instid0(VALU_DEP_1) | instskip(SKIP_1) | instid1(VALU_DEP_2)
	v_mul_f32_e32 v7, 0x3fb8aa3b, v6
	v_cmp_ngt_f32_e32 vcc_lo, 0xc2ce8ed0, v6
	v_rndne_f32_e32 v68, v7
	v_fma_f32 v77, 0x3fb8aa3b, v6, -v7
	s_delay_alu instid0(VALU_DEP_2) | instskip(NEXT) | instid1(VALU_DEP_2)
	v_sub_f32_e32 v7, v7, v68
	v_fmac_f32_e32 v77, 0x32a5705f, v6
	v_cvt_i32_f32_e32 v68, v68
	s_delay_alu instid0(VALU_DEP_2) | instskip(NEXT) | instid1(VALU_DEP_1)
	v_add_f32_e32 v7, v7, v77
	v_exp_f32_e32 v7, v7
	s_waitcnt_depctr 0xfff
	v_ldexp_f32 v7, v7, v68
	s_delay_alu instid0(VALU_DEP_1) | instskip(SKIP_1) | instid1(VALU_DEP_2)
	v_cndmask_b32_e32 v7, 0, v7, vcc_lo
	v_cmp_nlt_f32_e32 vcc_lo, 0x42b17218, v6
	v_cndmask_b32_e32 v6, 0x7f800000, v7, vcc_lo
	s_delay_alu instid0(VALU_DEP_1) | instskip(NEXT) | instid1(VALU_DEP_1)
	v_add_f32_e32 v6, 1.0, v6
	v_rcp_f32_e32 v6, v6
	s_waitcnt_depctr 0xfff
	v_fma_f32 v6, v6, -2.0, 1.0
.LBB76_19:                              ;   in Loop: Header=BB76_9 Depth=1
	s_and_not1_saveexec_b32 s18, s18
; %bb.20:                               ;   in Loop: Header=BB76_9 Depth=1
	v_mul_f32_e32 v6, v66, v66
	s_delay_alu instid0(VALU_DEP_1) | instskip(NEXT) | instid1(VALU_DEP_1)
	v_fmaak_f32 v7, s17, v6, 0x3ca908c9
	v_fmaak_f32 v7, v6, v7, 0xbd5c1c4e
	s_delay_alu instid0(VALU_DEP_1) | instskip(NEXT) | instid1(VALU_DEP_1)
	v_fmaak_f32 v7, v6, v7, 0x3e088382
	v_fmaak_f32 v7, v6, v7, 0xbeaaaa99
	s_delay_alu instid0(VALU_DEP_1) | instskip(NEXT) | instid1(VALU_DEP_1)
	v_mul_f32_e64 v7, |v66|, v7
	v_fma_f32 v6, v6, v7, |v66|
; %bb.21:                               ;   in Loop: Header=BB76_9 Depth=1
	s_or_b32 exec_lo, exec_lo, s18
	flat_load_u16 v83, v[0:1] offset:128
	v_cmp_ngt_f32_e64 s18, 0x3f200000, |v67|
                                        ; implicit-def: $vgpr7
	s_delay_alu instid0(VALU_DEP_1) | instskip(NEXT) | instid1(SALU_CYCLE_1)
	s_and_saveexec_b32 s19, s18
	s_xor_b32 s18, exec_lo, s19
	s_cbranch_execz .LBB76_23
; %bb.22:                               ;   in Loop: Header=BB76_9 Depth=1
	v_add_f32_e64 v7, |v67|, |v67|
	s_delay_alu instid0(VALU_DEP_1) | instskip(SKIP_1) | instid1(VALU_DEP_2)
	v_mul_f32_e32 v68, 0x3fb8aa3b, v7
	v_cmp_ngt_f32_e32 vcc_lo, 0xc2ce8ed0, v7
	v_rndne_f32_e32 v77, v68
	v_fma_f32 v78, 0x3fb8aa3b, v7, -v68
	s_delay_alu instid0(VALU_DEP_2) | instskip(NEXT) | instid1(VALU_DEP_2)
	v_sub_f32_e32 v68, v68, v77
	v_fmac_f32_e32 v78, 0x32a5705f, v7
	v_cvt_i32_f32_e32 v77, v77
	s_delay_alu instid0(VALU_DEP_2) | instskip(NEXT) | instid1(VALU_DEP_1)
	v_add_f32_e32 v68, v68, v78
	v_exp_f32_e32 v68, v68
	s_waitcnt_depctr 0xfff
	v_ldexp_f32 v68, v68, v77
	s_delay_alu instid0(VALU_DEP_1) | instskip(SKIP_1) | instid1(VALU_DEP_2)
	v_cndmask_b32_e32 v68, 0, v68, vcc_lo
	v_cmp_nlt_f32_e32 vcc_lo, 0x42b17218, v7
	v_cndmask_b32_e32 v7, 0x7f800000, v68, vcc_lo
	s_delay_alu instid0(VALU_DEP_1) | instskip(NEXT) | instid1(VALU_DEP_1)
	v_add_f32_e32 v7, 1.0, v7
	v_rcp_f32_e32 v7, v7
	s_waitcnt_depctr 0xfff
	v_fma_f32 v7, v7, -2.0, 1.0
.LBB76_23:                              ;   in Loop: Header=BB76_9 Depth=1
	s_and_not1_saveexec_b32 s18, s18
; %bb.24:                               ;   in Loop: Header=BB76_9 Depth=1
	v_mul_f32_e32 v7, v67, v67
	s_delay_alu instid0(VALU_DEP_1) | instskip(NEXT) | instid1(VALU_DEP_1)
	v_fmaak_f32 v68, s17, v7, 0x3ca908c9
	v_fmaak_f32 v68, v7, v68, 0xbd5c1c4e
	s_delay_alu instid0(VALU_DEP_1) | instskip(NEXT) | instid1(VALU_DEP_1)
	v_fmaak_f32 v68, v7, v68, 0x3e088382
	v_fmaak_f32 v68, v7, v68, 0xbeaaaa99
	s_delay_alu instid0(VALU_DEP_1) | instskip(NEXT) | instid1(VALU_DEP_1)
	v_mul_f32_e64 v68, |v67|, v68
	v_fma_f32 v7, v7, v68, |v67|
; %bb.25:                               ;   in Loop: Header=BB76_9 Depth=1
	s_or_b32 exec_lo, exec_lo, s18
	flat_load_u16 v84, v[0:1] offset:192
	v_bfi_b32 v0, 0x7fffffff, v2, v64
	v_bfi_b32 v1, 0x7fffffff, v3, v65
	;; [unrolled: 1-line block ×3, first 2 shown]
	v_xor_b32_e32 v68, 16, v32
	v_xor_b32_e32 v67, 8, v32
	s_waitcnt vmcnt(3) lgkmcnt(3)
	v_fma_mix_f32 v77, v0, s16, v4 op_sel_hi:[0,0,1]
	s_waitcnt vmcnt(2) lgkmcnt(2)
	v_fma_mix_f32 v78, v1, s16, v5 op_sel_hi:[0,0,1]
	v_bfi_b32 v0, 0x7fffffff, v6, v66
	v_cmp_gt_i32_e32 vcc_lo, 32, v68
	v_xor_b32_e32 v66, 4, v32
	v_xor_b32_e32 v65, 2, v32
	v_add_f32_e32 v3, 0x40051340, v78
	s_waitcnt vmcnt(1) lgkmcnt(1)
	v_fma_mix_f32 v79, v0, s16, v83 op_sel_hi:[0,0,1]
	v_dual_cndmask_b32 v0, v32, v68 :: v_dual_add_f32 v1, 0x40051340, v77
	v_cmp_gt_i32_e32 vcc_lo, 32, v67
	v_xor_b32_e32 v64, 1, v32
	v_cmp_ngt_f32_e64 s18, 0x3f200000, |v73|
	s_delay_alu instid0(VALU_DEP_4) | instskip(SKIP_4) | instid1(VALU_DEP_3)
	v_lshlrev_b32_e32 v0, 2, v0
	s_waitcnt vmcnt(0) lgkmcnt(0)
	v_fma_mix_f32 v80, v2, s16, v84 op_sel_hi:[0,0,1]
	v_add_f32_e32 v2, 0x40051340, v79
	v_max3_f32 v1, v59, v1, v3
	v_add_f32_e32 v3, 0x40051340, v80
	s_delay_alu instid0(VALU_DEP_1)
	v_max3_f32 v1, v1, v2, v3
	v_cndmask_b32_e32 v3, v32, v67, vcc_lo
	v_cmp_gt_i32_e32 vcc_lo, 32, v66
	ds_bpermute_b32 v2, v0, v1
	v_lshlrev_b32_e32 v81, 2, v3
	v_cndmask_b32_e32 v3, v32, v66, vcc_lo
	v_cmp_gt_i32_e32 vcc_lo, 32, v65
	s_delay_alu instid0(VALU_DEP_2) | instskip(SKIP_2) | instid1(VALU_DEP_2)
	v_lshlrev_b32_e32 v7, 2, v3
	v_cndmask_b32_e32 v3, v32, v65, vcc_lo
	v_cmp_gt_i32_e32 vcc_lo, 32, v64
	v_dual_cndmask_b32 v6, v32, v64 :: v_dual_lshlrev_b32 v3, 2, v3
	s_waitcnt lgkmcnt(0)
	v_max_f32_e32 v2, v2, v2
	s_delay_alu instid0(VALU_DEP_1) | instskip(SKIP_3) | instid1(VALU_DEP_1)
	v_max_f32_e32 v1, v1, v2
	ds_bpermute_b32 v2, v81, v1
	s_waitcnt lgkmcnt(0)
	v_max_f32_e32 v2, v2, v2
	v_max_f32_e32 v1, v1, v2
	ds_bpermute_b32 v2, v7, v1
	s_waitcnt lgkmcnt(0)
	v_max_f32_e32 v2, v2, v2
	s_delay_alu instid0(VALU_DEP_1) | instskip(SKIP_4) | instid1(VALU_DEP_2)
	v_max_f32_e32 v1, v1, v2
	ds_bpermute_b32 v2, v3, v1
	s_waitcnt lgkmcnt(0)
	v_max_f32_e32 v82, v2, v2
	v_lshlrev_b32_e32 v2, 2, v6
                                        ; implicit-def: $vgpr6
	v_max_f32_e32 v1, v1, v82
	ds_bpermute_b32 v85, v2, v1
	s_and_saveexec_b32 s19, s18
	s_delay_alu instid0(SALU_CYCLE_1)
	s_xor_b32 s18, exec_lo, s19
	s_cbranch_execz .LBB76_27
; %bb.26:                               ;   in Loop: Header=BB76_9 Depth=1
	v_add_f32_e64 v6, |v73|, |v73|
	s_delay_alu instid0(VALU_DEP_1) | instskip(SKIP_1) | instid1(VALU_DEP_2)
	v_mul_f32_e32 v82, 0x3fb8aa3b, v6
	v_cmp_ngt_f32_e32 vcc_lo, 0xc2ce8ed0, v6
	v_rndne_f32_e32 v86, v82
	v_fma_f32 v87, 0x3fb8aa3b, v6, -v82
	s_delay_alu instid0(VALU_DEP_2) | instskip(NEXT) | instid1(VALU_DEP_2)
	v_sub_f32_e32 v82, v82, v86
	v_fmac_f32_e32 v87, 0x32a5705f, v6
	v_cvt_i32_f32_e32 v86, v86
	s_delay_alu instid0(VALU_DEP_2) | instskip(NEXT) | instid1(VALU_DEP_1)
	v_add_f32_e32 v82, v82, v87
	v_exp_f32_e32 v82, v82
	s_waitcnt_depctr 0xfff
	v_ldexp_f32 v82, v82, v86
	s_delay_alu instid0(VALU_DEP_1) | instskip(SKIP_1) | instid1(VALU_DEP_2)
	v_cndmask_b32_e32 v82, 0, v82, vcc_lo
	v_cmp_nlt_f32_e32 vcc_lo, 0x42b17218, v6
	v_cndmask_b32_e32 v6, 0x7f800000, v82, vcc_lo
	s_delay_alu instid0(VALU_DEP_1) | instskip(NEXT) | instid1(VALU_DEP_1)
	v_add_f32_e32 v6, 1.0, v6
	v_rcp_f32_e32 v6, v6
	s_waitcnt_depctr 0xfff
	v_fma_f32 v6, v6, -2.0, 1.0
.LBB76_27:                              ;   in Loop: Header=BB76_9 Depth=1
	s_and_not1_saveexec_b32 s18, s18
; %bb.28:                               ;   in Loop: Header=BB76_9 Depth=1
	v_mul_f32_e32 v6, v73, v73
	s_delay_alu instid0(VALU_DEP_1) | instskip(NEXT) | instid1(VALU_DEP_1)
	v_fmaak_f32 v82, s17, v6, 0x3ca908c9
	v_fmaak_f32 v82, v6, v82, 0xbd5c1c4e
	s_delay_alu instid0(VALU_DEP_1) | instskip(NEXT) | instid1(VALU_DEP_1)
	v_fmaak_f32 v82, v6, v82, 0x3e088382
	v_fmaak_f32 v82, v6, v82, 0xbeaaaa99
	s_delay_alu instid0(VALU_DEP_1) | instskip(NEXT) | instid1(VALU_DEP_1)
	v_mul_f32_e64 v82, |v73|, v82
	v_fma_f32 v6, v6, v82, |v73|
; %bb.29:                               ;   in Loop: Header=BB76_9 Depth=1
	s_or_b32 exec_lo, exec_lo, s18
	v_cmp_ngt_f32_e64 s18, 0x3f200000, |v74|
                                        ; implicit-def: $vgpr86
	s_delay_alu instid0(VALU_DEP_1) | instskip(NEXT) | instid1(SALU_CYCLE_1)
	s_and_saveexec_b32 s19, s18
	s_xor_b32 s18, exec_lo, s19
	s_cbranch_execz .LBB76_31
; %bb.30:                               ;   in Loop: Header=BB76_9 Depth=1
	v_add_f32_e64 v82, |v74|, |v74|
	s_delay_alu instid0(VALU_DEP_1) | instskip(SKIP_1) | instid1(VALU_DEP_2)
	v_mul_f32_e32 v86, 0x3fb8aa3b, v82
	v_cmp_ngt_f32_e32 vcc_lo, 0xc2ce8ed0, v82
	v_rndne_f32_e32 v87, v86
	v_fma_f32 v88, 0x3fb8aa3b, v82, -v86
	s_delay_alu instid0(VALU_DEP_2) | instskip(NEXT) | instid1(VALU_DEP_2)
	v_sub_f32_e32 v86, v86, v87
	v_fmac_f32_e32 v88, 0x32a5705f, v82
	v_cvt_i32_f32_e32 v87, v87
	s_delay_alu instid0(VALU_DEP_2) | instskip(NEXT) | instid1(VALU_DEP_1)
	v_add_f32_e32 v86, v86, v88
	v_exp_f32_e32 v86, v86
	s_waitcnt_depctr 0xfff
	v_ldexp_f32 v86, v86, v87
	s_delay_alu instid0(VALU_DEP_1) | instskip(SKIP_1) | instid1(VALU_DEP_2)
	v_cndmask_b32_e32 v86, 0, v86, vcc_lo
	v_cmp_nlt_f32_e32 vcc_lo, 0x42b17218, v82
	v_cndmask_b32_e32 v82, 0x7f800000, v86, vcc_lo
	s_delay_alu instid0(VALU_DEP_1) | instskip(NEXT) | instid1(VALU_DEP_1)
	v_add_f32_e32 v82, 1.0, v82
	v_rcp_f32_e32 v82, v82
	s_waitcnt_depctr 0xfff
	v_fma_f32 v86, v82, -2.0, 1.0
.LBB76_31:                              ;   in Loop: Header=BB76_9 Depth=1
	s_and_not1_saveexec_b32 s18, s18
; %bb.32:                               ;   in Loop: Header=BB76_9 Depth=1
	v_mul_f32_e32 v82, v74, v74
	s_delay_alu instid0(VALU_DEP_1) | instskip(NEXT) | instid1(VALU_DEP_1)
	v_fmaak_f32 v86, s17, v82, 0x3ca908c9
	v_fmaak_f32 v86, v82, v86, 0xbd5c1c4e
	s_delay_alu instid0(VALU_DEP_1) | instskip(NEXT) | instid1(VALU_DEP_1)
	v_fmaak_f32 v86, v82, v86, 0x3e088382
	v_fmaak_f32 v86, v82, v86, 0xbeaaaa99
	s_delay_alu instid0(VALU_DEP_1) | instskip(NEXT) | instid1(VALU_DEP_1)
	v_mul_f32_e64 v86, |v74|, v86
	v_fma_f32 v86, v82, v86, |v74|
; %bb.33:                               ;   in Loop: Header=BB76_9 Depth=1
	s_or_b32 exec_lo, exec_lo, s18
	v_cmp_ngt_f32_e64 s18, 0x3f200000, |v75|
                                        ; implicit-def: $vgpr87
	s_delay_alu instid0(VALU_DEP_1) | instskip(NEXT) | instid1(SALU_CYCLE_1)
	s_and_saveexec_b32 s19, s18
	s_xor_b32 s18, exec_lo, s19
	s_cbranch_execz .LBB76_35
; %bb.34:                               ;   in Loop: Header=BB76_9 Depth=1
	v_add_f32_e64 v82, |v75|, |v75|
	s_delay_alu instid0(VALU_DEP_1) | instskip(SKIP_1) | instid1(VALU_DEP_2)
	v_mul_f32_e32 v87, 0x3fb8aa3b, v82
	v_cmp_ngt_f32_e32 vcc_lo, 0xc2ce8ed0, v82
	v_rndne_f32_e32 v88, v87
	v_fma_f32 v89, 0x3fb8aa3b, v82, -v87
	s_delay_alu instid0(VALU_DEP_2) | instskip(NEXT) | instid1(VALU_DEP_2)
	v_sub_f32_e32 v87, v87, v88
	v_fmac_f32_e32 v89, 0x32a5705f, v82
	v_cvt_i32_f32_e32 v88, v88
	s_delay_alu instid0(VALU_DEP_2) | instskip(NEXT) | instid1(VALU_DEP_1)
	v_add_f32_e32 v87, v87, v89
	v_exp_f32_e32 v87, v87
	s_waitcnt_depctr 0xfff
	v_ldexp_f32 v87, v87, v88
	s_delay_alu instid0(VALU_DEP_1) | instskip(SKIP_1) | instid1(VALU_DEP_2)
	v_cndmask_b32_e32 v87, 0, v87, vcc_lo
	v_cmp_nlt_f32_e32 vcc_lo, 0x42b17218, v82
	v_cndmask_b32_e32 v82, 0x7f800000, v87, vcc_lo
	s_delay_alu instid0(VALU_DEP_1) | instskip(NEXT) | instid1(VALU_DEP_1)
	v_add_f32_e32 v82, 1.0, v82
	v_rcp_f32_e32 v82, v82
	s_waitcnt_depctr 0xfff
	v_fma_f32 v87, v82, -2.0, 1.0
.LBB76_35:                              ;   in Loop: Header=BB76_9 Depth=1
	s_and_not1_saveexec_b32 s18, s18
; %bb.36:                               ;   in Loop: Header=BB76_9 Depth=1
	v_mul_f32_e32 v82, v75, v75
	s_delay_alu instid0(VALU_DEP_1) | instskip(NEXT) | instid1(VALU_DEP_1)
	v_fmaak_f32 v87, s17, v82, 0x3ca908c9
	v_fmaak_f32 v87, v82, v87, 0xbd5c1c4e
	s_delay_alu instid0(VALU_DEP_1) | instskip(NEXT) | instid1(VALU_DEP_1)
	v_fmaak_f32 v87, v82, v87, 0x3e088382
	v_fmaak_f32 v87, v82, v87, 0xbeaaaa99
	s_delay_alu instid0(VALU_DEP_1) | instskip(NEXT) | instid1(VALU_DEP_1)
	v_mul_f32_e64 v87, |v75|, v87
	v_fma_f32 v87, v82, v87, |v75|
; %bb.37:                               ;   in Loop: Header=BB76_9 Depth=1
	s_or_b32 exec_lo, exec_lo, s18
	v_cmp_ngt_f32_e64 s18, 0x3f200000, |v76|
                                        ; implicit-def: $vgpr88
	s_delay_alu instid0(VALU_DEP_1) | instskip(NEXT) | instid1(SALU_CYCLE_1)
	s_and_saveexec_b32 s19, s18
	s_xor_b32 s18, exec_lo, s19
	s_cbranch_execz .LBB76_39
; %bb.38:                               ;   in Loop: Header=BB76_9 Depth=1
	v_add_f32_e64 v82, |v76|, |v76|
	s_delay_alu instid0(VALU_DEP_1) | instskip(SKIP_1) | instid1(VALU_DEP_2)
	v_mul_f32_e32 v88, 0x3fb8aa3b, v82
	v_cmp_ngt_f32_e32 vcc_lo, 0xc2ce8ed0, v82
	v_rndne_f32_e32 v89, v88
	v_fma_f32 v90, 0x3fb8aa3b, v82, -v88
	s_delay_alu instid0(VALU_DEP_2) | instskip(NEXT) | instid1(VALU_DEP_2)
	v_sub_f32_e32 v88, v88, v89
	v_fmac_f32_e32 v90, 0x32a5705f, v82
	v_cvt_i32_f32_e32 v89, v89
	s_delay_alu instid0(VALU_DEP_2) | instskip(NEXT) | instid1(VALU_DEP_1)
	v_add_f32_e32 v88, v88, v90
	v_exp_f32_e32 v88, v88
	s_waitcnt_depctr 0xfff
	v_ldexp_f32 v88, v88, v89
	s_delay_alu instid0(VALU_DEP_1) | instskip(SKIP_1) | instid1(VALU_DEP_2)
	v_cndmask_b32_e32 v88, 0, v88, vcc_lo
	v_cmp_nlt_f32_e32 vcc_lo, 0x42b17218, v82
	v_cndmask_b32_e32 v82, 0x7f800000, v88, vcc_lo
	s_delay_alu instid0(VALU_DEP_1) | instskip(NEXT) | instid1(VALU_DEP_1)
	v_add_f32_e32 v82, 1.0, v82
	v_rcp_f32_e32 v82, v82
	s_waitcnt_depctr 0xfff
	v_fma_f32 v88, v82, -2.0, 1.0
.LBB76_39:                              ;   in Loop: Header=BB76_9 Depth=1
	s_and_not1_saveexec_b32 s18, s18
; %bb.40:                               ;   in Loop: Header=BB76_9 Depth=1
	v_mul_f32_e32 v82, v76, v76
	s_delay_alu instid0(VALU_DEP_1) | instskip(NEXT) | instid1(VALU_DEP_1)
	v_fmaak_f32 v88, s17, v82, 0x3ca908c9
	v_fmaak_f32 v88, v82, v88, 0xbd5c1c4e
	s_delay_alu instid0(VALU_DEP_1) | instskip(NEXT) | instid1(VALU_DEP_1)
	v_fmaak_f32 v88, v82, v88, 0x3e088382
	v_fmaak_f32 v88, v82, v88, 0xbeaaaa99
	s_delay_alu instid0(VALU_DEP_1) | instskip(NEXT) | instid1(VALU_DEP_1)
	v_mul_f32_e64 v88, |v76|, v88
	v_fma_f32 v88, v82, v88, |v76|
; %bb.41:                               ;   in Loop: Header=BB76_9 Depth=1
	s_or_b32 exec_lo, exec_lo, s18
	v_cvt_f32_f16_e32 v82, v4
	v_bfi_b32 v73, 0x7fffffff, v6, v73
	v_cvt_f32_f16_e32 v6, v5
	v_bfi_b32 v74, 0x7fffffff, v86, v74
	v_cvt_f32_f16_e32 v5, v83
	v_cvt_f32_f16_e32 v4, v84
	v_fma_f32 v83, s16, v73, v82
	v_bfi_b32 v73, 0x7fffffff, v87, v75
	v_fma_f32 v75, s16, v74, v6
	v_bfi_b32 v76, 0x7fffffff, v88, v76
	v_cmp_ngt_f32_e64 s18, 0x3f200000, |v69|
	v_add_f32_e32 v84, 0x40051340, v83
	v_fma_f32 v74, s16, v73, v5
	v_add_f32_e32 v86, 0x40051340, v75
	v_fma_f32 v73, s16, v76, v4
	s_delay_alu instid0(VALU_DEP_3) | instskip(NEXT) | instid1(VALU_DEP_3)
	v_add_f32_e32 v76, 0x40051340, v74
	v_max3_f32 v84, v57, v84, v86
	s_delay_alu instid0(VALU_DEP_3) | instskip(NEXT) | instid1(VALU_DEP_1)
	v_add_f32_e32 v86, 0x40051340, v73
	v_max3_f32 v76, v84, v76, v86
	ds_bpermute_b32 v84, v0, v76
	s_waitcnt lgkmcnt(0)
	v_max_f32_e32 v84, v84, v84
	s_delay_alu instid0(VALU_DEP_1) | instskip(SKIP_3) | instid1(VALU_DEP_1)
	v_max_f32_e32 v76, v76, v84
	ds_bpermute_b32 v84, v81, v76
	s_waitcnt lgkmcnt(0)
	v_max_f32_e32 v84, v84, v84
	v_max_f32_e32 v76, v76, v84
	ds_bpermute_b32 v84, v7, v76
	s_waitcnt lgkmcnt(0)
	v_max_f32_e32 v84, v84, v84
	s_delay_alu instid0(VALU_DEP_1) | instskip(SKIP_3) | instid1(VALU_DEP_1)
	v_max_f32_e32 v76, v76, v84
	ds_bpermute_b32 v84, v3, v76
	s_waitcnt lgkmcnt(0)
	v_max_f32_e32 v84, v84, v84
	v_max_f32_e32 v86, v76, v84
                                        ; implicit-def: $vgpr76
	ds_bpermute_b32 v87, v2, v86
	s_and_saveexec_b32 s19, s18
	s_delay_alu instid0(SALU_CYCLE_1)
	s_xor_b32 s18, exec_lo, s19
	s_cbranch_execz .LBB76_43
; %bb.42:                               ;   in Loop: Header=BB76_9 Depth=1
	v_add_f32_e64 v76, |v69|, |v69|
	s_delay_alu instid0(VALU_DEP_1) | instskip(SKIP_1) | instid1(VALU_DEP_2)
	v_mul_f32_e32 v84, 0x3fb8aa3b, v76
	v_cmp_ngt_f32_e32 vcc_lo, 0xc2ce8ed0, v76
	v_rndne_f32_e32 v88, v84
	v_fma_f32 v89, 0x3fb8aa3b, v76, -v84
	s_delay_alu instid0(VALU_DEP_2) | instskip(NEXT) | instid1(VALU_DEP_2)
	v_sub_f32_e32 v84, v84, v88
	v_fmac_f32_e32 v89, 0x32a5705f, v76
	v_cvt_i32_f32_e32 v88, v88
	s_delay_alu instid0(VALU_DEP_2) | instskip(NEXT) | instid1(VALU_DEP_1)
	v_add_f32_e32 v84, v84, v89
	v_exp_f32_e32 v84, v84
	s_waitcnt_depctr 0xfff
	v_ldexp_f32 v84, v84, v88
	s_delay_alu instid0(VALU_DEP_1) | instskip(SKIP_1) | instid1(VALU_DEP_2)
	v_cndmask_b32_e32 v84, 0, v84, vcc_lo
	v_cmp_nlt_f32_e32 vcc_lo, 0x42b17218, v76
	v_cndmask_b32_e32 v76, 0x7f800000, v84, vcc_lo
	s_delay_alu instid0(VALU_DEP_1) | instskip(NEXT) | instid1(VALU_DEP_1)
	v_add_f32_e32 v76, 1.0, v76
	v_rcp_f32_e32 v76, v76
	s_waitcnt_depctr 0xfff
	v_fma_f32 v76, v76, -2.0, 1.0
.LBB76_43:                              ;   in Loop: Header=BB76_9 Depth=1
	s_and_not1_saveexec_b32 s18, s18
; %bb.44:                               ;   in Loop: Header=BB76_9 Depth=1
	v_mul_f32_e32 v76, v69, v69
	s_delay_alu instid0(VALU_DEP_1) | instskip(NEXT) | instid1(VALU_DEP_1)
	v_fmaak_f32 v84, s17, v76, 0x3ca908c9
	v_fmaak_f32 v84, v76, v84, 0xbd5c1c4e
	s_delay_alu instid0(VALU_DEP_1) | instskip(NEXT) | instid1(VALU_DEP_1)
	v_fmaak_f32 v84, v76, v84, 0x3e088382
	v_fmaak_f32 v84, v76, v84, 0xbeaaaa99
	s_delay_alu instid0(VALU_DEP_1) | instskip(NEXT) | instid1(VALU_DEP_1)
	v_mul_f32_e64 v84, |v69|, v84
	v_fma_f32 v76, v76, v84, |v69|
; %bb.45:                               ;   in Loop: Header=BB76_9 Depth=1
	s_or_b32 exec_lo, exec_lo, s18
	v_cmp_ngt_f32_e64 s18, 0x3f200000, |v70|
                                        ; implicit-def: $vgpr84
	s_delay_alu instid0(VALU_DEP_1) | instskip(NEXT) | instid1(SALU_CYCLE_1)
	s_and_saveexec_b32 s19, s18
	s_xor_b32 s18, exec_lo, s19
	s_cbranch_execz .LBB76_47
; %bb.46:                               ;   in Loop: Header=BB76_9 Depth=1
	v_add_f32_e64 v84, |v70|, |v70|
	s_delay_alu instid0(VALU_DEP_1) | instskip(SKIP_1) | instid1(VALU_DEP_2)
	v_mul_f32_e32 v88, 0x3fb8aa3b, v84
	v_cmp_ngt_f32_e32 vcc_lo, 0xc2ce8ed0, v84
	v_rndne_f32_e32 v89, v88
	v_fma_f32 v90, 0x3fb8aa3b, v84, -v88
	s_delay_alu instid0(VALU_DEP_2) | instskip(NEXT) | instid1(VALU_DEP_2)
	v_sub_f32_e32 v88, v88, v89
	v_fmac_f32_e32 v90, 0x32a5705f, v84
	v_cvt_i32_f32_e32 v89, v89
	s_delay_alu instid0(VALU_DEP_2) | instskip(NEXT) | instid1(VALU_DEP_1)
	v_add_f32_e32 v88, v88, v90
	v_exp_f32_e32 v88, v88
	s_waitcnt_depctr 0xfff
	v_ldexp_f32 v88, v88, v89
	s_delay_alu instid0(VALU_DEP_1) | instskip(SKIP_1) | instid1(VALU_DEP_2)
	v_cndmask_b32_e32 v88, 0, v88, vcc_lo
	v_cmp_nlt_f32_e32 vcc_lo, 0x42b17218, v84
	v_cndmask_b32_e32 v84, 0x7f800000, v88, vcc_lo
	s_delay_alu instid0(VALU_DEP_1) | instskip(NEXT) | instid1(VALU_DEP_1)
	v_add_f32_e32 v84, 1.0, v84
	v_rcp_f32_e32 v84, v84
	s_waitcnt_depctr 0xfff
	v_fma_f32 v84, v84, -2.0, 1.0
.LBB76_47:                              ;   in Loop: Header=BB76_9 Depth=1
	s_and_not1_saveexec_b32 s18, s18
; %bb.48:                               ;   in Loop: Header=BB76_9 Depth=1
	v_mul_f32_e32 v84, v70, v70
	s_delay_alu instid0(VALU_DEP_1) | instskip(NEXT) | instid1(VALU_DEP_1)
	v_fmaak_f32 v88, s17, v84, 0x3ca908c9
	v_fmaak_f32 v88, v84, v88, 0xbd5c1c4e
	s_delay_alu instid0(VALU_DEP_1) | instskip(NEXT) | instid1(VALU_DEP_1)
	v_fmaak_f32 v88, v84, v88, 0x3e088382
	v_fmaak_f32 v88, v84, v88, 0xbeaaaa99
	s_delay_alu instid0(VALU_DEP_1) | instskip(NEXT) | instid1(VALU_DEP_1)
	v_mul_f32_e64 v88, |v70|, v88
	v_fma_f32 v84, v84, v88, |v70|
; %bb.49:                               ;   in Loop: Header=BB76_9 Depth=1
	s_or_b32 exec_lo, exec_lo, s18
	v_cmp_ngt_f32_e64 s18, 0x3f200000, |v71|
                                        ; implicit-def: $vgpr88
	s_delay_alu instid0(VALU_DEP_1) | instskip(NEXT) | instid1(SALU_CYCLE_1)
	s_and_saveexec_b32 s19, s18
	s_xor_b32 s18, exec_lo, s19
	s_cbranch_execz .LBB76_51
; %bb.50:                               ;   in Loop: Header=BB76_9 Depth=1
	v_add_f32_e64 v88, |v71|, |v71|
	s_delay_alu instid0(VALU_DEP_1) | instskip(SKIP_1) | instid1(VALU_DEP_2)
	v_mul_f32_e32 v89, 0x3fb8aa3b, v88
	v_cmp_ngt_f32_e32 vcc_lo, 0xc2ce8ed0, v88
	v_rndne_f32_e32 v90, v89
	v_fma_f32 v91, 0x3fb8aa3b, v88, -v89
	s_delay_alu instid0(VALU_DEP_2) | instskip(NEXT) | instid1(VALU_DEP_2)
	v_sub_f32_e32 v89, v89, v90
	v_fmac_f32_e32 v91, 0x32a5705f, v88
	v_cvt_i32_f32_e32 v90, v90
	s_delay_alu instid0(VALU_DEP_2) | instskip(NEXT) | instid1(VALU_DEP_1)
	v_add_f32_e32 v89, v89, v91
	v_exp_f32_e32 v89, v89
	s_waitcnt_depctr 0xfff
	v_ldexp_f32 v89, v89, v90
	s_delay_alu instid0(VALU_DEP_1) | instskip(SKIP_1) | instid1(VALU_DEP_2)
	v_cndmask_b32_e32 v89, 0, v89, vcc_lo
	v_cmp_nlt_f32_e32 vcc_lo, 0x42b17218, v88
	v_cndmask_b32_e32 v88, 0x7f800000, v89, vcc_lo
	s_delay_alu instid0(VALU_DEP_1) | instskip(NEXT) | instid1(VALU_DEP_1)
	v_add_f32_e32 v88, 1.0, v88
	v_rcp_f32_e32 v88, v88
	s_waitcnt_depctr 0xfff
	v_fma_f32 v88, v88, -2.0, 1.0
.LBB76_51:                              ;   in Loop: Header=BB76_9 Depth=1
	s_and_not1_saveexec_b32 s18, s18
; %bb.52:                               ;   in Loop: Header=BB76_9 Depth=1
	v_mul_f32_e32 v88, v71, v71
	s_delay_alu instid0(VALU_DEP_1) | instskip(NEXT) | instid1(VALU_DEP_1)
	v_fmaak_f32 v89, s17, v88, 0x3ca908c9
	v_fmaak_f32 v89, v88, v89, 0xbd5c1c4e
	s_delay_alu instid0(VALU_DEP_1) | instskip(NEXT) | instid1(VALU_DEP_1)
	v_fmaak_f32 v89, v88, v89, 0x3e088382
	v_fmaak_f32 v89, v88, v89, 0xbeaaaa99
	s_delay_alu instid0(VALU_DEP_1) | instskip(NEXT) | instid1(VALU_DEP_1)
	v_mul_f32_e64 v89, |v71|, v89
	v_fma_f32 v88, v88, v89, |v71|
; %bb.53:                               ;   in Loop: Header=BB76_9 Depth=1
	s_or_b32 exec_lo, exec_lo, s18
	v_cmp_ngt_f32_e64 s18, 0x3f200000, |v72|
                                        ; implicit-def: $vgpr89
	s_delay_alu instid0(VALU_DEP_1) | instskip(NEXT) | instid1(SALU_CYCLE_1)
	s_and_saveexec_b32 s19, s18
	s_xor_b32 s18, exec_lo, s19
	s_cbranch_execz .LBB76_55
; %bb.54:                               ;   in Loop: Header=BB76_9 Depth=1
	v_add_f32_e64 v89, |v72|, |v72|
	s_delay_alu instid0(VALU_DEP_1) | instskip(SKIP_1) | instid1(VALU_DEP_2)
	v_mul_f32_e32 v90, 0x3fb8aa3b, v89
	v_cmp_ngt_f32_e32 vcc_lo, 0xc2ce8ed0, v89
	v_rndne_f32_e32 v91, v90
	v_fma_f32 v92, 0x3fb8aa3b, v89, -v90
	s_delay_alu instid0(VALU_DEP_2) | instskip(NEXT) | instid1(VALU_DEP_2)
	v_sub_f32_e32 v90, v90, v91
	v_fmac_f32_e32 v92, 0x32a5705f, v89
	v_cvt_i32_f32_e32 v91, v91
	s_delay_alu instid0(VALU_DEP_2) | instskip(NEXT) | instid1(VALU_DEP_1)
	v_add_f32_e32 v90, v90, v92
	v_exp_f32_e32 v90, v90
	s_waitcnt_depctr 0xfff
	v_ldexp_f32 v90, v90, v91
	s_delay_alu instid0(VALU_DEP_1) | instskip(SKIP_1) | instid1(VALU_DEP_2)
	v_cndmask_b32_e32 v90, 0, v90, vcc_lo
	v_cmp_nlt_f32_e32 vcc_lo, 0x42b17218, v89
	v_cndmask_b32_e32 v89, 0x7f800000, v90, vcc_lo
	s_delay_alu instid0(VALU_DEP_1) | instskip(NEXT) | instid1(VALU_DEP_1)
	v_add_f32_e32 v89, 1.0, v89
	v_rcp_f32_e32 v89, v89
	s_waitcnt_depctr 0xfff
	v_fma_f32 v89, v89, -2.0, 1.0
.LBB76_55:                              ;   in Loop: Header=BB76_9 Depth=1
	s_and_not1_saveexec_b32 s18, s18
; %bb.56:                               ;   in Loop: Header=BB76_9 Depth=1
	v_mul_f32_e32 v89, v72, v72
	s_delay_alu instid0(VALU_DEP_1) | instskip(NEXT) | instid1(VALU_DEP_1)
	v_fmaak_f32 v90, s17, v89, 0x3ca908c9
	v_fmaak_f32 v90, v89, v90, 0xbd5c1c4e
	s_delay_alu instid0(VALU_DEP_1) | instskip(NEXT) | instid1(VALU_DEP_1)
	v_fmaak_f32 v90, v89, v90, 0x3e088382
	v_fmaak_f32 v90, v89, v90, 0xbeaaaa99
	s_delay_alu instid0(VALU_DEP_1) | instskip(NEXT) | instid1(VALU_DEP_1)
	v_mul_f32_e64 v90, |v72|, v90
	v_fma_f32 v89, v89, v90, |v72|
; %bb.57:                               ;   in Loop: Header=BB76_9 Depth=1
	s_or_b32 exec_lo, exec_lo, s18
	v_bfi_b32 v69, 0x7fffffff, v76, v69
	v_bfi_b32 v70, 0x7fffffff, v84, v70
	;; [unrolled: 1-line block ×3, first 2 shown]
	v_cmp_ngt_f32_e64 s18, 0x3f200000, |v60|
	s_delay_alu instid0(VALU_DEP_4) | instskip(NEXT) | instid1(VALU_DEP_4)
	v_fma_f32 v71, s16, v69, v82
	v_fma_f32 v76, s16, v70, v6
	v_bfi_b32 v69, 0x7fffffff, v89, v72
	v_fma_f32 v70, s16, v84, v5
	s_delay_alu instid0(VALU_DEP_4) | instskip(NEXT) | instid1(VALU_DEP_4)
	v_add_f32_e32 v72, 0x40051340, v71
	v_add_f32_e32 v84, 0x40051340, v76
	s_delay_alu instid0(VALU_DEP_4) | instskip(NEXT) | instid1(VALU_DEP_4)
	v_fma_f32 v69, s16, v69, v4
	v_add_f32_e32 v88, 0x40051340, v70
	s_delay_alu instid0(VALU_DEP_3) | instskip(NEXT) | instid1(VALU_DEP_3)
	v_max3_f32 v72, v11, v72, v84
	v_add_f32_e32 v84, 0x40051340, v69
	s_delay_alu instid0(VALU_DEP_1) | instskip(SKIP_3) | instid1(VALU_DEP_1)
	v_max3_f32 v72, v72, v88, v84
                                        ; implicit-def: $vgpr88
	ds_bpermute_b32 v84, v0, v72
	s_waitcnt lgkmcnt(0)
	v_max_f32_e32 v84, v84, v84
	v_max_f32_e32 v72, v72, v84
	ds_bpermute_b32 v84, v81, v72
	s_waitcnt lgkmcnt(0)
	v_max_f32_e32 v84, v84, v84
	s_delay_alu instid0(VALU_DEP_1) | instskip(SKIP_3) | instid1(VALU_DEP_1)
	v_max_f32_e32 v72, v72, v84
	ds_bpermute_b32 v84, v7, v72
	s_waitcnt lgkmcnt(0)
	v_max_f32_e32 v84, v84, v84
	v_max_f32_e32 v72, v72, v84
	ds_bpermute_b32 v84, v3, v72
	s_waitcnt lgkmcnt(0)
	v_max_f32_e32 v84, v84, v84
	s_delay_alu instid0(VALU_DEP_1) | instskip(SKIP_2) | instid1(SALU_CYCLE_1)
	v_max_f32_e32 v72, v72, v84
	ds_bpermute_b32 v84, v2, v72
	s_and_saveexec_b32 s19, s18
	s_xor_b32 s18, exec_lo, s19
	s_cbranch_execz .LBB76_59
; %bb.58:                               ;   in Loop: Header=BB76_9 Depth=1
	v_add_f32_e64 v88, |v60|, |v60|
	s_delay_alu instid0(VALU_DEP_1) | instskip(SKIP_1) | instid1(VALU_DEP_2)
	v_mul_f32_e32 v89, 0x3fb8aa3b, v88
	v_cmp_ngt_f32_e32 vcc_lo, 0xc2ce8ed0, v88
	v_rndne_f32_e32 v90, v89
	v_fma_f32 v91, 0x3fb8aa3b, v88, -v89
	s_delay_alu instid0(VALU_DEP_2) | instskip(NEXT) | instid1(VALU_DEP_2)
	v_sub_f32_e32 v89, v89, v90
	v_fmac_f32_e32 v91, 0x32a5705f, v88
	v_cvt_i32_f32_e32 v90, v90
	s_delay_alu instid0(VALU_DEP_2) | instskip(NEXT) | instid1(VALU_DEP_1)
	v_add_f32_e32 v89, v89, v91
	v_exp_f32_e32 v89, v89
	s_waitcnt_depctr 0xfff
	v_ldexp_f32 v89, v89, v90
	s_delay_alu instid0(VALU_DEP_1) | instskip(SKIP_1) | instid1(VALU_DEP_2)
	v_cndmask_b32_e32 v89, 0, v89, vcc_lo
	v_cmp_nlt_f32_e32 vcc_lo, 0x42b17218, v88
	v_cndmask_b32_e32 v88, 0x7f800000, v89, vcc_lo
	s_delay_alu instid0(VALU_DEP_1) | instskip(NEXT) | instid1(VALU_DEP_1)
	v_add_f32_e32 v88, 1.0, v88
	v_rcp_f32_e32 v88, v88
	s_waitcnt_depctr 0xfff
	v_fma_f32 v88, v88, -2.0, 1.0
.LBB76_59:                              ;   in Loop: Header=BB76_9 Depth=1
	s_and_not1_saveexec_b32 s18, s18
; %bb.60:                               ;   in Loop: Header=BB76_9 Depth=1
	v_mul_f32_e32 v88, v60, v60
	s_delay_alu instid0(VALU_DEP_1) | instskip(NEXT) | instid1(VALU_DEP_1)
	v_fmaak_f32 v89, s17, v88, 0x3ca908c9
	v_fmaak_f32 v89, v88, v89, 0xbd5c1c4e
	s_delay_alu instid0(VALU_DEP_1) | instskip(NEXT) | instid1(VALU_DEP_1)
	v_fmaak_f32 v89, v88, v89, 0x3e088382
	v_fmaak_f32 v89, v88, v89, 0xbeaaaa99
	s_delay_alu instid0(VALU_DEP_1) | instskip(NEXT) | instid1(VALU_DEP_1)
	v_mul_f32_e64 v89, |v60|, v89
	v_fma_f32 v88, v88, v89, |v60|
; %bb.61:                               ;   in Loop: Header=BB76_9 Depth=1
	s_or_b32 exec_lo, exec_lo, s18
	v_cmp_ngt_f32_e64 s18, 0x3f200000, |v61|
                                        ; implicit-def: $vgpr89
	s_delay_alu instid0(VALU_DEP_1) | instskip(NEXT) | instid1(SALU_CYCLE_1)
	s_and_saveexec_b32 s19, s18
	s_xor_b32 s18, exec_lo, s19
	s_cbranch_execz .LBB76_63
; %bb.62:                               ;   in Loop: Header=BB76_9 Depth=1
	v_add_f32_e64 v89, |v61|, |v61|
	s_delay_alu instid0(VALU_DEP_1) | instskip(SKIP_1) | instid1(VALU_DEP_2)
	v_mul_f32_e32 v90, 0x3fb8aa3b, v89
	v_cmp_ngt_f32_e32 vcc_lo, 0xc2ce8ed0, v89
	v_rndne_f32_e32 v91, v90
	v_fma_f32 v92, 0x3fb8aa3b, v89, -v90
	s_delay_alu instid0(VALU_DEP_2) | instskip(NEXT) | instid1(VALU_DEP_2)
	v_sub_f32_e32 v90, v90, v91
	v_fmac_f32_e32 v92, 0x32a5705f, v89
	v_cvt_i32_f32_e32 v91, v91
	s_delay_alu instid0(VALU_DEP_2) | instskip(NEXT) | instid1(VALU_DEP_1)
	v_add_f32_e32 v90, v90, v92
	v_exp_f32_e32 v90, v90
	s_waitcnt_depctr 0xfff
	v_ldexp_f32 v90, v90, v91
	s_delay_alu instid0(VALU_DEP_1) | instskip(SKIP_1) | instid1(VALU_DEP_2)
	v_cndmask_b32_e32 v90, 0, v90, vcc_lo
	v_cmp_nlt_f32_e32 vcc_lo, 0x42b17218, v89
	v_cndmask_b32_e32 v89, 0x7f800000, v90, vcc_lo
	s_delay_alu instid0(VALU_DEP_1) | instskip(NEXT) | instid1(VALU_DEP_1)
	v_add_f32_e32 v89, 1.0, v89
	v_rcp_f32_e32 v89, v89
	s_waitcnt_depctr 0xfff
	v_fma_f32 v89, v89, -2.0, 1.0
.LBB76_63:                              ;   in Loop: Header=BB76_9 Depth=1
	s_and_not1_saveexec_b32 s18, s18
; %bb.64:                               ;   in Loop: Header=BB76_9 Depth=1
	v_mul_f32_e32 v89, v61, v61
	s_delay_alu instid0(VALU_DEP_1) | instskip(NEXT) | instid1(VALU_DEP_1)
	v_fmaak_f32 v90, s17, v89, 0x3ca908c9
	v_fmaak_f32 v90, v89, v90, 0xbd5c1c4e
	s_delay_alu instid0(VALU_DEP_1) | instskip(NEXT) | instid1(VALU_DEP_1)
	v_fmaak_f32 v90, v89, v90, 0x3e088382
	v_fmaak_f32 v90, v89, v90, 0xbeaaaa99
	s_delay_alu instid0(VALU_DEP_1) | instskip(NEXT) | instid1(VALU_DEP_1)
	v_mul_f32_e64 v90, |v61|, v90
	v_fma_f32 v89, v89, v90, |v61|
; %bb.65:                               ;   in Loop: Header=BB76_9 Depth=1
	s_or_b32 exec_lo, exec_lo, s18
	v_cmp_ngt_f32_e64 s18, 0x3f200000, |v62|
                                        ; implicit-def: $vgpr90
	s_delay_alu instid0(VALU_DEP_1) | instskip(NEXT) | instid1(SALU_CYCLE_1)
	s_and_saveexec_b32 s19, s18
	s_xor_b32 s18, exec_lo, s19
	s_cbranch_execz .LBB76_67
; %bb.66:                               ;   in Loop: Header=BB76_9 Depth=1
	v_add_f32_e64 v90, |v62|, |v62|
	s_delay_alu instid0(VALU_DEP_1) | instskip(SKIP_1) | instid1(VALU_DEP_2)
	v_mul_f32_e32 v91, 0x3fb8aa3b, v90
	v_cmp_ngt_f32_e32 vcc_lo, 0xc2ce8ed0, v90
	v_rndne_f32_e32 v92, v91
	v_fma_f32 v93, 0x3fb8aa3b, v90, -v91
	s_delay_alu instid0(VALU_DEP_2) | instskip(NEXT) | instid1(VALU_DEP_2)
	v_sub_f32_e32 v91, v91, v92
	v_fmac_f32_e32 v93, 0x32a5705f, v90
	v_cvt_i32_f32_e32 v92, v92
	s_delay_alu instid0(VALU_DEP_2) | instskip(NEXT) | instid1(VALU_DEP_1)
	v_add_f32_e32 v91, v91, v93
	v_exp_f32_e32 v91, v91
	s_waitcnt_depctr 0xfff
	v_ldexp_f32 v91, v91, v92
	s_delay_alu instid0(VALU_DEP_1) | instskip(SKIP_1) | instid1(VALU_DEP_2)
	v_cndmask_b32_e32 v91, 0, v91, vcc_lo
	v_cmp_nlt_f32_e32 vcc_lo, 0x42b17218, v90
	v_cndmask_b32_e32 v90, 0x7f800000, v91, vcc_lo
	s_delay_alu instid0(VALU_DEP_1) | instskip(NEXT) | instid1(VALU_DEP_1)
	v_add_f32_e32 v90, 1.0, v90
	v_rcp_f32_e32 v90, v90
	s_waitcnt_depctr 0xfff
	v_fma_f32 v90, v90, -2.0, 1.0
.LBB76_67:                              ;   in Loop: Header=BB76_9 Depth=1
	s_and_not1_saveexec_b32 s18, s18
; %bb.68:                               ;   in Loop: Header=BB76_9 Depth=1
	v_mul_f32_e32 v90, v62, v62
	s_delay_alu instid0(VALU_DEP_1) | instskip(NEXT) | instid1(VALU_DEP_1)
	v_fmaak_f32 v91, s17, v90, 0x3ca908c9
	v_fmaak_f32 v91, v90, v91, 0xbd5c1c4e
	s_delay_alu instid0(VALU_DEP_1) | instskip(NEXT) | instid1(VALU_DEP_1)
	v_fmaak_f32 v91, v90, v91, 0x3e088382
	v_fmaak_f32 v91, v90, v91, 0xbeaaaa99
	s_delay_alu instid0(VALU_DEP_1) | instskip(NEXT) | instid1(VALU_DEP_1)
	v_mul_f32_e64 v91, |v62|, v91
	v_fma_f32 v90, v90, v91, |v62|
; %bb.69:                               ;   in Loop: Header=BB76_9 Depth=1
	s_or_b32 exec_lo, exec_lo, s18
	v_cmp_ngt_f32_e64 s18, 0x3f200000, |v63|
                                        ; implicit-def: $vgpr91
	s_delay_alu instid0(VALU_DEP_1) | instskip(NEXT) | instid1(SALU_CYCLE_1)
	s_and_saveexec_b32 s19, s18
	s_xor_b32 s18, exec_lo, s19
	s_cbranch_execz .LBB76_71
; %bb.70:                               ;   in Loop: Header=BB76_9 Depth=1
	v_add_f32_e64 v91, |v63|, |v63|
	s_delay_alu instid0(VALU_DEP_1) | instskip(SKIP_1) | instid1(VALU_DEP_2)
	v_mul_f32_e32 v92, 0x3fb8aa3b, v91
	v_cmp_ngt_f32_e32 vcc_lo, 0xc2ce8ed0, v91
	v_rndne_f32_e32 v93, v92
	v_fma_f32 v94, 0x3fb8aa3b, v91, -v92
	s_delay_alu instid0(VALU_DEP_2) | instskip(NEXT) | instid1(VALU_DEP_2)
	v_sub_f32_e32 v92, v92, v93
	v_fmac_f32_e32 v94, 0x32a5705f, v91
	v_cvt_i32_f32_e32 v93, v93
	s_delay_alu instid0(VALU_DEP_2) | instskip(NEXT) | instid1(VALU_DEP_1)
	v_add_f32_e32 v92, v92, v94
	v_exp_f32_e32 v92, v92
	s_waitcnt_depctr 0xfff
	v_ldexp_f32 v92, v92, v93
	s_delay_alu instid0(VALU_DEP_1) | instskip(SKIP_1) | instid1(VALU_DEP_2)
	v_cndmask_b32_e32 v92, 0, v92, vcc_lo
	v_cmp_nlt_f32_e32 vcc_lo, 0x42b17218, v91
	v_cndmask_b32_e32 v91, 0x7f800000, v92, vcc_lo
	s_delay_alu instid0(VALU_DEP_1) | instskip(NEXT) | instid1(VALU_DEP_1)
	v_add_f32_e32 v91, 1.0, v91
	v_rcp_f32_e32 v91, v91
	s_waitcnt_depctr 0xfff
	v_fma_f32 v91, v91, -2.0, 1.0
.LBB76_71:                              ;   in Loop: Header=BB76_9 Depth=1
	s_and_not1_saveexec_b32 s18, s18
; %bb.72:                               ;   in Loop: Header=BB76_9 Depth=1
	v_mul_f32_e32 v91, v63, v63
	s_delay_alu instid0(VALU_DEP_1) | instskip(NEXT) | instid1(VALU_DEP_1)
	v_fmaak_f32 v92, s17, v91, 0x3ca908c9
	v_fmaak_f32 v92, v91, v92, 0xbd5c1c4e
	s_delay_alu instid0(VALU_DEP_1) | instskip(NEXT) | instid1(VALU_DEP_1)
	v_fmaak_f32 v92, v91, v92, 0x3e088382
	v_fmaak_f32 v92, v91, v92, 0xbeaaaa99
	s_delay_alu instid0(VALU_DEP_1) | instskip(NEXT) | instid1(VALU_DEP_1)
	v_mul_f32_e64 v92, |v63|, v92
	v_fma_f32 v91, v91, v92, |v63|
; %bb.73:                               ;   in Loop: Header=BB76_9 Depth=1
	s_or_b32 exec_lo, exec_lo, s18
	v_bfi_b32 v60, 0x7fffffff, v88, v60
	v_bfi_b32 v61, 0x7fffffff, v89, v61
	s_delay_alu instid0(VALU_DEP_3)
	v_bfi_b32 v63, 0x7fffffff, v91, v63
	v_bfi_b32 v62, 0x7fffffff, v90, v62
	s_mul_hi_i32 s19, s3, s10
	v_fmac_f32_e32 v82, s16, v60
	s_mul_i32 s18, s3, s10
	v_fmac_f32_e32 v4, s16, v63
	v_dual_fmac_f32 v6, s16, v61 :: v_dual_fmac_f32 v5, s16, v62
	s_delay_alu instid0(VALU_DEP_3) | instskip(SKIP_1) | instid1(VALU_DEP_3)
	v_add_f32_e32 v60, 0x40051340, v82
	s_lshl_b64 s[18:19], s[18:19], 2
	v_add_f32_e32 v63, 0x40051340, v4
	s_delay_alu instid0(VALU_DEP_3) | instskip(SKIP_3) | instid1(VALU_DEP_1)
	v_dual_add_f32 v61, 0x40051340, v6 :: v_dual_add_f32 v62, 0x40051340, v5
	s_add_u32 s18, s11, s18
	s_addc_u32 s19, s15, s19
	s_waitcnt lgkmcnt(0)
	v_max3_f32 v60, v10, v60, v61
	v_max_f32_e32 v61, v87, v87
	s_barrier
	buffer_gl0_inv
	v_max_f32_e32 v72, v72, v72
	v_max3_f32 v60, v60, v62, v63
	v_dual_max_f32 v62, v86, v86 :: v_dual_max_f32 v63, v85, v85
	ds_bpermute_b32 v85, v0, v60
	v_max_f32_e32 v0, v1, v1
	v_max_f32_e32 v1, v62, v61
	v_add_co_u32 v61, vcc_lo, s18, v23
	v_add_co_ci_u32_e32 v62, vcc_lo, s19, v24, vcc_lo
	s_delay_alu instid0(VALU_DEP_4) | instskip(SKIP_2) | instid1(VALU_DEP_3)
	v_max_f32_e32 v0, v0, v63
	v_add_co_u32 v63, vcc_lo, s18, v25
	v_add_co_ci_u32_e32 v86, vcc_lo, s19, v26, vcc_lo
	v_sub_f32_e32 v98, v78, v0
	v_sub_f32_e32 v100, v77, v0
	v_add_co_u32 v87, vcc_lo, s18, v27
	v_add_co_ci_u32_e32 v88, vcc_lo, s19, v28, vcc_lo
	v_add_co_u32 v91, vcc_lo, s18, v29
	s_waitcnt lgkmcnt(0)
	v_max_f32_e32 v85, v85, v85
	v_add_co_ci_u32_e32 v92, vcc_lo, s19, v30, vcc_lo
	v_sub_f32_e32 v97, v59, v0
	v_add_co_u32 v59, vcc_lo, v61, v47
	s_delay_alu instid0(VALU_DEP_4)
	v_max_f32_e32 v99, v60, v85
	v_add_co_ci_u32_e32 v60, vcc_lo, 0, v62, vcc_lo
	v_add_co_u32 v61, vcc_lo, v63, v47
	ds_bpermute_b32 v77, v81, v99
	v_add_co_ci_u32_e32 v62, vcc_lo, 0, v86, vcc_lo
	v_add_co_u32 v89, vcc_lo, v87, v47
	v_sub_f32_e32 v101, v79, v0
	v_add_co_ci_u32_e32 v90, vcc_lo, 0, v88, vcc_lo
	v_add_co_u32 v93, vcc_lo, v91, v47
	v_add_co_ci_u32_e32 v94, vcc_lo, 0, v92, vcc_lo
	v_dual_sub_f32 v83, v83, v1 :: v_dual_sub_f32 v102, v80, v0
	v_dual_sub_f32 v74, v74, v1 :: v_dual_mul_f32 v63, 0x3fb8aa3b, v98
	v_mul_f32_e32 v103, 0x3fb8aa3b, v100
	v_sub_f32_e32 v57, v57, v1
	v_cmp_ngt_f32_e32 vcc_lo, 0xc2ce8ed0, v98
	v_sub_f32_e32 v75, v75, v1
	s_waitcnt lgkmcnt(0)
	v_max_f32_e32 v106, v77, v77
	s_clause 0x3
	global_load_b128 v[77:80], v[59:60], off
	global_load_b128 v[85:88], v[61:62], off
	;; [unrolled: 1-line block ×4, first 2 shown]
	v_dual_mul_f32 v81, 0x3fb8aa3b, v83 :: v_dual_mul_f32 v104, 0x3fb8aa3b, v101
	v_fma_f32 v61, 0x3fb8aa3b, v98, -v63
	v_max_f32_e32 v59, v99, v106
	v_rndne_f32_e32 v62, v63
	s_delay_alu instid0(VALU_DEP_4)
	v_fma_f32 v99, 0x3fb8aa3b, v83, -v81
	v_rndne_f32_e32 v106, v81
	v_fmac_f32_e32 v61, 0x32a5705f, v98
	ds_bpermute_b32 v7, v7, v59
	v_dual_sub_f32 v63, v63, v62 :: v_dual_mul_f32 v60, 0x3fb8aa3b, v97
	v_fma_f32 v107, 0x3fb8aa3b, v100, -v103
	v_rndne_f32_e32 v108, v103
	v_rndne_f32_e32 v110, v104
	v_fmac_f32_e32 v99, 0x32a5705f, v83
	v_sub_f32_e32 v81, v81, v106
	v_add_f32_e32 v61, v63, v61
	v_fma_f32 v109, 0x3fb8aa3b, v101, -v104
	v_fma_f32 v113, 0x3fb8aa3b, v97, -v60
	v_rndne_f32_e32 v114, v60
	v_fmac_f32_e32 v107, 0x32a5705f, v100
	v_dual_sub_f32 v103, v103, v108 :: v_dual_sub_f32 v104, v104, v110
	v_exp_f32_e32 v61, v61
	v_cvt_i32_f32_e32 v62, v62
	v_fmac_f32_e32 v109, 0x32a5705f, v101
	v_dual_fmac_f32 v113, 0x32a5705f, v97 :: v_dual_sub_f32 v60, v60, v114
	s_waitcnt lgkmcnt(0)
	v_max_f32_e32 v7, v7, v7
	v_mul_f32_e32 v105, 0x3fb8aa3b, v102
	v_add_f32_e32 v63, v103, v107
	v_cvt_i32_f32_e32 v103, v106
	s_delay_alu instid0(VALU_DEP_4)
	v_dual_add_f32 v60, v60, v113 :: v_dual_max_f32 v7, v59, v7
	v_add_f32_e32 v59, v81, v99
	v_fma_f32 v111, 0x3fb8aa3b, v102, -v105
	v_rndne_f32_e32 v112, v105
	v_add_f32_e32 v81, v104, v109
	ds_bpermute_b32 v3, v3, v7
	v_exp_f32_e32 v59, v59
	v_exp_f32_e32 v63, v63
	v_ldexp_f32 v61, v61, v62
	v_fmac_f32_e32 v111, 0x32a5705f, v102
	v_sub_f32_e32 v105, v105, v112
	v_exp_f32_e32 v81, v81
	v_cvt_i32_f32_e32 v104, v108
	v_cndmask_b32_e32 v61, 0, v61, vcc_lo
	v_cmp_ngt_f32_e32 vcc_lo, 0xc2ce8ed0, v83
	v_add_f32_e32 v99, v105, v111
	v_ldexp_f32 v59, v59, v103
	v_cvt_i32_f32_e32 v105, v110
	v_ldexp_f32 v62, v63, v104
	s_or_b32 s18, s3, 64
	s_delay_alu instid0(VALU_DEP_3)
	v_cndmask_b32_e32 v59, 0, v59, vcc_lo
	v_cmp_ngt_f32_e32 vcc_lo, 0xc2ce8ed0, v100
	v_ldexp_f32 v63, v81, v105
	v_cvt_i32_f32_e32 v81, v112
	s_waitcnt lgkmcnt(0)
	v_max_f32_e32 v3, v3, v3
	s_mul_hi_i32 s19, s18, s10
	v_cndmask_b32_e32 v62, 0, v62, vcc_lo
	v_cmp_ngt_f32_e32 vcc_lo, 0xc2ce8ed0, v101
	s_mul_i32 s18, s18, s10
	v_max_f32_e32 v3, v7, v3
	s_lshl_b64 s[18:19], s[18:19], 2
	v_cndmask_b32_e32 v63, 0, v63, vcc_lo
	v_cmp_nlt_f32_e32 vcc_lo, 0x42b17218, v98
	s_add_u32 s18, s11, s18
	s_addc_u32 s19, s15, s19
	v_cndmask_b32_e32 v61, 0x7f800000, v61, vcc_lo
	v_cmp_nlt_f32_e32 vcc_lo, 0x42b17218, v100
	s_delay_alu instid0(VALU_DEP_2)
	v_cvt_f16_f32_e32 v98, v61
	v_cndmask_b32_e32 v7, 0x7f800000, v62, vcc_lo
	ds_bpermute_b32 v62, v2, v3
	v_cmp_nlt_f32_e32 vcc_lo, 0x42b17218, v83
	v_exp_f32_e32 v2, v60
	v_cvt_i32_f32_e32 v83, v114
	v_dual_add_f32 v60, v7, v61 :: v_dual_cndmask_b32 v59, 0x7f800000, v59
	v_cmp_nlt_f32_e32 vcc_lo, 0x42b17218, v101
	v_cndmask_b32_e32 v63, 0x7f800000, v63, vcc_lo
	v_cmp_ngt_f32_e32 vcc_lo, 0xc2ce8ed0, v102
	s_waitcnt_depctr 0xfff
	v_ldexp_f32 v2, v2, v83
	v_add_f32_e32 v60, v63, v60
	s_waitcnt lgkmcnt(0)
	v_max_f32_e32 v62, v62, v62
	v_exp_f32_e32 v99, v99
	s_delay_alu instid0(VALU_DEP_1) | instskip(NEXT) | instid1(VALU_DEP_1)
	v_max_f32_e32 v3, v3, v62
	v_sub_f32_e32 v5, v5, v3
	s_waitcnt_depctr 0xfff
	v_ldexp_f32 v61, v99, v81
	v_mul_f32_e32 v81, 0x3fb8aa3b, v75
	v_sub_f32_e32 v6, v6, v3
	s_delay_alu instid0(VALU_DEP_3) | instskip(SKIP_1) | instid1(VALU_DEP_4)
	v_dual_sub_f32 v4, v4, v3 :: v_dual_cndmask_b32 v61, 0, v61
	v_cmp_ngt_f32_e32 vcc_lo, 0xc2ce8ed0, v97
	v_fma_f32 v83, 0x3fb8aa3b, v75, -v81
	v_rndne_f32_e32 v99, v81
	v_cndmask_b32_e32 v2, 0, v2, vcc_lo
	v_cmp_nlt_f32_e32 vcc_lo, 0x42b17218, v102
	s_delay_alu instid0(VALU_DEP_4) | instskip(NEXT) | instid1(VALU_DEP_4)
	v_fmac_f32_e32 v83, 0x32a5705f, v75
	v_dual_sub_f32 v81, v81, v99 :: v_dual_mul_f32 v102, 0x3fb8aa3b, v57
	v_cndmask_b32_e32 v61, 0x7f800000, v61, vcc_lo
	v_cmp_nlt_f32_e32 vcc_lo, 0x42b17218, v97
	s_delay_alu instid0(VALU_DEP_3) | instskip(NEXT) | instid1(VALU_DEP_3)
	v_add_f32_e32 v81, v81, v83
	v_dual_mul_f32 v83, 0x3fb8aa3b, v74 :: v_dual_add_f32 v60, v61, v60
	v_cndmask_b32_e32 v2, 0x7f800000, v2, vcc_lo
	v_cvt_f16_f32_e32 v100, v61
	v_sub_f32_e32 v61, v73, v1
	v_cvt_i32_f32_e32 v73, v99
	v_cmp_ngt_f32_e32 vcc_lo, 0xc2ce8ed0, v75
	v_cvt_f16_f32_e32 v97, v2
	v_fmac_f32_e32 v60, v58, v2
	v_exp_f32_e32 v2, v81
	v_rndne_f32_e32 v58, v83
	v_cvt_f16_f32_e32 v99, v59
	v_pk_mul_f16 v101, v97, v55 op_sel_hi:[0,1]
	v_fma_f32 v55, 0x3fb8aa3b, v74, -v83
	s_delay_alu instid0(VALU_DEP_4) | instskip(SKIP_2) | instid1(VALU_DEP_4)
	v_sub_f32_e32 v81, v83, v58
	v_mul_f32_e32 v83, 0x3fb8aa3b, v61
	v_cvt_i32_f32_e32 v58, v58
	v_fmac_f32_e32 v55, 0x32a5705f, v74
	s_delay_alu instid0(TRANS32_DEP_1) | instskip(NEXT) | instid1(VALU_DEP_4)
	v_ldexp_f32 v2, v2, v73
	v_fma_f32 v73, 0x3fb8aa3b, v61, -v83
	s_delay_alu instid0(VALU_DEP_3) | instskip(SKIP_1) | instid1(VALU_DEP_3)
	v_add_f32_e32 v55, v81, v55
	v_rndne_f32_e32 v81, v83
	v_dual_cndmask_b32 v2, 0, v2 :: v_dual_fmac_f32 v73, 0x32a5705f, v61
	v_cmp_nlt_f32_e32 vcc_lo, 0x42b17218, v75
	s_delay_alu instid0(VALU_DEP_4) | instskip(NEXT) | instid1(VALU_DEP_3)
	v_exp_f32_e32 v55, v55
	v_sub_f32_e32 v83, v83, v81
	v_fma_f32 v75, 0x3fb8aa3b, v57, -v102
	v_cndmask_b32_e32 v2, 0x7f800000, v2, vcc_lo
	v_cmp_ngt_f32_e32 vcc_lo, 0xc2ce8ed0, v74
	s_delay_alu instid0(VALU_DEP_4) | instskip(SKIP_3) | instid1(TRANS32_DEP_1)
	v_add_f32_e32 v73, v83, v73
	v_rndne_f32_e32 v83, v102
	v_fmac_f32_e32 v75, 0x32a5705f, v57
	v_add_f32_e32 v59, v59, v2
	v_ldexp_f32 v55, v55, v58
	v_exp_f32_e32 v58, v73
	v_sub_f32_e32 v73, v102, v83
	v_cvt_f16_f32_e32 v102, v2
	v_cvt_i32_f32_e32 v2, v81
	v_cndmask_b32_e32 v55, 0, v55, vcc_lo
	v_cmp_nlt_f32_e32 vcc_lo, 0x42b17218, v74
	v_add_f32_e32 v73, v73, v75
	v_max_f32_e32 v75, v84, v84
	s_delay_alu instid0(TRANS32_DEP_1) | instskip(SKIP_1) | instid1(VALU_DEP_4)
	v_ldexp_f32 v58, v58, v2
	v_cndmask_b32_e32 v55, 0x7f800000, v55, vcc_lo
	v_exp_f32_e32 v73, v73
	v_cmp_ngt_f32_e32 vcc_lo, 0xc2ce8ed0, v61
	v_max_f32_e32 v2, v72, v75
	v_cvt_i32_f32_e32 v72, v83
	v_dual_add_f32 v59, v55, v59 :: v_dual_cndmask_b32 v58, 0, v58
	v_cmp_nlt_f32_e32 vcc_lo, 0x42b17218, v61
	s_delay_alu instid0(VALU_DEP_4) | instskip(SKIP_1) | instid1(TRANS32_DEP_1)
	v_sub_f32_e32 v74, v76, v2
	v_sub_f32_e32 v71, v71, v2
	v_ldexp_f32 v72, v73, v72
	v_sub_f32_e32 v70, v70, v2
	v_cndmask_b32_e32 v58, 0x7f800000, v58, vcc_lo
	v_cmp_ngt_f32_e32 vcc_lo, 0xc2ce8ed0, v57
	v_mul_f32_e32 v73, 0x3fb8aa3b, v74
	s_delay_alu instid0(VALU_DEP_4) | instskip(NEXT) | instid1(VALU_DEP_4)
	v_dual_mul_f32 v81, 0x3fb8aa3b, v71 :: v_dual_mul_f32 v84, 0x3fb8aa3b, v70
	v_add_f32_e32 v61, v58, v59
	v_cndmask_b32_e32 v59, 0, v72, vcc_lo
	v_cmp_nlt_f32_e32 vcc_lo, 0x42b17218, v57
	v_fma_f32 v62, 0x3fb8aa3b, v74, -v73
	v_rndne_f32_e32 v72, v73
	v_sub_f32_e32 v57, v82, v3
	v_fma_f32 v82, 0x3fb8aa3b, v71, -v81
	v_cndmask_b32_e32 v59, 0x7f800000, v59, vcc_lo
	s_delay_alu instid0(VALU_DEP_4) | instskip(SKIP_2) | instid1(VALU_DEP_4)
	v_dual_fmac_f32 v62, 0x32a5705f, v74 :: v_dual_sub_f32 v73, v73, v72
	v_rndne_f32_e32 v83, v81
	v_cvt_i32_f32_e32 v72, v72
	v_dual_fmac_f32 v61, v56, v59 :: v_dual_mul_f32 v56, 0x3fb8aa3b, v57
	s_delay_alu instid0(VALU_DEP_4) | instskip(SKIP_2) | instid1(VALU_DEP_4)
	v_add_f32_e32 v62, v73, v62
	v_dual_sub_f32 v73, v11, v2 :: v_dual_fmac_f32 v82, 0x32a5705f, v71
	v_rndne_f32_e32 v103, v84
	v_fma_f32 v11, 0x3fb8aa3b, v57, -v56
	v_rndne_f32_e32 v76, v56
	v_exp_f32_e32 v62, v62
	v_cmp_ngt_f32_e32 vcc_lo, 0xc2ce8ed0, v74
	v_sub_f32_e32 v69, v69, v2
	s_delay_alu instid0(VALU_DEP_3) | instskip(SKIP_2) | instid1(VALU_DEP_3)
	v_dual_fmac_f32 v11, 0x32a5705f, v57 :: v_dual_sub_f32 v56, v56, v76
	v_cvt_i32_f32_e32 v76, v76
	v_cvt_f16_f32_e32 v58, v58
	v_add_f32_e32 v11, v56, v11
	v_sub_f32_e32 v56, v81, v83
	v_fma_f32 v81, 0x3fb8aa3b, v70, -v84
	s_delay_alu instid0(TRANS32_DEP_1)
	v_ldexp_f32 v62, v62, v72
	v_sub_f32_e32 v72, v84, v103
	v_exp_f32_e32 v11, v11
	v_add_f32_e32 v56, v56, v82
	v_fmac_f32_e32 v81, 0x32a5705f, v70
	v_cndmask_b32_e32 v62, 0, v62, vcc_lo
	v_cmp_nlt_f32_e32 vcc_lo, 0x42b17218, v74
	v_cvt_i32_f32_e32 v74, v83
	v_exp_f32_e32 v56, v56
	v_add_f32_e32 v72, v72, v81
	v_cvt_f16_f32_e32 v7, v7
	v_cndmask_b32_e32 v62, 0x7f800000, v62, vcc_lo
	v_ldexp_f32 v11, v11, v76
	v_cmp_ngt_f32_e32 vcc_lo, 0xc2ce8ed0, v57
	v_exp_f32_e32 v72, v72
	v_mul_f32_e32 v76, 0x3fb8aa3b, v69
	v_cvt_f16_f32_e32 v63, v63
	v_cndmask_b32_e32 v11, 0, v11, vcc_lo
	v_ldexp_f32 v56, v56, v74
	v_cmp_ngt_f32_e32 vcc_lo, 0xc2ce8ed0, v71
	v_cvt_i32_f32_e32 v74, v103
	v_fma_f32 v81, 0x3fb8aa3b, v69, -v76
	v_rndne_f32_e32 v82, v76
	v_cndmask_b32_e32 v56, 0, v56, vcc_lo
	v_cmp_nlt_f32_e32 vcc_lo, 0x42b17218, v71
	v_ldexp_f32 v72, v72, v74
	s_delay_alu instid0(VALU_DEP_4) | instskip(NEXT) | instid1(VALU_DEP_4)
	v_dual_fmac_f32 v81, 0x32a5705f, v69 :: v_dual_sub_f32 v74, v76, v82
	v_cndmask_b32_e32 v56, 0x7f800000, v56, vcc_lo
	v_cmp_ngt_f32_e32 vcc_lo, 0xc2ce8ed0, v70
	s_delay_alu instid0(VALU_DEP_4)
	v_cndmask_b32_e32 v71, 0, v72, vcc_lo
	v_cmp_nlt_f32_e32 vcc_lo, 0x42b17218, v57
	v_dual_add_f32 v72, v74, v81 :: v_dual_cndmask_b32 v57, 0x7f800000, v11
	v_cmp_nlt_f32_e32 vcc_lo, 0x42b17218, v70
	v_add_f32_e32 v11, v56, v62
	v_cvt_f16_f32_e32 v62, v62
	v_cndmask_b32_e32 v70, 0x7f800000, v71, vcc_lo
	v_exp_f32_e32 v71, v72
	v_mul_f32_e32 v72, 0x3fb8aa3b, v73
	v_cmp_ngt_f32_e32 vcc_lo, 0xc2ce8ed0, v69
	s_delay_alu instid0(VALU_DEP_3) | instskip(SKIP_1) | instid1(VALU_DEP_4)
	v_add_f32_e32 v74, v70, v11
	v_cvt_i32_f32_e32 v11, v82
	v_fma_f32 v76, 0x3fb8aa3b, v73, -v72
	v_rndne_f32_e32 v81, v72
	v_mul_f32_e32 v82, 0x3fb8aa3b, v6
	v_cvt_f16_f32_e32 v70, v70
	s_delay_alu instid0(TRANS32_DEP_1)
	v_ldexp_f32 v11, v71, v11
	v_fmac_f32_e32 v76, 0x32a5705f, v73
	v_sub_f32_e32 v71, v72, v81
	v_fma_f32 v72, 0x3fb8aa3b, v6, -v82
	v_rndne_f32_e32 v83, v82
	v_cndmask_b32_e32 v11, 0, v11, vcc_lo
	v_cmp_nlt_f32_e32 vcc_lo, 0x42b17218, v69
	s_delay_alu instid0(VALU_DEP_4) | instskip(NEXT) | instid1(VALU_DEP_4)
	v_dual_add_f32 v71, v71, v76 :: v_dual_fmac_f32 v72, 0x32a5705f, v6
	v_sub_f32_e32 v76, v82, v83
	v_mul_f32_e32 v82, 0x3fb8aa3b, v5
	v_cndmask_b32_e32 v69, 0x7f800000, v11, vcc_lo
	v_mul_f32_e32 v11, 0x3fb8aa3b, v4
	v_exp_f32_e32 v71, v71
	v_add_f32_e32 v72, v76, v72
	v_fma_f32 v76, 0x3fb8aa3b, v5, -v82
	v_rndne_f32_e32 v84, v82
	v_fma_f32 v103, 0x3fb8aa3b, v4, -v11
	v_rndne_f32_e32 v104, v11
	v_exp_f32_e32 v72, v72
	v_fmac_f32_e32 v76, 0x32a5705f, v5
	v_sub_f32_e32 v82, v82, v84
	v_fmac_f32_e32 v103, 0x32a5705f, v4
	v_sub_f32_e32 v11, v11, v104
	v_cvt_i32_f32_e32 v81, v81
	v_cvt_i32_f32_e32 v83, v83
	v_add_f32_e32 v76, v82, v76
	v_cmp_ngt_f32_e32 vcc_lo, 0xc2ce8ed0, v6
	v_add_f32_e32 v11, v11, v103
	v_ldexp_f32 v71, v71, v81
	v_sub_f32_e32 v81, v10, v3
	v_ldexp_f32 v10, v72, v83
	v_exp_f32_e32 v72, v76
	v_exp_f32_e32 v11, v11
	v_cvt_i32_f32_e32 v82, v84
	v_cvt_i32_f32_e32 v83, v104
	v_cndmask_b32_e32 v10, 0, v10, vcc_lo
	v_cmp_nlt_f32_e32 vcc_lo, 0x42b17218, v6
	v_mul_f32_e32 v84, 0x3fb8aa3b, v81
	v_cvt_f16_f32_e32 v76, v57
	v_cvt_f16_f32_e32 v55, v55
	;; [unrolled: 1-line block ×3, first 2 shown]
	v_cndmask_b32_e32 v103, 0x7f800000, v10, vcc_lo
	v_ldexp_f32 v6, v72, v82
	v_cmp_ngt_f32_e32 vcc_lo, 0xc2ce8ed0, v5
	v_ldexp_f32 v10, v11, v83
	v_fma_f32 v11, 0x3fb8aa3b, v81, -v84
	v_rndne_f32_e32 v72, v84
	v_cndmask_b32_e32 v6, 0, v6, vcc_lo
	v_cmp_ngt_f32_e32 vcc_lo, 0xc2ce8ed0, v4
	s_delay_alu instid0(VALU_DEP_3)
	v_dual_fmac_f32 v11, 0x32a5705f, v81 :: v_dual_sub_f32 v82, v84, v72
	v_cvt_i32_f32_e32 v72, v72
	v_cndmask_b32_e32 v10, 0, v10, vcc_lo
	v_cmp_nlt_f32_e32 vcc_lo, 0x42b17218, v5
	v_cvt_f16_f32_e32 v5, v56
	v_cndmask_b32_e32 v83, 0x7f800000, v6, vcc_lo
	v_cmp_nlt_f32_e32 vcc_lo, 0x42b17218, v4
	v_add_f32_e32 v4, v82, v11
	v_cvt_f16_f32_e32 v6, v103
	v_pack_b32_f16 v5, v5, v76
	v_cndmask_b32_e32 v84, 0x7f800000, v10, vcc_lo
	s_delay_alu instid0(VALU_DEP_4)
	v_exp_f32_e32 v82, v4
	v_cvt_f16_f32_e32 v10, v83
	v_cmp_ngt_f32_e32 vcc_lo, 0xc2ce8ed0, v73
	v_add_nc_u32_e32 v75, v41, v42
	v_cvt_f16_f32_e32 v56, v84
	v_pack_b32_f16 v4, v7, v99
	v_pack_b32_f16 v7, v62, v6
	v_cndmask_b32_e32 v62, 0, v71, vcc_lo
	v_pack_b32_f16 v6, v98, v102
	v_pack_b32_f16 v11, v70, v10
	v_ldexp_f32 v70, v82, v72
	v_cmp_ngt_f32_e32 vcc_lo, 0xc2ce8ed0, v81
	v_pack_b32_f16 v10, v63, v55
	v_pack_b32_f16 v56, v105, v56
	;; [unrolled: 1-line block ×3, first 2 shown]
	v_add_f32_e32 v63, v57, v103
	ds_store_2addr_b64 v75, v[4:5], v[6:7] offset1:32
	ds_store_2addr_b64 v75, v[10:11], v[55:56] offset0:64 offset1:96
	s_waitcnt vmcnt(3)
	ds_store_b128 v40, v[77:80]
	s_waitcnt vmcnt(2)
	ds_store_b128 v43, v[85:88]
	;; [unrolled: 2-line block ×4, first 2 shown]
	s_waitcnt lgkmcnt(0)
	s_barrier
	buffer_gl0_inv
	ds_load_2addr_b64 v[4:7], v42 offset1:32
	ds_load_b128 v[55:58], v41
	v_cndmask_b32_e32 v10, 0, v70, vcc_lo
	v_cmp_nlt_f32_e32 vcc_lo, 0x42b17218, v73
	v_cndmask_b32_e32 v11, 0x7f800000, v62, vcc_lo
	v_cmp_nlt_f32_e32 vcc_lo, 0x42b17218, v81
	v_dual_add_f32 v62, v83, v63 :: v_dual_add_f32 v63, v69, v74
	s_delay_alu instid0(VALU_DEP_3) | instskip(SKIP_1) | instid1(VALU_DEP_3)
	v_cvt_f16_f32_e32 v81, v11
	v_cndmask_b32_e32 v10, 0x7f800000, v10, vcc_lo
	v_add_f32_e32 v62, v84, v62
	v_cvt_f16_f32_e32 v59, v59
	v_fmac_f32_e32 v63, v8, v11
	v_pk_mul_f16 v51, v81, v51 op_sel_hi:[0,1]
	v_cvt_f16_f32_e32 v69, v10
	v_fmac_f32_e32 v62, v9, v10
	v_pk_mul_f16 v53, v59, v53 op_sel_hi:[0,1]
	ds_load_b128 v[8:11], v41 offset:16
	s_waitcnt lgkmcnt(1)
	v_pk_mul_f16 v82, v4, v55 op_sel_hi:[1,0]
	v_pk_mul_f16 v49, v69, v49 op_sel_hi:[0,1]
	v_pk_mul_f16 v83, v4, v55 op_sel:[0,1]
	v_pk_mul_f16 v84, v4, v56 op_sel_hi:[1,0]
	v_pk_mul_f16 v48, v69, v48 op_sel_hi:[0,1]
	ds_load_2addr_b64 v[69:72], v42 offset0:64 offset1:96
	ds_load_b128 v[73:76], v41 offset:32
	ds_load_b128 v[77:80], v41 offset:48
	v_pk_fma_f16 v54, v97, v54, v82 op_sel_hi:[0,1,1]
	v_pk_fma_f16 v52, v59, v52, v83 op_sel_hi:[0,1,1]
	;; [unrolled: 1-line block ×3, first 2 shown]
	v_pk_fma_f16 v4, v4, v56, v49 op_sel:[0,1,0]
	v_pk_fma_f16 v49, v5, v55, v101 op_sel_hi:[1,0,1]
	v_pk_fma_f16 v53, v5, v55, v53 op_sel:[0,1,0]
	v_pk_fma_f16 v55, v5, v56, v51 op_sel_hi:[1,0,1]
	;; [unrolled: 2-line block ×5, first 2 shown]
	v_pk_fma_f16 v49, v7, v57, v53 op_sel:[0,1,0]
	ds_load_2addr_b64 v[50:53], v42 offset0:128 offset1:160
	v_pk_fma_f16 v55, v7, v58, v55 op_sel_hi:[1,0,1]
	v_pk_fma_f16 v5, v7, v58, v5 op_sel:[0,1,0]
	s_waitcnt lgkmcnt(3)
	v_pk_fma_f16 v7, v69, v8, v48 op_sel_hi:[1,0,1]
	v_pk_fma_f16 v48, v69, v8, v54 op_sel:[0,1,0]
	v_pk_fma_f16 v54, v69, v9, v56 op_sel_hi:[1,0,1]
	v_pk_fma_f16 v4, v69, v9, v4 op_sel:[0,1,0]
	;; [unrolled: 2-line block ×8, first 2 shown]
	ds_load_2addr_b64 v[4:7], v42 offset0:192 offset1:224
	s_waitcnt lgkmcnt(1)
	v_pk_fma_f16 v9, v50, v73, v9 op_sel_hi:[1,0,1]
	v_pk_fma_f16 v48, v50, v73, v48 op_sel:[0,1,0]
	v_pk_fma_f16 v49, v50, v74, v54 op_sel_hi:[1,0,1]
	v_pk_fma_f16 v50, v50, v74, v55 op_sel:[0,1,0]
	;; [unrolled: 2-line block ×4, first 2 shown]
	v_add_nc_u32_e32 v51, 0x800, v42
	v_pk_fma_f16 v59, v52, v75, v9 op_sel_hi:[1,0,1]
	v_pk_fma_f16 v48, v52, v75, v48 op_sel:[0,1,0]
	v_pk_fma_f16 v49, v52, v76, v49 op_sel_hi:[1,0,1]
	v_pk_fma_f16 v50, v52, v76, v50 op_sel:[0,1,0]
	;; [unrolled: 2-line block ×3, first 2 shown]
	v_pk_fma_f16 v70, v53, v76, v10 op_sel_hi:[1,0,1]
	ds_load_2addr_b64 v[8:11], v51 offset1:32
	ds_load_b128 v[54:57], v41 offset:64
	v_pk_fma_f16 v53, v53, v76, v58 op_sel:[0,1,0]
	s_waitcnt lgkmcnt(2)
	v_pk_fma_f16 v58, v4, v77, v59 op_sel_hi:[1,0,1]
	v_pk_fma_f16 v48, v4, v77, v48 op_sel:[0,1,0]
	v_pk_fma_f16 v49, v4, v78, v49 op_sel_hi:[1,0,1]
	v_pk_fma_f16 v4, v4, v78, v50 op_sel:[0,1,0]
	;; [unrolled: 2-line block ×6, first 2 shown]
	v_pk_fma_f16 v6, v7, v79, v50 op_sel_hi:[1,0,1]
	ds_load_2addr_b64 v[69:72], v51 offset0:64 offset1:96
	ds_load_b128 v[73:76], v41 offset:80
	v_pk_fma_f16 v50, v7, v79, v52 op_sel:[0,1,0]
	v_pk_fma_f16 v52, v7, v80, v59 op_sel_hi:[1,0,1]
	v_pk_fma_f16 v5, v7, v80, v5 op_sel:[0,1,0]
	s_waitcnt lgkmcnt(2)
	v_pk_fma_f16 v7, v8, v54, v53 op_sel_hi:[1,0,1]
	v_pk_fma_f16 v48, v8, v54, v48 op_sel:[0,1,0]
	v_pk_fma_f16 v49, v8, v55, v49 op_sel_hi:[1,0,1]
	v_pk_fma_f16 v4, v8, v55, v4 op_sel:[0,1,0]
	;; [unrolled: 2-line block ×6, first 2 shown]
	v_pk_fma_f16 v59, v11, v56, v6 op_sel_hi:[1,0,1]
	ds_load_2addr_b64 v[4:7], v51 offset0:128 offset1:160
	ds_load_b128 v[52:55], v41 offset:96
	v_pk_fma_f16 v8, v11, v56, v8 op_sel:[0,1,0]
	v_pk_fma_f16 v50, v11, v57, v50 op_sel_hi:[1,0,1]
	v_pk_fma_f16 v9, v11, v57, v9 op_sel:[0,1,0]
	s_waitcnt lgkmcnt(2)
	v_pk_fma_f16 v11, v69, v73, v58 op_sel_hi:[1,0,1]
	v_pk_fma_f16 v48, v69, v73, v48 op_sel:[0,1,0]
	v_pk_fma_f16 v49, v69, v74, v49 op_sel_hi:[1,0,1]
	v_pk_fma_f16 v10, v69, v74, v10 op_sel:[0,1,0]
	v_pk_fma_f16 v56, v70, v73, v59 op_sel_hi:[1,0,1]
	v_pk_fma_f16 v8, v70, v73, v8 op_sel:[0,1,0]
	v_pk_fma_f16 v50, v70, v74, v50 op_sel_hi:[1,0,1]
	v_pk_fma_f16 v9, v70, v74, v9 op_sel:[0,1,0]
	v_pk_fma_f16 v69, v71, v75, v11 op_sel_hi:[1,0,1]
	v_pk_fma_f16 v48, v71, v75, v48 op_sel:[0,1,0]
	v_pk_fma_f16 v49, v71, v76, v49 op_sel_hi:[1,0,1]
	v_pk_fma_f16 v70, v71, v76, v10 op_sel:[0,1,0]
	v_pk_fma_f16 v71, v72, v75, v56 op_sel_hi:[1,0,1]
	v_pk_fma_f16 v73, v72, v75, v8 op_sel:[0,1,0]
	v_pk_fma_f16 v50, v72, v76, v50 op_sel_hi:[1,0,1]
	v_pk_fma_f16 v72, v72, v76, v9 op_sel:[0,1,0]
	ds_load_2addr_b64 v[8:11], v51 offset0:192 offset1:224
	ds_load_b128 v[56:59], v41 offset:112
	s_waitcnt lgkmcnt(2)
	v_pk_fma_f16 v69, v4, v52, v69 op_sel_hi:[1,0,1]
	v_pk_fma_f16 v48, v4, v52, v48 op_sel:[0,1,0]
	v_pk_fma_f16 v49, v4, v53, v49 op_sel_hi:[1,0,1]
	v_pk_fma_f16 v4, v4, v53, v70 op_sel:[0,1,0]
	;; [unrolled: 2-line block ×3, first 2 shown]
	v_add_nc_u32_e32 v52, 0x1000, v42
	v_pk_fma_f16 v50, v5, v53, v50 op_sel_hi:[1,0,1]
	v_pk_fma_f16 v5, v5, v53, v72 op_sel:[0,1,0]
	v_pk_fma_f16 v53, v6, v54, v69 op_sel_hi:[1,0,1]
	v_pk_fma_f16 v48, v6, v54, v48 op_sel:[0,1,0]
	;; [unrolled: 2-line block ×4, first 2 shown]
	ds_load_2addr_b64 v[69:72], v52 offset1:32
	ds_load_b128 v[73:76], v41 offset:128
	v_pk_fma_f16 v50, v7, v55, v50 op_sel_hi:[1,0,1]
	v_pk_fma_f16 v5, v7, v55, v5 op_sel:[0,1,0]
	s_waitcnt lgkmcnt(2)
	v_pk_fma_f16 v7, v8, v56, v53 op_sel_hi:[1,0,1]
	v_pk_fma_f16 v48, v8, v56, v48 op_sel:[0,1,0]
	v_pk_fma_f16 v49, v8, v57, v49 op_sel_hi:[1,0,1]
	v_pk_fma_f16 v4, v8, v57, v4 op_sel:[0,1,0]
	;; [unrolled: 2-line block ×3, first 2 shown]
	ds_load_2addr_b64 v[53:56], v52 offset0:64 offset1:96
	ds_load_b128 v[77:80], v41 offset:144
	v_pk_fma_f16 v50, v9, v57, v50 op_sel_hi:[1,0,1]
	v_pk_fma_f16 v5, v9, v57, v5 op_sel:[0,1,0]
	v_pk_fma_f16 v9, v10, v58, v48 op_sel:[0,1,0]
	v_pk_fma_f16 v48, v10, v59, v49 op_sel_hi:[1,0,1]
	v_pk_fma_f16 v6, v11, v58, v6 op_sel_hi:[1,0,1]
	;; [unrolled: 1-line block ×3, first 2 shown]
	v_pk_fma_f16 v4, v10, v59, v4 op_sel:[0,1,0]
	v_pk_fma_f16 v8, v11, v58, v8 op_sel:[0,1,0]
	v_pk_fma_f16 v10, v11, v59, v50 op_sel_hi:[1,0,1]
	v_pk_fma_f16 v5, v11, v59, v5 op_sel:[0,1,0]
	s_waitcnt lgkmcnt(2)
	v_pk_fma_f16 v11, v69, v74, v48 op_sel_hi:[1,0,1]
	v_pk_fma_f16 v6, v70, v73, v6 op_sel_hi:[1,0,1]
	ds_load_2addr_b64 v[81:84], v52 offset0:128 offset1:160
	ds_load_b128 v[85:88], v41 offset:160
	v_pk_fma_f16 v7, v69, v73, v7 op_sel_hi:[1,0,1]
	v_pk_fma_f16 v9, v69, v73, v9 op_sel:[0,1,0]
	v_pk_fma_f16 v4, v69, v74, v4 op_sel:[0,1,0]
	;; [unrolled: 1-line block ×3, first 2 shown]
	v_pk_fma_f16 v10, v70, v74, v10 op_sel_hi:[1,0,1]
	v_pk_fma_f16 v5, v70, v74, v5 op_sel:[0,1,0]
	v_pk_fma_f16 v11, v71, v76, v11 op_sel_hi:[1,0,1]
	v_pk_fma_f16 v6, v72, v75, v6 op_sel_hi:[1,0,1]
	v_pk_fma_f16 v7, v71, v75, v7 op_sel_hi:[1,0,1]
	v_pk_fma_f16 v9, v71, v75, v9 op_sel:[0,1,0]
	v_pk_fma_f16 v4, v71, v76, v4 op_sel:[0,1,0]
	;; [unrolled: 1-line block ×3, first 2 shown]
	v_pk_fma_f16 v10, v72, v76, v10 op_sel_hi:[1,0,1]
	v_pk_fma_f16 v5, v72, v76, v5 op_sel:[0,1,0]
	s_waitcnt lgkmcnt(2)
	v_pk_fma_f16 v11, v53, v78, v11 op_sel_hi:[1,0,1]
	v_pk_fma_f16 v6, v54, v77, v6 op_sel_hi:[1,0,1]
	;; [unrolled: 1-line block ×3, first 2 shown]
	v_pk_fma_f16 v9, v53, v77, v9 op_sel:[0,1,0]
	v_pk_fma_f16 v4, v53, v78, v4 op_sel:[0,1,0]
	;; [unrolled: 1-line block ×3, first 2 shown]
	v_pk_fma_f16 v49, v54, v78, v10 op_sel_hi:[1,0,1]
	v_pk_fma_f16 v50, v54, v78, v5 op_sel:[0,1,0]
	v_pk_fma_f16 v57, v55, v80, v11 op_sel_hi:[1,0,1]
	v_pk_fma_f16 v58, v56, v79, v6 op_sel_hi:[1,0,1]
	;; [unrolled: 1-line block ×3, first 2 shown]
	v_pk_fma_f16 v54, v55, v79, v9 op_sel:[0,1,0]
	v_pk_fma_f16 v55, v55, v80, v4 op_sel:[0,1,0]
	ds_load_2addr_b64 v[4:7], v52 offset0:192 offset1:224
	ds_load_b128 v[8:11], v41 offset:176
	v_pk_fma_f16 v48, v56, v79, v48 op_sel:[0,1,0]
	v_pk_fma_f16 v49, v56, v80, v49 op_sel_hi:[1,0,1]
	v_pk_fma_f16 v50, v56, v80, v50 op_sel:[0,1,0]
	s_waitcnt lgkmcnt(2)
	v_pk_fma_f16 v56, v81, v86, v57 op_sel_hi:[1,0,1]
	v_pk_fma_f16 v57, v82, v85, v58 op_sel_hi:[1,0,1]
	v_add_co_u32 v58, vcc_lo, s18, v23
	v_add_co_ci_u32_e32 v59, vcc_lo, s19, v24, vcc_lo
	v_add_co_u32 v225, vcc_lo, s18, v25
	v_add_co_ci_u32_e32 v226, vcc_lo, s19, v26, vcc_lo
	s_delay_alu instid0(VALU_DEP_4) | instskip(NEXT) | instid1(VALU_DEP_4)
	v_add_co_u32 v58, vcc_lo, v58, v47
	v_add_co_ci_u32_e32 v59, vcc_lo, 0, v59, vcc_lo
	s_delay_alu instid0(VALU_DEP_4)
	v_add_co_u32 v229, vcc_lo, v225, v47
	v_pk_fma_f16 v53, v81, v85, v53 op_sel_hi:[1,0,1]
	v_add_co_ci_u32_e32 v230, vcc_lo, 0, v226, vcc_lo
	v_add_co_u32 v225, vcc_lo, s18, v27
	v_pk_fma_f16 v54, v81, v85, v54 op_sel:[0,1,0]
	v_pk_fma_f16 v55, v81, v86, v55 op_sel:[0,1,0]
	v_add_co_ci_u32_e32 v226, vcc_lo, s19, v28, vcc_lo
	v_pk_fma_f16 v48, v82, v85, v48 op_sel:[0,1,0]
	v_pk_fma_f16 v49, v82, v86, v49 op_sel_hi:[1,0,1]
	v_pk_fma_f16 v50, v82, v86, v50 op_sel:[0,1,0]
	v_pk_fma_f16 v53, v83, v87, v53 op_sel_hi:[1,0,1]
	v_add_co_u32 v227, vcc_lo, s18, v29
	v_add_co_ci_u32_e32 v228, vcc_lo, s19, v30, vcc_lo
	v_add_co_u32 v233, vcc_lo, v225, v47
	v_pk_fma_f16 v54, v83, v87, v54 op_sel:[0,1,0]
	v_pk_fma_f16 v56, v83, v88, v56 op_sel_hi:[1,0,1]
	v_pk_fma_f16 v55, v83, v88, v55 op_sel:[0,1,0]
	v_pk_fma_f16 v57, v84, v87, v57 op_sel_hi:[1,0,1]
	;; [unrolled: 2-line block ×3, first 2 shown]
	v_pk_fma_f16 v243, v84, v88, v50 op_sel:[0,1,0]
	s_waitcnt lgkmcnt(0)
	v_pk_fma_f16 v244, v4, v8, v53 op_sel_hi:[1,0,1]
	v_add_nc_u32_e32 v53, 0x1800, v42
	v_add_nc_u32_e32 v50, 0x2000, v42
	;; [unrolled: 1-line block ×4, first 2 shown]
	v_add_co_ci_u32_e32 v234, vcc_lo, 0, v226, vcc_lo
	v_add_co_u32 v237, vcc_lo, v227, v47
	v_add_co_ci_u32_e32 v238, vcc_lo, 0, v228, vcc_lo
	v_pk_fma_f16 v245, v4, v8, v54 op_sel:[0,1,0]
	v_pk_fma_f16 v246, v4, v9, v56 op_sel_hi:[1,0,1]
	v_pk_fma_f16 v247, v4, v9, v55 op_sel:[0,1,0]
	v_add_nc_u32_e32 v4, 0x3800, v42
	v_pk_fma_f16 v248, v5, v8, v57 op_sel_hi:[1,0,1]
	ds_load_2addr_b64 v[54:57], v53 offset1:32
	ds_load_2addr_b64 v[69:72], v53 offset0:64 offset1:96
	ds_load_b128 v[73:76], v41 offset:192
	ds_load_b128 v[77:80], v41 offset:208
	ds_load_2addr_b64 v[81:84], v53 offset0:128 offset1:160
	ds_load_2addr_b64 v[85:88], v53 offset0:192 offset1:224
	ds_load_b128 v[89:92], v41 offset:224
	ds_load_b128 v[93:96], v41 offset:240
	ds_load_2addr_b64 v[97:100], v50 offset1:32
	ds_load_2addr_b64 v[101:104], v50 offset0:64 offset1:96
	ds_load_b128 v[105:108], v41 offset:256
	ds_load_b128 v[109:112], v41 offset:272
	ds_load_2addr_b64 v[113:116], v50 offset0:128 offset1:160
	ds_load_2addr_b64 v[117:120], v50 offset0:192 offset1:224
	ds_load_b128 v[121:124], v41 offset:288
	ds_load_b128 v[125:128], v41 offset:304
	;; [unrolled: 8-line block ×5, first 2 shown]
	s_waitcnt lgkmcnt(0)
	s_barrier
	buffer_gl0_inv
	s_clause 0x3
	global_load_b128 v[225:228], v[58:59], off
	global_load_b128 v[229:232], v[229:230], off
	;; [unrolled: 1-line block ×4, first 2 shown]
	v_pk_fma_f16 v8, v5, v8, v241 op_sel:[0,1,0]
	v_pk_fma_f16 v58, v5, v9, v242 op_sel_hi:[1,0,1]
	v_pk_fma_f16 v5, v5, v9, v243 op_sel:[0,1,0]
	v_pk_fma_f16 v9, v6, v10, v244 op_sel_hi:[1,0,1]
	;; [unrolled: 2-line block ×8, first 2 shown]
	v_pk_fma_f16 v8, v55, v73, v8 op_sel:[0,1,0]
	v_pk_fma_f16 v5, v55, v74, v5 op_sel:[0,1,0]
	v_pk_fma_f16 v7, v56, v75, v7 op_sel_hi:[1,0,1]
	v_pk_fma_f16 v6, v56, v76, v6 op_sel:[0,1,0]
	v_pk_fma_f16 v54, v57, v75, v54 op_sel_hi:[1,0,1]
	v_pk_fma_f16 v8, v57, v75, v8 op_sel:[0,1,0]
	v_pk_fma_f16 v5, v57, v76, v5 op_sel:[0,1,0]
	v_pk_fma_f16 v7, v69, v77, v7 op_sel_hi:[1,0,1]
	v_pk_fma_f16 v10, v55, v74, v10 op_sel_hi:[1,0,1]
	v_pk_fma_f16 v9, v56, v75, v9 op_sel:[0,1,0]
	v_pk_fma_f16 v11, v56, v76, v11 op_sel_hi:[1,0,1]
	v_pk_fma_f16 v6, v69, v78, v6 op_sel:[0,1,0]
	v_pk_fma_f16 v54, v70, v77, v54 op_sel_hi:[1,0,1]
	v_pk_fma_f16 v8, v70, v77, v8 op_sel:[0,1,0]
	v_pk_fma_f16 v5, v70, v78, v5 op_sel:[0,1,0]
	v_pk_fma_f16 v7, v71, v79, v7 op_sel_hi:[1,0,1]
	v_pk_fma_f16 v10, v57, v76, v10 op_sel_hi:[1,0,1]
	;; [unrolled: 8-line block ×36, first 2 shown]
	v_pk_fma_f16 v9, v209, v217, v9 op_sel:[0,1,0]
	v_pk_fma_f16 v11, v209, v218, v11 op_sel_hi:[1,0,1]
	v_pk_fma_f16 v58, v211, v220, v6 op_sel:[0,1,0]
	v_pk_fma_f16 v59, v212, v219, v54 op_sel_hi:[1,0,1]
	v_pk_fma_f16 v69, v212, v219, v8 op_sel:[0,1,0]
	v_pk_fma_f16 v70, v212, v220, v5 op_sel:[0,1,0]
	v_pk_fma_f16 v71, v213, v221, v7 op_sel_hi:[1,0,1]
	s_waitcnt vmcnt(3)
	ds_store_b128 v40, v[225:228]
	s_waitcnt vmcnt(2)
	ds_store_b128 v43, v[229:232]
	;; [unrolled: 2-line block ×4, first 2 shown]
	s_waitcnt lgkmcnt(0)
	s_barrier
	buffer_gl0_inv
	ds_load_2addr_b64 v[5:8], v42 offset1:32
	ds_load_b128 v[54:57], v41 offset:512
	v_pk_fma_f16 v10, v210, v218, v10 op_sel_hi:[1,0,1]
	v_pk_fma_f16 v9, v211, v219, v9 op_sel:[0,1,0]
	v_pk_fma_f16 v11, v211, v220, v11 op_sel_hi:[1,0,1]
	v_pk_fma_f16 v69, v214, v221, v69 op_sel:[0,1,0]
	v_pk_fma_f16 v70, v214, v222, v70 op_sel:[0,1,0]
	v_pk_fma_f16 v10, v212, v220, v10 op_sel_hi:[1,0,1]
	v_pk_fma_f16 v9, v213, v221, v9 op_sel:[0,1,0]
	v_pk_fma_f16 v11, v213, v222, v11 op_sel_hi:[1,0,1]
	;; [unrolled: 2-line block ×3, first 2 shown]
	v_pk_fma_f16 v85, v215, v223, v71 op_sel_hi:[1,0,1]
	v_pk_fma_f16 v86, v216, v223, v69 op_sel:[0,1,0]
	v_pk_fma_f16 v87, v216, v224, v70 op_sel:[0,1,0]
	ds_load_b128 v[69:72], v41 offset:528
	ds_load_2addr_b64 v[73:76], v42 offset0:64 offset1:96
	ds_load_b128 v[77:80], v41 offset:544
	ds_load_b128 v[81:84], v41 offset:560
	v_pk_fma_f16 v10, v214, v222, v10 op_sel_hi:[1,0,1]
	v_pk_fma_f16 v9, v215, v223, v9 op_sel:[0,1,0]
	v_pk_fma_f16 v11, v215, v224, v11 op_sel_hi:[1,0,1]
	v_pk_fma_f16 v58, v215, v224, v58 op_sel:[0,1,0]
	v_pk_fma_f16 v59, v216, v223, v59 op_sel_hi:[1,0,1]
	v_pk_fma_f16 v10, v216, v224, v10 op_sel_hi:[1,0,1]
	s_waitcnt lgkmcnt(4)
	v_pk_fma_f16 v85, v5, v54, v85 op_sel_hi:[1,0,1]
	v_pk_fma_f16 v9, v5, v54, v9 op_sel:[0,1,0]
	v_pk_fma_f16 v11, v5, v55, v11 op_sel_hi:[1,0,1]
	v_pk_fma_f16 v5, v5, v55, v58 op_sel:[0,1,0]
	;; [unrolled: 2-line block ×6, first 2 shown]
	v_pk_fma_f16 v7, v8, v56, v58 op_sel_hi:[1,0,1]
	ds_load_2addr_b64 v[85:88], v42 offset0:128 offset1:160
	v_pk_fma_f16 v54, v8, v56, v54 op_sel:[0,1,0]
	v_pk_fma_f16 v10, v8, v57, v10 op_sel_hi:[1,0,1]
	v_pk_fma_f16 v6, v8, v57, v6 op_sel:[0,1,0]
	s_waitcnt lgkmcnt(3)
	v_pk_fma_f16 v8, v73, v69, v55 op_sel_hi:[1,0,1]
	v_pk_fma_f16 v5, v73, v70, v5 op_sel:[0,1,0]
	v_pk_fma_f16 v7, v74, v69, v7 op_sel_hi:[1,0,1]
	v_pk_fma_f16 v9, v73, v69, v9 op_sel:[0,1,0]
	;; [unrolled: 2-line block ×3, first 2 shown]
	v_pk_fma_f16 v55, v74, v70, v6 op_sel:[0,1,0]
	v_pk_fma_f16 v56, v75, v71, v8 op_sel_hi:[1,0,1]
	v_pk_fma_f16 v57, v75, v72, v5 op_sel:[0,1,0]
	v_pk_fma_f16 v58, v76, v71, v7 op_sel_hi:[1,0,1]
	ds_load_2addr_b64 v[5:8], v42 offset0:192 offset1:224
	v_pk_fma_f16 v10, v74, v70, v10 op_sel_hi:[1,0,1]
	v_pk_fma_f16 v9, v75, v71, v9 op_sel:[0,1,0]
	v_pk_fma_f16 v11, v75, v72, v11 op_sel_hi:[1,0,1]
	v_pk_fma_f16 v54, v76, v71, v54 op_sel:[0,1,0]
	v_pk_fma_f16 v55, v76, v72, v55 op_sel:[0,1,0]
	v_pk_fma_f16 v10, v76, v72, v10 op_sel_hi:[1,0,1]
	s_waitcnt lgkmcnt(1)
	v_pk_fma_f16 v56, v85, v77, v56 op_sel_hi:[1,0,1]
	v_pk_fma_f16 v9, v85, v77, v9 op_sel:[0,1,0]
	v_pk_fma_f16 v11, v85, v78, v11 op_sel_hi:[1,0,1]
	v_pk_fma_f16 v57, v85, v78, v57 op_sel:[0,1,0]
	;; [unrolled: 2-line block ×7, first 2 shown]
	ds_load_2addr_b64 v[54:57], v51 offset1:32
	ds_load_b128 v[69:72], v41 offset:576
	v_pk_fma_f16 v10, v88, v80, v10 op_sel_hi:[1,0,1]
	v_pk_fma_f16 v59, v88, v80, v59 op_sel:[0,1,0]
	s_waitcnt lgkmcnt(2)
	v_pk_fma_f16 v73, v5, v81, v73 op_sel_hi:[1,0,1]
	v_pk_fma_f16 v9, v5, v81, v9 op_sel:[0,1,0]
	v_pk_fma_f16 v11, v5, v82, v11 op_sel_hi:[1,0,1]
	v_pk_fma_f16 v5, v5, v82, v74 op_sel:[0,1,0]
	v_pk_fma_f16 v58, v6, v81, v58 op_sel_hi:[1,0,1]
	v_pk_fma_f16 v74, v6, v81, v75 op_sel:[0,1,0]
	v_pk_fma_f16 v10, v6, v82, v10 op_sel_hi:[1,0,1]
	v_pk_fma_f16 v6, v6, v82, v59 op_sel:[0,1,0]
	v_pk_fma_f16 v59, v7, v83, v73 op_sel_hi:[1,0,1]
	v_pk_fma_f16 v9, v7, v83, v9 op_sel:[0,1,0]
	v_pk_fma_f16 v11, v7, v84, v11 op_sel_hi:[1,0,1]
	v_pk_fma_f16 v5, v7, v84, v5 op_sel:[0,1,0]
	v_pk_fma_f16 v7, v8, v83, v58 op_sel_hi:[1,0,1]
	v_pk_fma_f16 v58, v8, v83, v74 op_sel:[0,1,0]
	ds_load_2addr_b64 v[73:76], v51 offset0:64 offset1:96
	ds_load_b128 v[77:80], v41 offset:592
	v_pk_fma_f16 v10, v8, v84, v10 op_sel_hi:[1,0,1]
	v_pk_fma_f16 v6, v8, v84, v6 op_sel:[0,1,0]
	s_waitcnt lgkmcnt(2)
	v_pk_fma_f16 v8, v54, v69, v59 op_sel_hi:[1,0,1]
	v_pk_fma_f16 v9, v54, v69, v9 op_sel:[0,1,0]
	v_pk_fma_f16 v11, v54, v70, v11 op_sel_hi:[1,0,1]
	v_pk_fma_f16 v5, v54, v70, v5 op_sel:[0,1,0]
	;; [unrolled: 2-line block ×7, first 2 shown]
	ds_load_2addr_b64 v[5:8], v51 offset0:128 offset1:160
	ds_load_b128 v[81:84], v41 offset:608
	v_pk_fma_f16 v10, v57, v72, v10 op_sel_hi:[1,0,1]
	v_pk_fma_f16 v55, v57, v72, v55 op_sel:[0,1,0]
	s_waitcnt lgkmcnt(2)
	v_pk_fma_f16 v57, v73, v77, v58 op_sel_hi:[1,0,1]
	v_pk_fma_f16 v9, v73, v77, v9 op_sel:[0,1,0]
	v_pk_fma_f16 v11, v73, v78, v11 op_sel_hi:[1,0,1]
	v_pk_fma_f16 v56, v73, v78, v56 op_sel:[0,1,0]
	v_pk_fma_f16 v54, v74, v77, v54 op_sel:[0,1,0]
	v_pk_fma_f16 v58, v74, v77, v59 op_sel_hi:[1,0,1]
	v_pk_fma_f16 v10, v74, v78, v10 op_sel_hi:[1,0,1]
	v_pk_fma_f16 v59, v74, v78, v55 op_sel:[0,1,0]
	v_pk_fma_f16 v73, v75, v79, v57 op_sel_hi:[1,0,1]
	v_pk_fma_f16 v9, v75, v79, v9 op_sel:[0,1,0]
	;; [unrolled: 2-line block ×3, first 2 shown]
	v_pk_fma_f16 v75, v76, v79, v54 op_sel:[0,1,0]
	ds_load_2addr_b64 v[54:57], v51 offset0:192 offset1:224
	ds_load_b128 v[69:72], v41 offset:624
	v_pk_fma_f16 v58, v76, v79, v58 op_sel_hi:[1,0,1]
	v_pk_fma_f16 v10, v76, v80, v10 op_sel_hi:[1,0,1]
	v_pk_fma_f16 v51, v76, v80, v59 op_sel:[0,1,0]
	s_waitcnt lgkmcnt(2)
	v_pk_fma_f16 v59, v5, v81, v73 op_sel_hi:[1,0,1]
	v_pk_fma_f16 v9, v5, v81, v9 op_sel:[0,1,0]
	v_pk_fma_f16 v11, v5, v82, v11 op_sel_hi:[1,0,1]
	v_pk_fma_f16 v5, v5, v82, v74 op_sel:[0,1,0]
	;; [unrolled: 2-line block ×7, first 2 shown]
	ds_load_2addr_b64 v[73:76], v52 offset1:32
	ds_load_b128 v[77:80], v41 offset:640
	v_pk_fma_f16 v10, v8, v84, v10 op_sel_hi:[1,0,1]
	v_pk_fma_f16 v6, v8, v84, v6 op_sel:[0,1,0]
	s_waitcnt lgkmcnt(2)
	v_pk_fma_f16 v8, v54, v69, v51 op_sel_hi:[1,0,1]
	v_pk_fma_f16 v9, v54, v69, v9 op_sel:[0,1,0]
	v_pk_fma_f16 v11, v54, v70, v11 op_sel_hi:[1,0,1]
	v_pk_fma_f16 v5, v54, v70, v5 op_sel:[0,1,0]
	v_pk_fma_f16 v7, v55, v69, v7 op_sel_hi:[1,0,1]
	v_pk_fma_f16 v51, v55, v69, v58 op_sel:[0,1,0]
	v_pk_fma_f16 v10, v55, v70, v10 op_sel_hi:[1,0,1]
	v_pk_fma_f16 v54, v55, v70, v6 op_sel:[0,1,0]
	v_pk_fma_f16 v55, v56, v71, v8 op_sel_hi:[1,0,1]
	v_pk_fma_f16 v9, v56, v71, v9 op_sel:[0,1,0]
	v_pk_fma_f16 v11, v56, v72, v11 op_sel_hi:[1,0,1]
	v_pk_fma_f16 v56, v56, v72, v5 op_sel:[0,1,0]
	v_pk_fma_f16 v58, v57, v71, v7 op_sel_hi:[1,0,1]
	ds_load_2addr_b64 v[5:8], v52 offset0:64 offset1:96
	ds_load_b128 v[81:84], v41 offset:656
	v_pk_fma_f16 v51, v57, v71, v51 op_sel:[0,1,0]
	v_pk_fma_f16 v10, v57, v72, v10 op_sel_hi:[1,0,1]
	v_pk_fma_f16 v54, v57, v72, v54 op_sel:[0,1,0]
	s_waitcnt lgkmcnt(2)
	v_pk_fma_f16 v55, v73, v77, v55 op_sel_hi:[1,0,1]
	v_pk_fma_f16 v9, v73, v77, v9 op_sel:[0,1,0]
	v_pk_fma_f16 v11, v73, v78, v11 op_sel_hi:[1,0,1]
	v_pk_fma_f16 v56, v73, v78, v56 op_sel:[0,1,0]
	v_pk_fma_f16 v57, v74, v77, v58 op_sel_hi:[1,0,1]
	v_pk_fma_f16 v51, v74, v77, v51 op_sel:[0,1,0]
	v_pk_fma_f16 v10, v74, v78, v10 op_sel_hi:[1,0,1]
	v_pk_fma_f16 v58, v74, v78, v54 op_sel:[0,1,0]
	v_pk_fma_f16 v59, v75, v79, v55 op_sel_hi:[1,0,1]
	v_pk_fma_f16 v9, v75, v79, v9 op_sel:[0,1,0]
	v_pk_fma_f16 v11, v75, v80, v11 op_sel_hi:[1,0,1]
	v_pk_fma_f16 v73, v75, v80, v56 op_sel:[0,1,0]
	v_pk_fma_f16 v74, v76, v79, v57 op_sel_hi:[1,0,1]
	ds_load_2addr_b64 v[54:57], v52 offset0:128 offset1:160
	ds_load_b128 v[69:72], v41 offset:672
	v_pk_fma_f16 v51, v76, v79, v51 op_sel:[0,1,0]
	;; [unrolled: 19-line block ×3, first 2 shown]
	v_pk_fma_f16 v10, v8, v84, v10 op_sel_hi:[1,0,1]
	v_pk_fma_f16 v6, v8, v84, v6 op_sel:[0,1,0]
	s_waitcnt lgkmcnt(2)
	v_pk_fma_f16 v8, v54, v69, v58 op_sel_hi:[1,0,1]
	v_pk_fma_f16 v9, v54, v69, v9 op_sel:[0,1,0]
	v_pk_fma_f16 v11, v54, v70, v11 op_sel_hi:[1,0,1]
	v_pk_fma_f16 v5, v54, v70, v5 op_sel:[0,1,0]
	;; [unrolled: 2-line block ×6, first 2 shown]
	v_pk_fma_f16 v56, v57, v71, v7 op_sel_hi:[1,0,1]
	ds_load_2addr_b64 v[5:8], v53 offset1:32
	ds_load_b128 v[81:84], v41 offset:704
	v_pk_fma_f16 v51, v57, v71, v51 op_sel:[0,1,0]
	v_pk_fma_f16 v10, v57, v72, v10 op_sel_hi:[1,0,1]
	s_waitcnt lgkmcnt(2)
	v_pk_fma_f16 v54, v73, v77, v54 op_sel_hi:[1,0,1]
	v_pk_fma_f16 v55, v73, v78, v55 op_sel:[0,1,0]
	v_pk_fma_f16 v56, v74, v77, v56 op_sel_hi:[1,0,1]
	v_pk_fma_f16 v52, v57, v72, v52 op_sel:[0,1,0]
	v_pk_fma_f16 v9, v73, v77, v9 op_sel:[0,1,0]
	v_pk_fma_f16 v11, v73, v78, v11 op_sel_hi:[1,0,1]
	v_pk_fma_f16 v51, v74, v77, v51 op_sel:[0,1,0]
	v_pk_fma_f16 v58, v75, v79, v54 op_sel_hi:[1,0,1]
	;; [unrolled: 2-line block ×3, first 2 shown]
	ds_load_2addr_b64 v[54:57], v53 offset0:64 offset1:96
	ds_load_b128 v[69:72], v41 offset:720
	v_pk_fma_f16 v10, v74, v78, v10 op_sel_hi:[1,0,1]
	v_pk_fma_f16 v52, v74, v78, v52 op_sel:[0,1,0]
	v_pk_fma_f16 v9, v75, v79, v9 op_sel:[0,1,0]
	v_pk_fma_f16 v11, v75, v80, v11 op_sel_hi:[1,0,1]
	v_pk_fma_f16 v51, v76, v79, v51 op_sel:[0,1,0]
	v_pk_fma_f16 v10, v76, v80, v10 op_sel_hi:[1,0,1]
	v_pk_fma_f16 v52, v76, v80, v52 op_sel:[0,1,0]
	s_waitcnt lgkmcnt(2)
	v_pk_fma_f16 v58, v5, v81, v58 op_sel_hi:[1,0,1]
	v_pk_fma_f16 v9, v5, v81, v9 op_sel:[0,1,0]
	v_pk_fma_f16 v11, v5, v82, v11 op_sel_hi:[1,0,1]
	v_pk_fma_f16 v5, v5, v82, v59 op_sel:[0,1,0]
	;; [unrolled: 2-line block ×7, first 2 shown]
	ds_load_2addr_b64 v[73:76], v53 offset0:128 offset1:160
	ds_load_b128 v[77:80], v41 offset:736
	v_pk_fma_f16 v10, v8, v84, v10 op_sel_hi:[1,0,1]
	v_pk_fma_f16 v6, v8, v84, v6 op_sel:[0,1,0]
	s_waitcnt lgkmcnt(2)
	v_pk_fma_f16 v8, v54, v69, v52 op_sel_hi:[1,0,1]
	v_pk_fma_f16 v9, v54, v69, v9 op_sel:[0,1,0]
	v_pk_fma_f16 v11, v54, v70, v11 op_sel_hi:[1,0,1]
	v_pk_fma_f16 v5, v54, v70, v5 op_sel:[0,1,0]
	;; [unrolled: 2-line block ×7, first 2 shown]
	ds_load_2addr_b64 v[5:8], v53 offset0:192 offset1:224
	ds_load_b128 v[51:54], v41 offset:752
	v_pk_fma_f16 v10, v57, v72, v10 op_sel_hi:[1,0,1]
	v_pk_fma_f16 v55, v57, v72, v55 op_sel:[0,1,0]
	s_waitcnt lgkmcnt(2)
	v_pk_fma_f16 v57, v73, v77, v58 op_sel_hi:[1,0,1]
	v_pk_fma_f16 v9, v73, v77, v9 op_sel:[0,1,0]
	v_pk_fma_f16 v11, v73, v78, v11 op_sel_hi:[1,0,1]
	v_pk_fma_f16 v56, v73, v78, v56 op_sel:[0,1,0]
	;; [unrolled: 2-line block ×6, first 2 shown]
	v_pk_fma_f16 v77, v76, v79, v58 op_sel_hi:[1,0,1]
	ds_load_2addr_b64 v[55:58], v50 offset1:32
	ds_load_b128 v[69:72], v41 offset:768
	v_pk_fma_f16 v59, v76, v79, v59 op_sel:[0,1,0]
	v_pk_fma_f16 v10, v76, v80, v10 op_sel_hi:[1,0,1]
	v_pk_fma_f16 v73, v76, v80, v73 op_sel:[0,1,0]
	s_waitcnt lgkmcnt(2)
	v_pk_fma_f16 v74, v5, v51, v74 op_sel_hi:[1,0,1]
	v_pk_fma_f16 v9, v5, v51, v9 op_sel:[0,1,0]
	v_pk_fma_f16 v11, v5, v52, v11 op_sel_hi:[1,0,1]
	v_pk_fma_f16 v5, v5, v52, v75 op_sel:[0,1,0]
	;; [unrolled: 2-line block ×6, first 2 shown]
	v_pk_fma_f16 v7, v8, v53, v75 op_sel_hi:[1,0,1]
	ds_load_2addr_b64 v[73:76], v50 offset0:64 offset1:96
	ds_load_b128 v[77:80], v41 offset:784
	v_pk_fma_f16 v51, v8, v53, v51 op_sel:[0,1,0]
	v_pk_fma_f16 v10, v8, v54, v10 op_sel_hi:[1,0,1]
	v_pk_fma_f16 v6, v8, v54, v6 op_sel:[0,1,0]
	s_waitcnt lgkmcnt(2)
	v_pk_fma_f16 v8, v55, v69, v52 op_sel_hi:[1,0,1]
	v_pk_fma_f16 v9, v55, v69, v9 op_sel:[0,1,0]
	v_pk_fma_f16 v11, v55, v70, v11 op_sel_hi:[1,0,1]
	v_pk_fma_f16 v5, v55, v70, v5 op_sel:[0,1,0]
	;; [unrolled: 2-line block ×7, first 2 shown]
	ds_load_2addr_b64 v[5:8], v50 offset0:128 offset1:160
	ds_load_b128 v[51:54], v41 offset:800
	v_pk_fma_f16 v10, v58, v72, v10 op_sel_hi:[1,0,1]
	v_pk_fma_f16 v55, v58, v72, v55 op_sel:[0,1,0]
	s_waitcnt lgkmcnt(2)
	v_pk_fma_f16 v56, v73, v77, v56 op_sel_hi:[1,0,1]
	v_pk_fma_f16 v9, v73, v77, v9 op_sel:[0,1,0]
	v_pk_fma_f16 v11, v73, v78, v11 op_sel_hi:[1,0,1]
	v_pk_fma_f16 v57, v73, v78, v57 op_sel:[0,1,0]
	;; [unrolled: 2-line block ×6, first 2 shown]
	v_pk_fma_f16 v77, v76, v79, v58 op_sel_hi:[1,0,1]
	ds_load_2addr_b64 v[55:58], v50 offset0:192 offset1:224
	ds_load_b128 v[69:72], v41 offset:816
	v_pk_fma_f16 v59, v76, v79, v59 op_sel:[0,1,0]
	v_pk_fma_f16 v10, v76, v80, v10 op_sel_hi:[1,0,1]
	v_pk_fma_f16 v50, v76, v80, v73 op_sel:[0,1,0]
	s_waitcnt lgkmcnt(2)
	v_pk_fma_f16 v73, v5, v51, v74 op_sel_hi:[1,0,1]
	v_pk_fma_f16 v9, v5, v51, v9 op_sel:[0,1,0]
	v_pk_fma_f16 v11, v5, v52, v11 op_sel_hi:[1,0,1]
	v_pk_fma_f16 v5, v5, v52, v75 op_sel:[0,1,0]
	;; [unrolled: 2-line block ×7, first 2 shown]
	ds_load_2addr_b64 v[50:53], v49 offset1:32
	ds_load_b128 v[73:76], v41 offset:832
	v_pk_fma_f16 v10, v8, v54, v10 op_sel_hi:[1,0,1]
	v_pk_fma_f16 v6, v8, v54, v6 op_sel:[0,1,0]
	s_waitcnt lgkmcnt(2)
	v_pk_fma_f16 v8, v55, v69, v59 op_sel_hi:[1,0,1]
	v_pk_fma_f16 v9, v55, v69, v9 op_sel:[0,1,0]
	v_pk_fma_f16 v11, v55, v70, v11 op_sel_hi:[1,0,1]
	v_pk_fma_f16 v5, v55, v70, v5 op_sel:[0,1,0]
	v_pk_fma_f16 v7, v56, v69, v7 op_sel_hi:[1,0,1]
	v_pk_fma_f16 v54, v56, v69, v77 op_sel:[0,1,0]
	v_pk_fma_f16 v10, v56, v70, v10 op_sel_hi:[1,0,1]
	v_pk_fma_f16 v59, v56, v70, v6 op_sel:[0,1,0]
	v_pk_fma_f16 v69, v57, v71, v8 op_sel_hi:[1,0,1]
	v_pk_fma_f16 v9, v57, v71, v9 op_sel:[0,1,0]
	v_pk_fma_f16 v11, v57, v72, v11 op_sel_hi:[1,0,1]
	v_pk_fma_f16 v70, v57, v72, v5 op_sel:[0,1,0]
	v_pk_fma_f16 v77, v58, v71, v7 op_sel_hi:[1,0,1]
	v_pk_fma_f16 v71, v58, v71, v54 op_sel:[0,1,0]
	ds_load_2addr_b64 v[5:8], v49 offset0:64 offset1:96
	ds_load_b128 v[54:57], v41 offset:848
	v_pk_fma_f16 v10, v58, v72, v10 op_sel_hi:[1,0,1]
	v_pk_fma_f16 v58, v58, v72, v59 op_sel:[0,1,0]
	s_waitcnt lgkmcnt(2)
	v_pk_fma_f16 v59, v50, v73, v69 op_sel_hi:[1,0,1]
	v_pk_fma_f16 v9, v50, v73, v9 op_sel:[0,1,0]
	v_pk_fma_f16 v11, v50, v74, v11 op_sel_hi:[1,0,1]
	v_pk_fma_f16 v50, v50, v74, v70 op_sel:[0,1,0]
	v_pk_fma_f16 v69, v51, v73, v77 op_sel_hi:[1,0,1]
	v_pk_fma_f16 v70, v51, v73, v71 op_sel:[0,1,0]
	v_pk_fma_f16 v10, v51, v74, v10 op_sel_hi:[1,0,1]
	v_pk_fma_f16 v51, v51, v74, v58 op_sel:[0,1,0]
	v_pk_fma_f16 v58, v52, v75, v59 op_sel_hi:[1,0,1]
	v_pk_fma_f16 v9, v52, v75, v9 op_sel:[0,1,0]
	v_pk_fma_f16 v11, v52, v76, v11 op_sel_hi:[1,0,1]
	v_pk_fma_f16 v50, v52, v76, v50 op_sel:[0,1,0]
	v_pk_fma_f16 v52, v53, v75, v69 op_sel_hi:[1,0,1]
	v_pk_fma_f16 v59, v53, v75, v70 op_sel:[0,1,0]
	ds_load_2addr_b64 v[69:72], v49 offset0:128 offset1:160
	;; [unrolled: 19-line block ×3, first 2 shown]
	ds_load_b128 v[53:56], v41 offset:880
	v_pk_fma_f16 v10, v8, v57, v10 op_sel_hi:[1,0,1]
	v_pk_fma_f16 v6, v8, v57, v6 op_sel:[0,1,0]
	s_waitcnt lgkmcnt(2)
	v_pk_fma_f16 v8, v69, v77, v58 op_sel_hi:[1,0,1]
	v_pk_fma_f16 v9, v69, v77, v9 op_sel:[0,1,0]
	v_pk_fma_f16 v11, v69, v78, v11 op_sel_hi:[1,0,1]
	v_pk_fma_f16 v5, v69, v78, v5 op_sel:[0,1,0]
	v_pk_fma_f16 v7, v70, v77, v7 op_sel_hi:[1,0,1]
	v_pk_fma_f16 v57, v70, v77, v59 op_sel:[0,1,0]
	v_pk_fma_f16 v10, v70, v78, v10 op_sel_hi:[1,0,1]
	v_pk_fma_f16 v58, v70, v78, v6 op_sel:[0,1,0]
	v_pk_fma_f16 v59, v71, v79, v8 op_sel_hi:[1,0,1]
	v_pk_fma_f16 v9, v71, v79, v9 op_sel:[0,1,0]
	v_pk_fma_f16 v11, v71, v80, v11 op_sel_hi:[1,0,1]
	v_pk_fma_f16 v69, v71, v80, v5 op_sel:[0,1,0]
	v_pk_fma_f16 v70, v72, v79, v7 op_sel_hi:[1,0,1]
	ds_load_2addr_b64 v[5:8], v48 offset1:32
	ds_load_b128 v[73:76], v41 offset:896
	v_pk_fma_f16 v57, v72, v79, v57 op_sel:[0,1,0]
	v_pk_fma_f16 v10, v72, v80, v10 op_sel_hi:[1,0,1]
	v_pk_fma_f16 v58, v72, v80, v58 op_sel:[0,1,0]
	s_waitcnt lgkmcnt(2)
	v_pk_fma_f16 v59, v49, v53, v59 op_sel_hi:[1,0,1]
	v_pk_fma_f16 v9, v49, v53, v9 op_sel:[0,1,0]
	v_pk_fma_f16 v11, v49, v54, v11 op_sel_hi:[1,0,1]
	v_pk_fma_f16 v49, v49, v54, v69 op_sel:[0,1,0]
	;; [unrolled: 2-line block ×6, first 2 shown]
	v_pk_fma_f16 v51, v52, v55, v69 op_sel_hi:[1,0,1]
	ds_load_2addr_b64 v[69:72], v48 offset0:64 offset1:96
	ds_load_b128 v[77:80], v41 offset:912
	v_pk_fma_f16 v53, v52, v55, v53 op_sel:[0,1,0]
	v_pk_fma_f16 v10, v52, v56, v10 op_sel_hi:[1,0,1]
	v_pk_fma_f16 v50, v52, v56, v50 op_sel:[0,1,0]
	s_waitcnt lgkmcnt(2)
	v_pk_fma_f16 v52, v5, v73, v54 op_sel_hi:[1,0,1]
	v_pk_fma_f16 v9, v5, v73, v9 op_sel:[0,1,0]
	v_pk_fma_f16 v11, v5, v74, v11 op_sel_hi:[1,0,1]
	v_pk_fma_f16 v5, v5, v74, v49 op_sel:[0,1,0]
	;; [unrolled: 2-line block ×7, first 2 shown]
	ds_load_2addr_b64 v[49:52], v48 offset0:128 offset1:160
	ds_load_b128 v[53:56], v41 offset:928
	v_pk_fma_f16 v10, v8, v76, v10 op_sel_hi:[1,0,1]
	v_pk_fma_f16 v6, v8, v76, v6 op_sel:[0,1,0]
	s_waitcnt lgkmcnt(2)
	v_pk_fma_f16 v8, v69, v77, v57 op_sel_hi:[1,0,1]
	v_pk_fma_f16 v5, v69, v78, v5 op_sel:[0,1,0]
	v_pk_fma_f16 v7, v70, v77, v7 op_sel_hi:[1,0,1]
	v_pk_fma_f16 v9, v69, v77, v9 op_sel:[0,1,0]
	;; [unrolled: 2-line block ×5, first 2 shown]
	v_pk_fma_f16 v70, v72, v79, v7 op_sel_hi:[1,0,1]
	ds_load_2addr_b64 v[5:8], v48 offset0:192 offset1:224
	ds_load_b128 v[73:76], v41 offset:944
	v_pk_fma_f16 v9, v71, v79, v9 op_sel:[0,1,0]
	v_pk_fma_f16 v11, v71, v80, v11 op_sel_hi:[1,0,1]
	v_pk_fma_f16 v57, v72, v79, v57 op_sel:[0,1,0]
	v_pk_fma_f16 v10, v72, v80, v10 op_sel_hi:[1,0,1]
	v_pk_fma_f16 v48, v72, v80, v58 op_sel:[0,1,0]
	s_waitcnt lgkmcnt(2)
	v_pk_fma_f16 v58, v49, v53, v59 op_sel_hi:[1,0,1]
	v_pk_fma_f16 v9, v49, v53, v9 op_sel:[0,1,0]
	v_pk_fma_f16 v11, v49, v54, v11 op_sel_hi:[1,0,1]
	v_pk_fma_f16 v49, v49, v54, v69 op_sel:[0,1,0]
	;; [unrolled: 2-line block ×7, first 2 shown]
	ds_load_2addr_b64 v[48:51], v4 offset1:32
	ds_load_b128 v[69:72], v41 offset:960
	v_pk_fma_f16 v10, v52, v56, v10 op_sel_hi:[1,0,1]
	v_pk_fma_f16 v52, v52, v56, v54 op_sel:[0,1,0]
	s_waitcnt lgkmcnt(2)
	v_pk_fma_f16 v54, v5, v73, v57 op_sel_hi:[1,0,1]
	v_pk_fma_f16 v9, v5, v73, v9 op_sel:[0,1,0]
	v_pk_fma_f16 v11, v5, v74, v11 op_sel_hi:[1,0,1]
	v_pk_fma_f16 v5, v5, v74, v58 op_sel:[0,1,0]
	;; [unrolled: 2-line block ×7, first 2 shown]
	ds_load_2addr_b64 v[52:55], v4 offset0:64 offset1:96
	ds_load_b128 v[56:59], v41 offset:976
	v_pk_fma_f16 v10, v8, v76, v10 op_sel_hi:[1,0,1]
	v_pk_fma_f16 v6, v8, v76, v6 op_sel:[0,1,0]
	s_waitcnt lgkmcnt(2)
	v_pk_fma_f16 v8, v48, v69, v73 op_sel_hi:[1,0,1]
	v_pk_fma_f16 v9, v48, v69, v9 op_sel:[0,1,0]
	v_pk_fma_f16 v11, v48, v70, v11 op_sel_hi:[1,0,1]
	v_pk_fma_f16 v5, v48, v70, v5 op_sel:[0,1,0]
	;; [unrolled: 2-line block ×7, first 2 shown]
	ds_load_2addr_b64 v[5:8], v4 offset0:128 offset1:160
	ds_load_b128 v[73:76], v41 offset:992
	v_pk_fma_f16 v10, v51, v72, v10 op_sel_hi:[1,0,1]
	v_pk_fma_f16 v49, v51, v72, v49 op_sel:[0,1,0]
	s_waitcnt lgkmcnt(2)
	v_pk_fma_f16 v51, v52, v56, v69 op_sel_hi:[1,0,1]
	v_pk_fma_f16 v9, v52, v56, v9 op_sel:[0,1,0]
	v_pk_fma_f16 v11, v52, v57, v11 op_sel_hi:[1,0,1]
	v_pk_fma_f16 v50, v52, v57, v50 op_sel:[0,1,0]
	;; [unrolled: 2-line block ×8, first 2 shown]
	ds_load_b128 v[54:57], v41 offset:1008
	ds_load_2addr_b64 v[69:72], v4 offset0:192 offset1:224
	s_waitcnt lgkmcnt(0)
	s_barrier
	buffer_gl0_inv
	s_load_b32 s18, s[4:5], 0x4
	v_pk_fma_f16 v51, v5, v73, v51 op_sel_hi:[1,0,1]
	v_pk_fma_f16 v4, v5, v73, v9 op_sel:[0,1,0]
	v_pk_fma_f16 v9, v5, v74, v11 op_sel_hi:[1,0,1]
	v_pk_fma_f16 v5, v5, v74, v50 op_sel:[0,1,0]
	;; [unrolled: 2-line block ×12, first 2 shown]
	s_waitcnt lgkmcnt(0)
	s_lshl_b32 s18, s18, 7
	v_pk_fma_f16 v54, v71, v56, v8 op_sel_hi:[1,0,1]
	v_pk_fma_f16 v52, v71, v56, v4 op_sel:[0,1,0]
	v_pk_fma_f16 v50, v71, v57, v9 op_sel_hi:[1,0,1]
	v_pk_fma_f16 v49, v71, v57, v5 op_sel:[0,1,0]
	;; [unrolled: 2-line block ×4, first 2 shown]
	s_add_i32 s3, s18, s3
	s_delay_alu instid0(SALU_CYCLE_1)
	s_cmp_ge_i32 s3, s34
	s_cbranch_scc1 .LBB76_75
; %bb.74:                               ;   in Loop: Header=BB76_9 Depth=1
	v_dual_mov_b32 v59, v0 :: v_dual_mov_b32 v10, v3
	v_dual_mov_b32 v57, v1 :: v_dual_mov_b32 v58, v60
	;; [unrolled: 1-line block ×4, first 2 shown]
	s_branch .LBB76_9
.LBB76_75:
	v_mov_b32_e32 v6, v32
.LBB76_76:
	v_cmp_lt_i32_e32 vcc_lo, v68, v33
	s_cmp_lg_u64 s[24:25], 0
	s_cselect_b32 s3, -1, 0
	s_cmp_eq_u32 s14, 0
	v_cndmask_b32_e32 v4, v6, v68, vcc_lo
	v_cmp_lt_i32_e32 vcc_lo, v67, v33
	s_cselect_b32 s4, -1, 0
	s_delay_alu instid0(SALU_CYCLE_1) | instskip(SKIP_2) | instid1(VALU_DEP_2)
	s_and_b32 s3, s4, s3
	v_cndmask_b32_e32 v9, v6, v67, vcc_lo
	v_cmp_lt_i32_e32 vcc_lo, v66, v33
	v_lshlrev_b32_e32 v9, 2, v9
	v_lshlrev_b32_e32 v4, 2, v4
	ds_bpermute_b32 v5, v4, v60
	s_waitcnt lgkmcnt(0)
	v_add_f32_e32 v5, v60, v5
	ds_bpermute_b32 v7, v4, v61
	ds_bpermute_b32 v8, v4, v63
	;; [unrolled: 1-line block ×4, first 2 shown]
	s_waitcnt lgkmcnt(2)
	v_dual_add_f32 v7, v61, v7 :: v_dual_add_f32 v8, v63, v8
	s_waitcnt lgkmcnt(1)
	v_add_f32_e32 v4, v62, v4
	ds_bpermute_b32 v11, v9, v7
	ds_bpermute_b32 v14, v9, v8
	;; [unrolled: 1-line block ×3, first 2 shown]
	v_cndmask_b32_e32 v15, v6, v66, vcc_lo
	v_cmp_lt_i32_e32 vcc_lo, v65, v33
	s_waitcnt lgkmcnt(1)
	v_add_f32_e32 v8, v8, v14
	s_waitcnt lgkmcnt(0)
	v_dual_add_f32 v4, v4, v9 :: v_dual_lshlrev_b32 v15, 2, v15
	ds_bpermute_b32 v14, v15, v4
	v_add_f32_e32 v7, v7, v11
	ds_bpermute_b32 v11, v15, v8
	v_add_f32_e32 v5, v5, v10
	s_waitcnt lgkmcnt(1)
	v_add_f32_e32 v4, v4, v14
	ds_bpermute_b32 v10, v15, v7
	s_waitcnt lgkmcnt(1)
	v_add_f32_e32 v8, v8, v11
	ds_bpermute_b32 v9, v15, v5
	v_cndmask_b32_e32 v15, v6, v65, vcc_lo
	v_cmp_lt_i32_e32 vcc_lo, v64, v33
	v_cndmask_b32_e32 v6, v6, v64, vcc_lo
	s_and_b32 vcc_lo, exec_lo, s3
	s_delay_alu instid0(VALU_DEP_1)
	v_lshlrev_b32_e32 v6, 2, v6
	v_lshlrev_b32_e32 v15, 2, v15
	ds_bpermute_b32 v14, v15, v4
	s_waitcnt lgkmcnt(1)
	v_add_f32_e32 v5, v5, v9
	ds_bpermute_b32 v9, v15, v5
	s_waitcnt lgkmcnt(0)
	v_add_f32_e32 v5, v5, v9
	v_add_f32_e32 v9, v4, v14
	ds_bpermute_b32 v4, v6, v5
	ds_bpermute_b32 v14, v6, v9
	s_waitcnt lgkmcnt(1)
	v_add_f32_e32 v4, v5, v4
	ds_bpermute_b32 v11, v15, v8
	s_waitcnt lgkmcnt(0)
	v_dual_add_f32 v7, v7, v10 :: v_dual_add_f32 v8, v8, v11
	ds_bpermute_b32 v10, v15, v7
	ds_bpermute_b32 v11, v6, v8
	s_waitcnt lgkmcnt(1)
	v_add_f32_e32 v7, v7, v10
	ds_bpermute_b32 v10, v6, v7
	s_waitcnt lgkmcnt(0)
	v_dual_add_f32 v6, v8, v11 :: v_dual_add_f32 v5, v7, v10
	v_add_f32_e32 v7, v9, v14
	s_cbranch_vccz .LBB76_79
; %bb.77:
	s_ashr_i32 s3, s2, 31
	v_dual_mov_b32 v8, 0 :: v_dual_max_f32 v15, v1, v1
	s_lshl_b64 s[4:5], s[2:3], 2
	s_delay_alu instid0(SALU_CYCLE_1)
	s_add_u32 s4, s24, s4
	s_addc_u32 s5, s25, s5
	global_load_b128 v[8:11], v8, s[4:5]
	v_max_f32_e32 v14, v0, v0
	s_waitcnt vmcnt(0)
	v_dual_max_f32 v16, v2, v2 :: v_dual_max_f32 v17, v8, v8
	v_dual_max_f32 v19, v9, v9 :: v_dual_max_f32 v20, v10, v10
	s_delay_alu instid0(VALU_DEP_2) | instskip(NEXT) | instid1(VALU_DEP_2)
	v_dual_max_f32 v21, v11, v11 :: v_dual_max_f32 v14, v14, v17
	v_dual_max_f32 v15, v15, v19 :: v_dual_max_f32 v16, v16, v20
	v_max_f32_e32 v18, v3, v3
	s_delay_alu instid0(VALU_DEP_2) | instskip(SKIP_1) | instid1(VALU_DEP_3)
	v_dual_sub_f32 v8, v8, v14 :: v_dual_sub_f32 v9, v9, v15
	v_sub_f32_e32 v19, v1, v15
	v_dual_max_f32 v17, v18, v21 :: v_dual_sub_f32 v18, v0, v14
	v_sub_f32_e32 v20, v2, v16
	s_delay_alu instid0(VALU_DEP_2)
	v_dual_sub_f32 v10, v10, v16 :: v_dual_sub_f32 v11, v11, v17
	v_dual_sub_f32 v21, v3, v17 :: v_dual_mov_b32 v0, v14
	v_dual_mov_b32 v1, v15 :: v_dual_mov_b32 v2, v16
	v_mov_b32_e32 v3, v17
	v_dual_mul_f32 v15, 0x3fb8aa3b, v8 :: v_dual_mul_f32 v14, 0x3fb8aa3b, v18
	v_dual_mul_f32 v17, 0x3fb8aa3b, v9 :: v_dual_mul_f32 v16, 0x3fb8aa3b, v19
	v_mul_f32_e32 v23, 0x3fb8aa3b, v10
	s_delay_alu instid0(VALU_DEP_3) | instskip(NEXT) | instid1(VALU_DEP_4)
	v_fma_f32 v28, 0x3fb8aa3b, v8, -v15
	v_fma_f32 v26, 0x3fb8aa3b, v18, -v14
	v_rndne_f32_e32 v27, v14
	v_rndne_f32_e32 v29, v15
	v_fma_f32 v33, 0x3fb8aa3b, v9, -v17
	v_fma_f32 v37, 0x3fb8aa3b, v10, -v23
	v_fmac_f32_e32 v26, 0x32a5705f, v18
	v_sub_f32_e32 v14, v14, v27
	v_dual_mul_f32 v22, 0x3fb8aa3b, v20 :: v_dual_mul_f32 v25, 0x3fb8aa3b, v11
	v_fma_f32 v30, 0x3fb8aa3b, v19, -v16
	v_rndne_f32_e32 v32, v16
	v_dual_fmac_f32 v28, 0x32a5705f, v8 :: v_dual_fmac_f32 v37, 0x32a5705f, v10
	v_sub_f32_e32 v15, v15, v29
	v_dual_fmac_f32 v33, 0x32a5705f, v9 :: v_dual_add_f32 v14, v14, v26
	v_rndne_f32_e32 v34, v17
	v_mul_f32_e32 v24, 0x3fb8aa3b, v21
	v_fma_f32 v35, 0x3fb8aa3b, v20, -v22
	v_rndne_f32_e32 v38, v23
	v_fmac_f32_e32 v30, 0x32a5705f, v19
	v_sub_f32_e32 v16, v16, v32
	v_add_f32_e32 v15, v15, v28
	v_exp_f32_e32 v14, v14
	v_sub_f32_e32 v23, v23, v38
	v_rndne_f32_e32 v36, v22
	v_fma_f32 v41, 0x3fb8aa3b, v11, -v25
	v_rndne_f32_e32 v42, v25
	v_cvt_i32_f32_e32 v27, v27
	v_sub_f32_e32 v17, v17, v34
	v_fma_f32 v39, 0x3fb8aa3b, v21, -v24
	v_rndne_f32_e32 v40, v24
	v_dual_fmac_f32 v35, 0x32a5705f, v20 :: v_dual_add_f32 v16, v16, v30
	s_delay_alu instid0(VALU_DEP_4) | instskip(SKIP_4) | instid1(VALU_DEP_2)
	v_add_f32_e32 v17, v17, v33
	v_exp_f32_e32 v15, v15
	v_cvt_i32_f32_e32 v29, v29
	v_dual_sub_f32 v22, v22, v36 :: v_dual_fmac_f32 v39, 0x32a5705f, v21
	v_dual_sub_f32 v24, v24, v40 :: v_dual_fmac_f32 v41, 0x32a5705f, v11
	v_dual_sub_f32 v25, v25, v42 :: v_dual_add_f32 v22, v22, v35
	v_exp_f32_e32 v16, v16
	v_ldexp_f32 v14, v14, v27
	v_cmp_ngt_f32_e32 vcc_lo, 0xc2ce8ed0, v18
	v_cvt_i32_f32_e32 v32, v32
	v_add_f32_e32 v25, v25, v41
	v_exp_f32_e32 v17, v17
	v_ldexp_f32 v15, v15, v29
	v_cndmask_b32_e32 v14, 0, v14, vcc_lo
	v_cmp_ngt_f32_e32 vcc_lo, 0xc2ce8ed0, v8
	v_cvt_i32_f32_e32 v34, v34
	v_dual_add_f32 v23, v23, v37 :: v_dual_add_f32 v24, v24, v39
	v_exp_f32_e32 v22, v22
	v_ldexp_f32 v16, v16, v32
	v_cndmask_b32_e32 v15, 0, v15, vcc_lo
	v_cmp_ngt_f32_e32 vcc_lo, 0xc2ce8ed0, v19
	v_cvt_i32_f32_e32 v36, v36
	v_exp_f32_e32 v23, v23
	v_ldexp_f32 v17, v17, v34
	v_cvt_i32_f32_e32 v38, v38
	v_cndmask_b32_e32 v16, 0, v16, vcc_lo
	v_cmp_ngt_f32_e32 vcc_lo, 0xc2ce8ed0, v9
	v_exp_f32_e32 v24, v24
	v_ldexp_f32 v22, v22, v36
	v_exp_f32_e32 v25, v25
	v_cvt_i32_f32_e32 v26, v40
	v_cndmask_b32_e32 v17, 0, v17, vcc_lo
	v_cmp_ngt_f32_e32 vcc_lo, 0xc2ce8ed0, v20
	v_ldexp_f32 v23, v23, v38
	v_cvt_i32_f32_e32 v28, v42
	v_cndmask_b32_e32 v22, 0, v22, vcc_lo
	v_cmp_ngt_f32_e32 vcc_lo, 0xc2ce8ed0, v10
	v_ldexp_f32 v24, v24, v26
	s_delay_alu instid0(TRANS32_DEP_1) | instid1(VALU_DEP_4)
	v_ldexp_f32 v25, v25, v28
	v_cndmask_b32_e32 v23, 0, v23, vcc_lo
	v_cmp_ngt_f32_e32 vcc_lo, 0xc2ce8ed0, v21
	s_delay_alu instid0(VALU_DEP_4)
	v_cndmask_b32_e32 v24, 0, v24, vcc_lo
	v_cmp_ngt_f32_e32 vcc_lo, 0xc2ce8ed0, v11
	v_cndmask_b32_e32 v25, 0, v25, vcc_lo
	v_cmp_nlt_f32_e32 vcc_lo, 0x42b17218, v18
	v_cndmask_b32_e32 v14, 0x7f800000, v14, vcc_lo
	v_cmp_nlt_f32_e32 vcc_lo, 0x42b17218, v8
	;; [unrolled: 2-line block ×7, first 2 shown]
	s_delay_alu instid0(VALU_DEP_2) | instskip(SKIP_4) | instid1(VALU_DEP_3)
	v_dual_fmac_f32 v10, v6, v16 :: v_dual_fmac_f32 v9, v5, v15
	v_fmac_f32_e32 v8, v4, v14
	v_cvt_f16_f32_e32 v4, v14
	v_cndmask_b32_e32 v17, 0x7f800000, v24, vcc_lo
	v_cmp_nlt_f32_e32 vcc_lo, 0x42b17218, v11
	v_pk_mul_f16 v54, v4, v54 op_sel_hi:[0,1]
	v_pk_mul_f16 v55, v4, v55 op_sel_hi:[0,1]
	v_mov_b32_e32 v4, v8
	v_cvt_f16_f32_e32 v5, v15
	v_cndmask_b32_e32 v11, 0x7f800000, v25, vcc_lo
	s_delay_alu instid0(VALU_DEP_2) | instskip(SKIP_3) | instid1(VALU_DEP_1)
	v_pk_mul_f16 v52, v5, v52 op_sel_hi:[0,1]
	v_pk_mul_f16 v53, v5, v53 op_sel_hi:[0,1]
	v_mov_b32_e32 v5, v9
	v_cvt_f16_f32_e32 v6, v16
	v_pk_mul_f16 v50, v6, v50 op_sel_hi:[0,1]
	v_pk_mul_f16 v51, v6, v51 op_sel_hi:[0,1]
	v_dual_mov_b32 v6, v10 :: v_dual_fmac_f32 v11, v7, v17
	v_cvt_f16_f32_e32 v7, v17
	s_delay_alu instid0(VALU_DEP_1) | instskip(SKIP_1) | instid1(VALU_DEP_4)
	v_pk_mul_f16 v49, v7, v49 op_sel_hi:[0,1]
	v_pk_mul_f16 v48, v7, v48 op_sel_hi:[0,1]
	v_mov_b32_e32 v7, v11
	s_mov_b32 s3, exec_lo
	v_cmpx_gt_i32_e64 s6, v12
	s_cbranch_execnz .LBB76_80
.LBB76_78:
	s_nop 0
	s_sendmsg sendmsg(MSG_DEALLOC_VGPRS)
	s_endpgm
.LBB76_79:
	s_delay_alu instid0(VALU_DEP_1) | instskip(NEXT) | instid1(VALU_DEP_3)
	v_dual_mov_b32 v11, v7 :: v_dual_mov_b32 v10, v6
	v_dual_mov_b32 v9, v5 :: v_dual_mov_b32 v8, v4
	s_mov_b32 s3, exec_lo
	v_cmpx_gt_i32_e64 s6, v12
	s_cbranch_execz .LBB76_78
.LBB76_80:
	s_load_b32 s1, s[0:1], 0xd4
	v_mov_b32_e32 v16, 1.0
	s_waitcnt lgkmcnt(0)
	s_cmp_lg_u32 s1, 1
	s_cselect_b32 s4, -1, 0
	s_cmp_eq_u32 s1, 1
	s_cselect_b32 s3, -1, 0
	s_and_b32 vcc_lo, exec_lo, s4
	s_cbranch_vccnz .LBB76_82
; %bb.81:
	v_div_scale_f32 v14, null, v4, v4, 1.0
	s_delay_alu instid0(VALU_DEP_1) | instskip(SKIP_2) | instid1(VALU_DEP_1)
	v_rcp_f32_e32 v15, v14
	s_waitcnt_depctr 0xfff
	v_fma_f32 v16, -v14, v15, 1.0
	v_fmac_f32_e32 v15, v16, v15
	v_div_scale_f32 v16, vcc_lo, 1.0, v4, 1.0
	s_delay_alu instid0(VALU_DEP_1) | instskip(NEXT) | instid1(VALU_DEP_1)
	v_mul_f32_e32 v17, v16, v15
	v_fma_f32 v18, -v14, v17, v16
	s_delay_alu instid0(VALU_DEP_1) | instskip(NEXT) | instid1(VALU_DEP_1)
	v_fmac_f32_e32 v17, v18, v15
	v_fma_f32 v14, -v14, v17, v16
	s_delay_alu instid0(VALU_DEP_1) | instskip(NEXT) | instid1(VALU_DEP_1)
	v_div_fmas_f32 v14, v14, v15, v17
	v_div_fixup_f32 v16, v14, v4, 1.0
.LBB76_82:
	v_mad_u64_u32 v[14:15], null, s12, s6, v[12:13]
	v_lshrrev_b32_e32 v4, 16, v54
	v_cmp_eq_u32_e32 vcc_lo, 0, v13
	s_delay_alu instid0(VALU_DEP_2) | instskip(NEXT) | instid1(VALU_DEP_4)
	v_cvt_f32_f16_e32 v4, v4
	v_mad_u64_u32 v[17:18], null, v14, s7, s[2:3]
	v_mov_b32_e32 v13, 0
	v_cvt_f32_f16_e32 v18, v55
	s_delay_alu instid0(VALU_DEP_1) | instskip(SKIP_4) | instid1(VALU_DEP_2)
	v_mul_f32_e32 v19, v16, v18
	v_mul_f32_e32 v18, v16, v4
	v_mad_u64_u32 v[14:15], null, s1, v17, s[14:15]
	v_lshrrev_b32_e32 v15, 16, v55
	v_cvt_f32_f16_e32 v17, v54
	v_cvt_f32_f16_e32 v15, v15
	s_delay_alu instid0(VALU_DEP_4) | instskip(NEXT) | instid1(VALU_DEP_3)
	v_lshl_add_u32 v12, v14, 7, v31
	v_mul_f32_e32 v17, v16, v17
	s_delay_alu instid0(VALU_DEP_3) | instskip(NEXT) | instid1(VALU_DEP_3)
	v_mul_f32_e32 v20, v16, v15
	v_lshlrev_b64 v[12:13], 2, v[12:13]
	s_delay_alu instid0(VALU_DEP_1) | instskip(NEXT) | instid1(VALU_DEP_1)
	v_add_co_u32 v12, s0, s28, v12
	v_add_co_ci_u32_e64 v13, s0, s29, v13, s0
	s_and_b32 s0, vcc_lo, s4
	global_store_b128 v[12:13], v[17:20], off
	s_and_saveexec_b32 s2, s0
	s_cbranch_execz .LBB76_84
; %bb.83:
	v_ashrrev_i32_e32 v15, 31, v14
	v_mov_b32_e32 v16, v8
	s_delay_alu instid0(VALU_DEP_2) | instskip(SKIP_1) | instid1(VALU_DEP_2)
	v_lshlrev_b64 v[12:13], 3, v[14:15]
	v_mov_b32_e32 v15, v0
	v_add_co_u32 v12, vcc_lo, s30, v12
	s_delay_alu instid0(VALU_DEP_3)
	v_add_co_ci_u32_e32 v13, vcc_lo, s31, v13, vcc_lo
	global_store_b64 v[12:13], v[15:16], off
.LBB76_84:
	s_or_b32 exec_lo, exec_lo, s2
	v_cndmask_b32_e64 v12, 0, 1, s3
	v_mov_b32_e32 v0, 1.0
	s_and_not1_b32 vcc_lo, exec_lo, s3
	s_cbranch_vccnz .LBB76_86
; %bb.85:
	v_div_scale_f32 v0, null, v5, v5, 1.0
	s_delay_alu instid0(VALU_DEP_1) | instskip(SKIP_2) | instid1(VALU_DEP_1)
	v_rcp_f32_e32 v4, v0
	s_waitcnt_depctr 0xfff
	v_fma_f32 v8, -v0, v4, 1.0
	v_fmac_f32_e32 v4, v8, v4
	v_div_scale_f32 v8, vcc_lo, 1.0, v5, 1.0
	s_delay_alu instid0(VALU_DEP_1) | instskip(NEXT) | instid1(VALU_DEP_1)
	v_mul_f32_e32 v13, v8, v4
	v_fma_f32 v15, -v0, v13, v8
	s_delay_alu instid0(VALU_DEP_1) | instskip(NEXT) | instid1(VALU_DEP_1)
	v_fmac_f32_e32 v13, v15, v4
	v_fma_f32 v0, -v0, v13, v8
	s_delay_alu instid0(VALU_DEP_1) | instskip(NEXT) | instid1(VALU_DEP_1)
	v_div_fmas_f32 v0, v0, v4, v13
	v_div_fixup_f32 v0, v0, v5, 1.0
.LBB76_86:
	v_cvt_f32_f16_e32 v15, v52
	v_add_nc_u32_e32 v4, s1, v14
	v_cvt_f32_f16_e32 v16, v53
	v_mov_b32_e32 v14, 0
	v_lshrrev_b32_e32 v5, 16, v52
	v_lshrrev_b32_e32 v8, 16, v53
	v_lshl_add_u32 v13, v4, 7, v31
	s_delay_alu instid0(VALU_DEP_3) | instskip(NEXT) | instid1(VALU_DEP_3)
	v_cvt_f32_f16_e32 v5, v5
	v_cvt_f32_f16_e32 v8, v8
	s_delay_alu instid0(VALU_DEP_3)
	v_lshlrev_b64 v[17:18], 2, v[13:14]
	v_mul_f32_e32 v13, v0, v15
	v_mul_f32_e32 v15, v0, v16
	;; [unrolled: 1-line block ×4, first 2 shown]
	v_add_co_u32 v17, vcc_lo, s28, v17
	v_add_co_ci_u32_e32 v18, vcc_lo, s29, v18, vcc_lo
	global_store_b128 v[17:18], v[13:16], off
	s_and_saveexec_b32 s2, s0
	s_cbranch_execz .LBB76_88
; %bb.87:
	v_ashrrev_i32_e32 v5, 31, v4
	v_mov_b32_e32 v8, v1
	s_delay_alu instid0(VALU_DEP_2) | instskip(NEXT) | instid1(VALU_DEP_1)
	v_lshlrev_b64 v[13:14], 3, v[4:5]
	v_add_co_u32 v13, vcc_lo, s30, v13
	s_delay_alu instid0(VALU_DEP_2)
	v_add_co_ci_u32_e32 v14, vcc_lo, s31, v14, vcc_lo
	global_store_b64 v[13:14], v[8:9], off
.LBB76_88:
	s_or_b32 exec_lo, exec_lo, s2
	v_cmp_ne_u32_e32 vcc_lo, 1, v12
	v_mov_b32_e32 v1, 1.0
	s_cbranch_vccnz .LBB76_90
; %bb.89:
	v_div_scale_f32 v0, null, v6, v6, 1.0
	s_delay_alu instid0(VALU_DEP_1) | instskip(SKIP_2) | instid1(VALU_DEP_1)
	v_rcp_f32_e32 v1, v0
	s_waitcnt_depctr 0xfff
	v_fma_f32 v5, -v0, v1, 1.0
	v_fmac_f32_e32 v1, v5, v1
	v_div_scale_f32 v5, vcc_lo, 1.0, v6, 1.0
	s_delay_alu instid0(VALU_DEP_1) | instskip(NEXT) | instid1(VALU_DEP_1)
	v_mul_f32_e32 v8, v5, v1
	v_fma_f32 v9, -v0, v8, v5
	s_delay_alu instid0(VALU_DEP_1) | instskip(NEXT) | instid1(VALU_DEP_1)
	v_fmac_f32_e32 v8, v9, v1
	v_fma_f32 v0, -v0, v8, v5
	s_delay_alu instid0(VALU_DEP_1) | instskip(NEXT) | instid1(VALU_DEP_1)
	v_div_fmas_f32 v0, v0, v1, v8
	v_div_fixup_f32 v1, v0, v6, 1.0
.LBB76_90:
	v_dual_mov_b32 v5, 0 :: v_dual_add_nc_u32 v0, s1, v4
	v_lshrrev_b32_e32 v6, 16, v50
	v_lshrrev_b32_e32 v8, 16, v51
	v_cvt_f32_f16_e32 v9, v50
	s_delay_alu instid0(VALU_DEP_4)
	v_lshl_add_u32 v4, v0, 7, v31
	v_cvt_f32_f16_e32 v14, v51
	v_cvt_f32_f16_e32 v6, v6
	;; [unrolled: 1-line block ×3, first 2 shown]
	v_mul_f32_e32 v13, v1, v9
	v_lshlrev_b64 v[4:5], 2, v[4:5]
	v_mul_f32_e32 v15, v1, v14
	v_mul_f32_e32 v14, v1, v6
	;; [unrolled: 1-line block ×3, first 2 shown]
	s_delay_alu instid0(VALU_DEP_4)
	v_add_co_u32 v4, vcc_lo, s28, v4
	v_add_co_ci_u32_e32 v5, vcc_lo, s29, v5, vcc_lo
	global_store_b128 v[4:5], v[13:16], off
	s_and_saveexec_b32 s2, s0
	s_cbranch_execz .LBB76_92
; %bb.91:
	v_ashrrev_i32_e32 v1, 31, v0
	v_mov_b32_e32 v9, v2
	s_delay_alu instid0(VALU_DEP_2) | instskip(NEXT) | instid1(VALU_DEP_1)
	v_lshlrev_b64 v[4:5], 3, v[0:1]
	v_add_co_u32 v4, vcc_lo, s30, v4
	s_delay_alu instid0(VALU_DEP_2)
	v_add_co_ci_u32_e32 v5, vcc_lo, s31, v5, vcc_lo
	global_store_b64 v[4:5], v[9:10], off
.LBB76_92:
	s_or_b32 exec_lo, exec_lo, s2
	v_cmp_ne_u32_e32 vcc_lo, 1, v12
	v_mov_b32_e32 v1, 1.0
	s_cbranch_vccnz .LBB76_94
; %bb.93:
	v_div_scale_f32 v1, null, v7, v7, 1.0
	s_delay_alu instid0(VALU_DEP_1) | instskip(SKIP_2) | instid1(VALU_DEP_1)
	v_rcp_f32_e32 v2, v1
	s_waitcnt_depctr 0xfff
	v_fma_f32 v4, -v1, v2, 1.0
	v_fmac_f32_e32 v2, v4, v2
	v_div_scale_f32 v4, vcc_lo, 1.0, v7, 1.0
	s_delay_alu instid0(VALU_DEP_1) | instskip(NEXT) | instid1(VALU_DEP_1)
	v_mul_f32_e32 v5, v4, v2
	v_fma_f32 v6, -v1, v5, v4
	s_delay_alu instid0(VALU_DEP_1) | instskip(NEXT) | instid1(VALU_DEP_1)
	v_fmac_f32_e32 v5, v6, v2
	v_fma_f32 v1, -v1, v5, v4
	s_delay_alu instid0(VALU_DEP_1) | instskip(NEXT) | instid1(VALU_DEP_1)
	v_div_fmas_f32 v1, v1, v2, v5
	v_div_fixup_f32 v1, v1, v7, 1.0
.LBB76_94:
	v_dual_mov_b32 v5, 0 :: v_dual_add_nc_u32 v0, s1, v0
	v_lshrrev_b32_e32 v2, 16, v49
	v_lshrrev_b32_e32 v6, 16, v48
	v_cvt_f32_f16_e32 v7, v49
	s_delay_alu instid0(VALU_DEP_4) | instskip(SKIP_3) | instid1(VALU_DEP_4)
	v_lshl_add_u32 v4, v0, 7, v31
	v_cvt_f32_f16_e32 v10, v48
	v_cvt_f32_f16_e32 v2, v2
	;; [unrolled: 1-line block ×3, first 2 shown]
	v_lshlrev_b64 v[8:9], 2, v[4:5]
	v_mul_f32_e32 v4, v1, v7
	v_mul_f32_e32 v6, v1, v10
	v_mul_f32_e32 v5, v1, v2
	v_mul_f32_e32 v7, v1, v12
	v_add_co_u32 v1, vcc_lo, s28, v8
	v_add_co_ci_u32_e32 v2, vcc_lo, s29, v9, vcc_lo
	global_store_b128 v[1:2], v[4:7], off
	s_and_b32 exec_lo, exec_lo, s0
	s_cbranch_execz .LBB76_78
; %bb.95:
	v_ashrrev_i32_e32 v1, 31, v0
	v_mov_b32_e32 v10, v3
	s_delay_alu instid0(VALU_DEP_2) | instskip(NEXT) | instid1(VALU_DEP_1)
	v_lshlrev_b64 v[0:1], 3, v[0:1]
	v_add_co_u32 v0, vcc_lo, s30, v0
	s_delay_alu instid0(VALU_DEP_2)
	v_add_co_ci_u32_e32 v1, vcc_lo, s31, v1, vcc_lo
	global_store_b64 v[0:1], v[10:11], off
	s_nop 0
	s_sendmsg sendmsg(MSG_DEALLOC_VGPRS)
	s_endpgm
	.section	.rodata,"a",@progbits
	.p2align	6, 0x0
	.amdhsa_kernel _ZL15flash_attn_tileILi128ELi128ELi8ELi4ELb1EEvPKcS1_S1_S1_S1_PKiPfP15HIP_vector_typeIfLj2EEffffjfiS5_IjLj3EEiiiiiiiiiiiliiliiiiil
		.amdhsa_group_segment_fixed_size 34816
		.amdhsa_private_segment_fixed_size 0
		.amdhsa_kernarg_size 464
		.amdhsa_user_sgpr_count 13
		.amdhsa_user_sgpr_dispatch_ptr 0
		.amdhsa_user_sgpr_queue_ptr 0
		.amdhsa_user_sgpr_kernarg_segment_ptr 1
		.amdhsa_user_sgpr_dispatch_id 0
		.amdhsa_user_sgpr_private_segment_size 0
		.amdhsa_wavefront_size32 1
		.amdhsa_uses_dynamic_stack 0
		.amdhsa_enable_private_segment 0
		.amdhsa_system_sgpr_workgroup_id_x 1
		.amdhsa_system_sgpr_workgroup_id_y 1
		.amdhsa_system_sgpr_workgroup_id_z 1
		.amdhsa_system_sgpr_workgroup_info 0
		.amdhsa_system_vgpr_workitem_id 1
		.amdhsa_next_free_vgpr 249
		.amdhsa_next_free_sgpr 40
		.amdhsa_reserve_vcc 1
		.amdhsa_float_round_mode_32 0
		.amdhsa_float_round_mode_16_64 0
		.amdhsa_float_denorm_mode_32 3
		.amdhsa_float_denorm_mode_16_64 3
		.amdhsa_dx10_clamp 1
		.amdhsa_ieee_mode 1
		.amdhsa_fp16_overflow 0
		.amdhsa_workgroup_processor_mode 1
		.amdhsa_memory_ordered 1
		.amdhsa_forward_progress 0
		.amdhsa_shared_vgpr_count 0
		.amdhsa_exception_fp_ieee_invalid_op 0
		.amdhsa_exception_fp_denorm_src 0
		.amdhsa_exception_fp_ieee_div_zero 0
		.amdhsa_exception_fp_ieee_overflow 0
		.amdhsa_exception_fp_ieee_underflow 0
		.amdhsa_exception_fp_ieee_inexact 0
		.amdhsa_exception_int_div_zero 0
	.end_amdhsa_kernel
	.section	.text._ZL15flash_attn_tileILi128ELi128ELi8ELi4ELb1EEvPKcS1_S1_S1_S1_PKiPfP15HIP_vector_typeIfLj2EEffffjfiS5_IjLj3EEiiiiiiiiiiiliiliiiiil,"axG",@progbits,_ZL15flash_attn_tileILi128ELi128ELi8ELi4ELb1EEvPKcS1_S1_S1_S1_PKiPfP15HIP_vector_typeIfLj2EEffffjfiS5_IjLj3EEiiiiiiiiiiiliiliiiiil,comdat
.Lfunc_end76:
	.size	_ZL15flash_attn_tileILi128ELi128ELi8ELi4ELb1EEvPKcS1_S1_S1_S1_PKiPfP15HIP_vector_typeIfLj2EEffffjfiS5_IjLj3EEiiiiiiiiiiiliiliiiiil, .Lfunc_end76-_ZL15flash_attn_tileILi128ELi128ELi8ELi4ELb1EEvPKcS1_S1_S1_S1_PKiPfP15HIP_vector_typeIfLj2EEffffjfiS5_IjLj3EEiiiiiiiiiiiliiliiiiil
                                        ; -- End function
	.section	.AMDGPU.csdata,"",@progbits
; Kernel info:
; codeLenInByte = 43892
; NumSgprs: 42
; NumVgprs: 249
; ScratchSize: 0
; MemoryBound: 0
; FloatMode: 240
; IeeeMode: 1
; LDSByteSize: 34816 bytes/workgroup (compile time only)
; SGPRBlocks: 5
; VGPRBlocks: 31
; NumSGPRsForWavesPerEU: 42
; NumVGPRsForWavesPerEU: 249
; Occupancy: 5
; WaveLimiterHint : 1
; COMPUTE_PGM_RSRC2:SCRATCH_EN: 0
; COMPUTE_PGM_RSRC2:USER_SGPR: 13
; COMPUTE_PGM_RSRC2:TRAP_HANDLER: 0
; COMPUTE_PGM_RSRC2:TGID_X_EN: 1
; COMPUTE_PGM_RSRC2:TGID_Y_EN: 1
; COMPUTE_PGM_RSRC2:TGID_Z_EN: 1
; COMPUTE_PGM_RSRC2:TIDIG_COMP_CNT: 1
	.section	.text._ZL15flash_attn_tileILi128ELi128ELi4ELi4ELb1EEvPKcS1_S1_S1_S1_PKiPfP15HIP_vector_typeIfLj2EEffffjfiS5_IjLj3EEiiiiiiiiiiiliiliiiiil,"axG",@progbits,_ZL15flash_attn_tileILi128ELi128ELi4ELi4ELb1EEvPKcS1_S1_S1_S1_PKiPfP15HIP_vector_typeIfLj2EEffffjfiS5_IjLj3EEiiiiiiiiiiiliiliiiiil,comdat
	.globl	_ZL15flash_attn_tileILi128ELi128ELi4ELi4ELb1EEvPKcS1_S1_S1_S1_PKiPfP15HIP_vector_typeIfLj2EEffffjfiS5_IjLj3EEiiiiiiiiiiiliiliiiiil ; -- Begin function _ZL15flash_attn_tileILi128ELi128ELi4ELi4ELb1EEvPKcS1_S1_S1_S1_PKiPfP15HIP_vector_typeIfLj2EEffffjfiS5_IjLj3EEiiiiiiiiiiiliiliiiiil
	.p2align	8
	.type	_ZL15flash_attn_tileILi128ELi128ELi4ELi4ELb1EEvPKcS1_S1_S1_S1_PKiPfP15HIP_vector_typeIfLj2EEffffjfiS5_IjLj3EEiiiiiiiiiiiliiliiiiil,@function
_ZL15flash_attn_tileILi128ELi128ELi4ELi4ELb1EEvPKcS1_S1_S1_S1_PKiPfP15HIP_vector_typeIfLj2EEffffjfiS5_IjLj3EEiiiiiiiiiiiliiliiiiil: ; @_ZL15flash_attn_tileILi128ELi128ELi4ELi4ELb1EEvPKcS1_S1_S1_S1_PKiPfP15HIP_vector_typeIfLj2EEffffjfiS5_IjLj3EEiiiiiiiiiiiliiliiiiil
; %bb.0:
	s_clause 0x1
	s_load_b128 s[4:7], s[0:1], 0x5c
	s_load_b64 s[2:3], s[0:1], 0x80
	s_mov_b64 s[34:35], 0
	s_waitcnt lgkmcnt(0)
	s_ashr_i32 s8, s7, 31
	s_delay_alu instid0(SALU_CYCLE_1) | instskip(NEXT) | instid1(SALU_CYCLE_1)
	s_lshr_b32 s8, s8, 30
	s_add_i32 s8, s7, s8
	s_delay_alu instid0(SALU_CYCLE_1) | instskip(NEXT) | instid1(SALU_CYCLE_1)
	s_ashr_i32 s8, s8, 2
	v_cvt_f32_u32_e32 v1, s8
	s_sub_i32 s10, 0, s8
	s_delay_alu instid0(VALU_DEP_1) | instskip(SKIP_2) | instid1(VALU_DEP_1)
	v_rcp_iflag_f32_e32 v1, v1
	s_waitcnt_depctr 0xfff
	v_mul_f32_e32 v1, 0x4f7ffffe, v1
	v_cvt_u32_f32_e32 v1, v1
	s_delay_alu instid0(VALU_DEP_1) | instskip(NEXT) | instid1(VALU_DEP_1)
	v_readfirstlane_b32 s9, v1
	s_mul_i32 s10, s10, s9
	s_delay_alu instid0(SALU_CYCLE_1) | instskip(NEXT) | instid1(SALU_CYCLE_1)
	s_mul_hi_u32 s10, s9, s10
	s_add_i32 s9, s9, s10
	s_delay_alu instid0(SALU_CYCLE_1) | instskip(NEXT) | instid1(SALU_CYCLE_1)
	s_mul_hi_u32 s9, s15, s9
	s_mul_i32 s10, s9, s8
	s_add_i32 s11, s9, 1
	s_sub_i32 s10, s15, s10
	s_delay_alu instid0(SALU_CYCLE_1)
	s_sub_i32 s12, s10, s8
	s_cmp_ge_u32 s10, s8
	s_cselect_b32 s9, s11, s9
	s_cselect_b32 s10, s12, s10
	s_add_i32 s11, s9, 1
	s_cmp_ge_u32 s10, s8
	s_cselect_b32 s12, s11, s9
	s_abs_i32 s8, s3
	s_abs_i32 s16, s7
	v_cvt_f32_u32_e32 v1, s8
	s_sub_i32 s10, 0, s8
	s_lshl_b32 s11, s15, 2
	s_mul_i32 s15, s12, s7
	s_xor_b32 s3, s7, s3
	v_rcp_iflag_f32_e32 v1, v1
	s_sub_i32 s15, s11, s15
	s_ashr_i32 s3, s3, 31
	s_waitcnt_depctr 0xfff
	v_mul_f32_e32 v1, 0x4f7ffffe, v1
	s_delay_alu instid0(VALU_DEP_1) | instskip(NEXT) | instid1(VALU_DEP_1)
	v_cvt_u32_f32_e32 v1, v1
	v_readfirstlane_b32 s9, v1
	s_delay_alu instid0(VALU_DEP_1) | instskip(NEXT) | instid1(SALU_CYCLE_1)
	s_mul_i32 s10, s10, s9
	s_mul_hi_u32 s10, s9, s10
	s_delay_alu instid0(SALU_CYCLE_1) | instskip(NEXT) | instid1(SALU_CYCLE_1)
	s_add_i32 s9, s9, s10
	s_mul_hi_u32 s9, s16, s9
	s_delay_alu instid0(SALU_CYCLE_1) | instskip(SKIP_2) | instid1(SALU_CYCLE_1)
	s_mul_i32 s10, s9, s8
	s_add_i32 s11, s9, 1
	s_sub_i32 s10, s16, s10
	s_sub_i32 s16, s10, s8
	s_cmp_ge_u32 s10, s8
	s_cselect_b32 s9, s11, s9
	s_cselect_b32 s10, s16, s10
	s_add_i32 s11, s9, 1
	s_cmp_ge_u32 s10, s8
	s_clause 0x1
	s_load_b512 s[16:31], s[0:1], 0x0
	s_load_b64 s[36:37], s[0:1], 0xb8
	s_cselect_b32 s8, s11, s9
	s_delay_alu instid0(SALU_CYCLE_1) | instskip(NEXT) | instid1(SALU_CYCLE_1)
	s_xor_b32 s8, s8, s3
	s_sub_i32 s38, s8, s3
	s_delay_alu instid0(SALU_CYCLE_1) | instskip(NEXT) | instid1(SALU_CYCLE_1)
	s_abs_i32 s33, s38
	v_cvt_f32_u32_e32 v1, s33
	s_delay_alu instid0(VALU_DEP_1) | instskip(SKIP_4) | instid1(VALU_DEP_1)
	v_rcp_iflag_f32_e32 v1, v1
	s_waitcnt lgkmcnt(0)
	s_cmp_eq_u64 s[22:23], 0
	s_waitcnt_depctr 0xfff
	v_mul_f32_e32 v1, 0x4f7ffffe, v1
	v_cvt_u32_f32_e32 v1, v1
	s_delay_alu instid0(VALU_DEP_1)
	v_readfirstlane_b32 s39, v1
	s_cbranch_scc1 .LBB77_2
; %bb.1:
	s_abs_i32 s3, s36
	s_abs_i32 s10, s12
	v_cvt_f32_u32_e32 v1, s3
	s_sub_i32 s9, 0, s3
	s_delay_alu instid0(VALU_DEP_1) | instskip(SKIP_2) | instid1(VALU_DEP_1)
	v_rcp_iflag_f32_e32 v1, v1
	s_waitcnt_depctr 0xfff
	v_mul_f32_e32 v1, 0x4f7ffffe, v1
	v_cvt_u32_f32_e32 v1, v1
	s_delay_alu instid0(VALU_DEP_1) | instskip(NEXT) | instid1(VALU_DEP_1)
	v_readfirstlane_b32 s8, v1
	s_mul_i32 s9, s9, s8
	s_delay_alu instid0(SALU_CYCLE_1) | instskip(NEXT) | instid1(SALU_CYCLE_1)
	s_mul_hi_u32 s9, s8, s9
	s_add_i32 s11, s8, s9
	s_load_b64 s[8:9], s[0:1], 0xc8
	s_mul_hi_u32 s11, s10, s11
	s_delay_alu instid0(SALU_CYCLE_1) | instskip(NEXT) | instid1(SALU_CYCLE_1)
	s_mul_i32 s11, s11, s3
	s_sub_i32 s10, s10, s11
	s_ashr_i32 s11, s12, 31
	s_sub_i32 s34, s10, s3
	s_cmp_ge_u32 s10, s3
	s_cselect_b32 s10, s34, s10
	s_delay_alu instid0(SALU_CYCLE_1) | instskip(SKIP_2) | instid1(SALU_CYCLE_1)
	s_sub_i32 s34, s10, s3
	s_cmp_ge_u32 s10, s3
	s_cselect_b32 s3, s34, s10
	s_xor_b32 s3, s3, s11
	s_delay_alu instid0(SALU_CYCLE_1)
	s_sub_i32 s3, s3, s11
	s_waitcnt lgkmcnt(0)
	s_mul_i32 s9, s3, s9
	s_mul_hi_u32 s10, s3, s8
	s_ashr_i32 s11, s3, 31
	s_add_i32 s9, s10, s9
	s_mul_i32 s11, s11, s8
	s_mul_i32 s3, s3, s8
	s_add_i32 s9, s9, s11
	s_add_u32 s34, s22, s3
	s_addc_u32 s35, s23, s9
.LBB77_2:
	v_bfe_u32 v2, v0, 10, 10
	s_load_b128 s[8:11], s[0:1], 0x70
	v_and_b32_e32 v0, 0x3ff, v0
	s_delay_alu instid0(VALU_DEP_2) | instskip(NEXT) | instid1(VALU_DEP_2)
	v_lshrrev_b32_e32 v1, 1, v2
	v_lshlrev_b32_e32 v17, 1, v0
	s_delay_alu instid0(VALU_DEP_2) | instskip(NEXT) | instid1(VALU_DEP_1)
	v_lshl_add_u32 v1, s13, 2, v1
	v_mul_hi_u32 v3, s4, v1
	s_waitcnt lgkmcnt(0)
	s_mul_i32 s3, s12, s10
	s_mul_i32 s4, s15, s9
	s_delay_alu instid0(VALU_DEP_1) | instskip(NEXT) | instid1(VALU_DEP_1)
	v_add_nc_u32_e32 v3, v1, v3
	v_lshrrev_b32_e32 v3, s5, v3
	s_ashr_i32 s5, s3, 31
	s_add_u32 s3, s16, s3
	s_addc_u32 s5, s17, s5
	s_ashr_i32 s10, s4, 31
	v_mul_lo_u32 v4, v3, s6
	s_add_u32 s3, s3, s4
	s_addc_u32 s4, s5, s10
	s_ashr_i32 s5, s8, 31
	v_lshlrev_b32_e32 v3, 1, v2
	v_alignbit_b32 v7, s5, s8, 2
	s_ashr_i32 s8, s9, 31
	s_lshr_b32 s5, s5, 2
	v_sub_nc_u32_e32 v4, v1, v4
	v_or_b32_e32 v14, 1, v3
	v_alignbit_b32 v12, s8, s9, 2
	v_and_b32_e32 v37, 2, v3
	s_lshr_b32 s10, s8, 2
	v_mad_u64_u32 v[5:6], null, v7, v4, 0
	v_and_b32_e32 v15, 3, v14
	s_delay_alu instid0(VALU_DEP_3)
	v_mul_lo_u32 v13, s10, v37
	v_mad_u64_u32 v[10:11], null, v12, v37, 0
	v_lshlrev_b32_e32 v19, 6, v14
	s_cmp_eq_u64 s[26:27], 0
	v_mad_u64_u32 v[7:8], null, s5, v4, v[6:7]
	v_mad_u64_u32 v[8:9], null, v12, v15, 0
	s_delay_alu instid0(VALU_DEP_4) | instskip(NEXT) | instid1(VALU_DEP_3)
	v_or_b32_e32 v11, v11, v13
	v_mov_b32_e32 v6, v7
	s_delay_alu instid0(VALU_DEP_2) | instskip(NEXT) | instid1(VALU_DEP_4)
	v_lshlrev_b64 v[10:11], 2, v[10:11]
	v_mov_b32_e32 v7, v9
	s_delay_alu instid0(VALU_DEP_3) | instskip(NEXT) | instid1(VALU_DEP_2)
	v_lshlrev_b64 v[5:6], 2, v[5:6]
	v_mad_u64_u32 v[12:13], null, s10, v15, v[7:8]
	v_lshlrev_b32_e32 v7, 4, v0
	s_delay_alu instid0(VALU_DEP_3) | instskip(NEXT) | instid1(VALU_DEP_4)
	v_add_co_u32 v5, vcc_lo, s3, v5
	v_add_co_ci_u32_e32 v6, vcc_lo, s4, v6, vcc_lo
	s_delay_alu instid0(VALU_DEP_4) | instskip(NEXT) | instid1(VALU_DEP_3)
	v_mov_b32_e32 v9, v12
	v_add_co_u32 v12, vcc_lo, v5, v7
	s_delay_alu instid0(VALU_DEP_3) | instskip(NEXT) | instid1(VALU_DEP_3)
	v_add_co_ci_u32_e32 v13, vcc_lo, 0, v6, vcc_lo
	v_lshlrev_b64 v[5:6], 2, v[8:9]
	s_delay_alu instid0(VALU_DEP_3) | instskip(NEXT) | instid1(VALU_DEP_3)
	v_add_co_u32 v7, vcc_lo, v12, v10
	v_add_co_ci_u32_e32 v8, vcc_lo, v13, v11, vcc_lo
	s_load_b32 s3, s[0:1], 0x40
	s_delay_alu instid0(VALU_DEP_3) | instskip(NEXT) | instid1(VALU_DEP_4)
	v_add_co_u32 v9, vcc_lo, v12, v5
	v_add_co_ci_u32_e32 v10, vcc_lo, v13, v6, vcc_lo
	v_lshlrev_b32_e32 v13, 7, v2
	s_clause 0x1
	global_load_b128 v[5:8], v[7:8], off
	global_load_b128 v[9:12], v[9:10], off
	v_add_lshl_u32 v18, v13, v17, 2
	s_waitcnt vmcnt(1) lgkmcnt(0)
	v_fma_mixlo_f16 v14, v7, s3, 0
	v_fma_mixlo_f16 v13, v5, s3, 0
	s_waitcnt vmcnt(0)
	v_fma_mixlo_f16 v16, v11, s3, 0
	v_fma_mixlo_f16 v15, v9, s3, 0
	v_add_lshl_u32 v5, v19, v17, 2
	v_fma_mixhi_f16 v14, v8, s3, 0
	v_fma_mixhi_f16 v13, v6, s3, 0
	;; [unrolled: 1-line block ×4, first 2 shown]
	ds_store_b64 v18, v[13:14] offset:38912
	ds_store_b64 v5, v[15:16] offset:38912
	s_waitcnt lgkmcnt(0)
	s_barrier
	buffer_gl0_inv
	s_cbranch_scc1 .LBB77_4
; %bb.3:
	s_load_b32 s2, s[0:1], 0xd0
	s_mov_b32 s3, 0
	s_waitcnt lgkmcnt(0)
	s_mul_i32 s2, s2, s12
	s_delay_alu instid0(SALU_CYCLE_1) | instskip(NEXT) | instid1(SALU_CYCLE_1)
	s_add_i32 s2, s2, s13
	s_lshl_b64 s[2:3], s[2:3], 2
	s_delay_alu instid0(SALU_CYCLE_1)
	s_add_u32 s2, s26, s2
	s_addc_u32 s3, s27, s3
	s_load_b32 s2, s[2:3], 0x0
.LBB77_4:
	v_mbcnt_lo_u32_b32 v39, -1, 0
	s_lshl_b32 s3, s14, 7
	s_waitcnt lgkmcnt(0)
	s_cmp_lt_i32 s3, s2
	s_cbranch_scc1 .LBB77_6
; %bb.5:
	v_mbcnt_lo_u32_b32 v5, -1, 0
	v_mov_b32_e32 v40, 32
	s_mov_b32 s4, 0
	s_mov_b32 s5, 0xfeffffff
	s_delay_alu instid0(VALU_DEP_2)
	v_xor_b32_e32 v78, 16, v5
	v_xor_b32_e32 v74, 8, v5
	;; [unrolled: 1-line block ×5, first 2 shown]
	s_branch .LBB77_7
.LBB77_6:
	s_mov_b32 s4, -1
                                        ; implicit-def: $sgpr5
                                        ; implicit-def: $vgpr5
                                        ; implicit-def: $vgpr40
                                        ; implicit-def: $vgpr78
                                        ; implicit-def: $vgpr74
                                        ; implicit-def: $vgpr75
                                        ; implicit-def: $vgpr76
                                        ; implicit-def: $vgpr77
.LBB77_7:
	s_delay_alu instid0(SALU_CYCLE_1) | instskip(SKIP_2) | instid1(VALU_DEP_3)
	v_cndmask_b32_e64 v6, 0, 1, s4
	v_dual_mov_b32 v36, s5 :: v_dual_mov_b32 v35, s5
	v_dual_mov_b32 v72, s4 :: v_dual_mov_b32 v71, s4
	v_cmp_ne_u32_e32 vcc_lo, 1, v6
	v_dual_mov_b32 v66, s4 :: v_dual_mov_b32 v67, s4
	v_dual_mov_b32 v65, s4 :: v_dual_lshlrev_b32 v38, 2, v0
	v_mov_b32_e32 v64, s4
	s_cbranch_vccnz .LBB77_44
; %bb.8:
	s_clause 0x1
	s_load_b128 s[8:11], s[0:1], 0x98
	s_load_b64 s[4:5], s[0:1], 0x8c
	s_sub_i32 s13, 0, s33
	s_abs_i32 s22, s15
	s_mul_i32 s13, s13, s39
	s_ashr_i32 s27, s37, 1
	s_mul_hi_u32 s13, s39, s13
	s_ashr_i32 s37, s12, 31
	s_add_i32 s39, s39, s13
	s_ashr_i32 s23, s15, 31
	s_mul_hi_u32 s36, s22, s39
	s_ashr_i32 s26, s38, 31
	s_load_b64 s[16:17], s[0:1], 0xa8
	s_mul_i32 s38, s36, s33
	v_lshrrev_b32_e32 v5, 4, v0
	v_mov_b32_e32 v64, 0
	v_dual_mov_b32 v69, 0xfeffffff :: v_dual_and_b32 v40, 60, v38
	v_dual_mov_b32 v67, 0 :: v_dual_lshlrev_b32 v22, 9, v2
	s_waitcnt lgkmcnt(0)
	s_mul_i32 s39, s37, s8
	s_ashr_i32 s13, s4, 2
	s_mul_i32 s4, s12, s9
	s_mul_hi_u32 s9, s12, s8
	s_mul_i32 s8, s12, s8
	s_add_i32 s4, s9, s4
	s_ashr_i32 s10, s10, 2
	s_add_i32 s4, s4, s39
	s_add_u32 s8, s18, s8
	s_addc_u32 s4, s19, s4
	s_sub_i32 s18, s22, s38
	s_xor_b32 s9, s23, s26
	s_add_i32 s19, s36, 1
	s_sub_i32 s22, s18, s33
	s_cmp_ge_u32 s18, s33
	v_add_nc_u32_e32 v3, v5, v3
	s_cselect_b32 s19, s19, s36
	s_cselect_b32 s18, s22, s18
	s_add_i32 s22, s19, 1
	s_cmp_ge_u32 s18, s33
	s_mul_i32 s17, s12, s17
	s_cselect_b32 s18, s22, s19
	s_mul_hi_u32 s19, s12, s16
	s_xor_b32 s18, s18, s9
	s_mul_i32 s37, s37, s16
	s_sub_i32 s18, s18, s9
	v_mul_lo_u32 v5, s13, v3
	s_mul_i32 s5, s18, s5
	v_mul_lo_u32 v19, s10, v3
	s_ashr_i32 s9, s5, 31
	s_add_u32 s8, s8, s5
	s_addc_u32 s9, s4, s9
	s_add_i32 s4, s19, s17
	s_mul_i32 s16, s12, s16
	s_mul_i32 s18, s18, s11
	s_add_i32 s4, s4, s37
	s_add_u32 s5, s20, s16
	s_addc_u32 s4, s21, s4
	s_ashr_i32 s16, s18, 31
	s_add_u32 s11, s5, s18
	s_addc_u32 s16, s4, s16
	s_lshl_b32 s4, s13, 4
	s_lshl_b32 s5, s10, 4
	v_add_nc_u32_e32 v7, s4, v5
	v_add_nc_u32_e32 v21, s5, v19
	v_dual_mov_b32 v65, 0 :: v_dual_lshlrev_b32 v20, 2, v40
	v_dual_mov_b32 v40, 32 :: v_dual_lshlrev_b32 v61, 2, v40
	s_delay_alu instid0(VALU_DEP_4) | instskip(NEXT) | instid1(VALU_DEP_4)
	v_dual_mov_b32 v66, 0 :: v_dual_add_nc_u32 v9, s4, v7
	v_dual_mov_b32 v68, 0xfeffffff :: v_dual_add_nc_u32 v23, s5, v21
	s_load_b32 s17, s[0:1], 0x54
	s_delay_alu instid0(VALU_DEP_2) | instskip(SKIP_1) | instid1(VALU_DEP_3)
	v_add_nc_u32_e32 v11, s4, v9
	v_mad_u32_u24 v41, 0x110, v3, v20
	v_add_nc_u32_e32 v25, s5, v23
	v_ashrrev_i32_e32 v6, 31, v5
	v_ashrrev_i32_e32 v8, 31, v7
	v_add_nc_u32_e32 v13, s4, v11
	v_ashrrev_i32_e32 v10, 31, v9
	v_add_nc_u32_e32 v29, s5, v25
	;; [unrolled: 2-line block ×3, first 2 shown]
	v_add_nc_u32_e32 v15, s4, v13
	v_ashrrev_i32_e32 v14, 31, v13
	v_add_nc_u32_e32 v31, s5, v29
	v_lshl_or_b32 v51, v3, 8, v20
	v_add_nc_u32_e32 v52, 0x8800, v22
	v_add_nc_u32_e32 v17, s4, v15
	v_ashrrev_i32_e32 v16, 31, v15
	v_add_nc_u32_e32 v33, s5, v31
	v_ashrrev_i32_e32 v20, 31, v19
	v_ashrrev_i32_e32 v22, 31, v21
	v_add_nc_u32_e32 v27, s4, v17
	v_ashrrev_i32_e32 v18, 31, v17
	v_add_nc_u32_e32 v35, s5, v33
	v_ashrrev_i32_e32 v24, 31, v23
	v_ashrrev_i32_e32 v26, 31, v25
	;; [unrolled: 1-line block ×7, first 2 shown]
	v_mad_u64_u32 v[2:3], null, v4, s27, v[0:1]
	v_lshlrev_b64 v[3:4], 2, v[5:6]
	v_lshlrev_b64 v[5:6], 2, v[7:8]
	;; [unrolled: 1-line block ×16, first 2 shown]
	v_mul_u32_u24_e32 v42, 0x110, v0
	v_dual_mov_b32 v62, 0 :: v_dual_add_nc_u32 v43, 0x1100, v41
	v_dual_mov_b32 v63, 0 :: v_dual_add_nc_u32 v44, 0x2200, v41
	v_add_nc_u32_e32 v45, 0x3300, v41
	v_add_nc_u32_e32 v46, 0x4400, v41
	;; [unrolled: 1-line block ×12, first 2 shown]
	v_lshlrev_b32_e32 v60, 3, v0
	s_add_u32 s4, s0, 0xd0
	s_addc_u32 s5, s1, 0
	s_mov_b32 s18, 0xbbbac73d
.LBB77_9:                               ; =>This Inner Loop Header: Depth=1
	s_mul_hi_i32 s21, s3, s13
	s_mul_i32 s20, s3, s13
	s_delay_alu instid0(SALU_CYCLE_1) | instskip(NEXT) | instid1(SALU_CYCLE_1)
	s_lshl_b64 s[20:21], s[20:21], 2
	s_add_u32 s19, s8, s20
	s_addc_u32 s20, s9, s21
	v_add_co_u32 v35, vcc_lo, s19, v3
	v_add_co_ci_u32_e32 v36, vcc_lo, s20, v4, vcc_lo
	v_add_co_u32 v70, vcc_lo, s19, v5
	v_add_co_ci_u32_e32 v71, vcc_lo, s20, v6, vcc_lo
	s_delay_alu instid0(VALU_DEP_4) | instskip(NEXT) | instid1(VALU_DEP_4)
	v_add_co_u32 v35, vcc_lo, v35, v61
	v_add_co_ci_u32_e32 v36, vcc_lo, 0, v36, vcc_lo
	s_delay_alu instid0(VALU_DEP_4) | instskip(NEXT) | instid1(VALU_DEP_4)
	v_add_co_u32 v74, vcc_lo, v70, v61
	v_add_co_ci_u32_e32 v75, vcc_lo, 0, v71, vcc_lo
	s_clause 0x1
	global_load_b128 v[70:73], v[35:36], off
	global_load_b128 v[74:77], v[74:75], off
	v_add_co_u32 v35, vcc_lo, s19, v7
	v_add_co_ci_u32_e32 v36, vcc_lo, s20, v8, vcc_lo
	v_add_co_u32 v78, vcc_lo, s19, v9
	v_add_co_ci_u32_e32 v79, vcc_lo, s20, v10, vcc_lo
	s_delay_alu instid0(VALU_DEP_4) | instskip(NEXT) | instid1(VALU_DEP_4)
	v_add_co_u32 v35, vcc_lo, v35, v61
	v_add_co_ci_u32_e32 v36, vcc_lo, 0, v36, vcc_lo
	s_delay_alu instid0(VALU_DEP_4) | instskip(NEXT) | instid1(VALU_DEP_4)
	v_add_co_u32 v82, vcc_lo, v78, v61
	v_add_co_ci_u32_e32 v83, vcc_lo, 0, v79, vcc_lo
	v_add_co_u32 v78, vcc_lo, s19, v11
	v_add_co_ci_u32_e32 v79, vcc_lo, s20, v12, vcc_lo
	v_add_co_u32 v80, vcc_lo, s19, v13
	v_add_co_ci_u32_e32 v81, vcc_lo, s20, v14, vcc_lo
	s_delay_alu instid0(VALU_DEP_4) | instskip(NEXT) | instid1(VALU_DEP_4)
	v_add_co_u32 v86, vcc_lo, v78, v61
	v_add_co_ci_u32_e32 v87, vcc_lo, 0, v79, vcc_lo
	s_delay_alu instid0(VALU_DEP_4) | instskip(NEXT) | instid1(VALU_DEP_4)
	v_add_co_u32 v90, vcc_lo, v80, v61
	v_add_co_ci_u32_e32 v91, vcc_lo, 0, v81, vcc_lo
	;; [unrolled: 10-line block ×3, first 2 shown]
	s_clause 0x5
	global_load_b128 v[78:81], v[35:36], off
	global_load_b128 v[82:85], v[82:83], off
	;; [unrolled: 1-line block ×6, first 2 shown]
	s_waitcnt vmcnt(7)
	ds_store_b128 v41, v[70:73]
	s_waitcnt vmcnt(6)
	ds_store_b128 v43, v[74:77]
	;; [unrolled: 2-line block ×8, first 2 shown]
	s_waitcnt lgkmcnt(0)
	s_barrier
	buffer_gl0_inv
	ds_load_b128 v[78:81], v42
	ds_load_b128 v[82:85], v50
	ds_load_b128 v[86:89], v50 offset:256
	ds_load_b128 v[90:93], v42 offset:8704
	v_dual_mov_b32 v74, 0 :: v_dual_mov_b32 v75, 0
	ds_load_b128 v[94:97], v42 offset:17408
	ds_load_b128 v[98:101], v42 offset:26112
	s_waitcnt lgkmcnt(4)
	;;#ASMSTART
	v_dot2_f32_f16 v74, v78, v82, v74
	;;#ASMEND
	;;#ASMSTART
	v_dot2_f32_f16 v74, v79, v83, v74
	;;#ASMEND
	v_dual_mov_b32 v70, 0 :: v_dual_mov_b32 v71, 0
	;;#ASMSTART
	v_dot2_f32_f16 v74, v80, v84, v74
	;;#ASMEND
	;;#ASMSTART
	v_dot2_f32_f16 v74, v81, v85, v74
	;;#ASMEND
	s_waitcnt lgkmcnt(3)
	;;#ASMSTART
	v_dot2_f32_f16 v70, v78, v86, v70
	;;#ASMEND
	;;#ASMSTART
	v_dot2_f32_f16 v70, v79, v87, v70
	;;#ASMEND
	;; [unrolled: 3-line block ×4, first 2 shown]
	s_waitcnt lgkmcnt(2)
	;;#ASMSTART
	v_dot2_f32_f16 v75, v90, v82, v75
	;;#ASMEND
	;;#ASMSTART
	v_dot2_f32_f16 v75, v91, v83, v75
	;;#ASMEND
	;; [unrolled: 3-line block ×6, first 2 shown]
	v_dual_mov_b32 v76, 0 :: v_dual_mov_b32 v77, 0
	;;#ASMSTART
	v_dot2_f32_f16 v71, v92, v88, v71
	;;#ASMEND
	;;#ASMSTART
	v_dot2_f32_f16 v71, v93, v89, v71
	;;#ASMEND
	s_waitcnt lgkmcnt(1)
	;;#ASMSTART
	v_dot2_f32_f16 v76, v94, v82, v76
	;;#ASMEND
	;;#ASMSTART
	v_dot2_f32_f16 v76, v95, v83, v76
	;;#ASMEND
	v_dual_mov_b32 v72, 0 :: v_dual_mov_b32 v73, 0
	;;#ASMSTART
	v_dot2_f32_f16 v76, v96, v84, v76
	;;#ASMEND
	;;#ASMSTART
	v_dot2_f32_f16 v76, v97, v85, v76
	;;#ASMEND
	;; [unrolled: 3-line block ×6, first 2 shown]
	s_waitcnt lgkmcnt(0)
	;;#ASMSTART
	v_dot2_f32_f16 v77, v98, v82, v77
	;;#ASMEND
	;;#ASMSTART
	v_dot2_f32_f16 v77, v99, v83, v77
	;;#ASMEND
	;; [unrolled: 3-line block ×8, first 2 shown]
	ds_load_b128 v[78:81], v42 offset:16
	ds_load_b128 v[82:85], v50 offset:16
	;; [unrolled: 1-line block ×6, first 2 shown]
	s_waitcnt lgkmcnt(4)
	;;#ASMSTART
	v_dot2_f32_f16 v74, v78, v82, v74
	;;#ASMEND
	;;#ASMSTART
	v_dot2_f32_f16 v74, v79, v83, v74
	;;#ASMEND
	;;#ASMSTART
	v_dot2_f32_f16 v74, v80, v84, v74
	;;#ASMEND
	;;#ASMSTART
	v_dot2_f32_f16 v74, v81, v85, v74
	;;#ASMEND
	s_waitcnt lgkmcnt(3)
	;;#ASMSTART
	v_dot2_f32_f16 v70, v78, v86, v70
	;;#ASMEND
	;;#ASMSTART
	v_dot2_f32_f16 v70, v79, v87, v70
	;;#ASMEND
	;;#ASMSTART
	v_dot2_f32_f16 v70, v80, v88, v70
	;;#ASMEND
	;;#ASMSTART
	v_dot2_f32_f16 v70, v81, v89, v70
	;;#ASMEND
	;; [unrolled: 13-line block ×3, first 2 shown]
	;;#ASMSTART
	v_dot2_f32_f16 v71, v90, v86, v71
	;;#ASMEND
	;;#ASMSTART
	v_dot2_f32_f16 v71, v91, v87, v71
	;;#ASMEND
	;; [unrolled: 3-line block ×4, first 2 shown]
	s_waitcnt lgkmcnt(1)
	;;#ASMSTART
	v_dot2_f32_f16 v76, v94, v82, v76
	;;#ASMEND
	;;#ASMSTART
	v_dot2_f32_f16 v76, v95, v83, v76
	;;#ASMEND
	;;#ASMSTART
	v_dot2_f32_f16 v76, v96, v84, v76
	;;#ASMEND
	;;#ASMSTART
	v_dot2_f32_f16 v76, v97, v85, v76
	;;#ASMEND
	;;#ASMSTART
	v_dot2_f32_f16 v72, v94, v86, v72
	;;#ASMEND
	;;#ASMSTART
	v_dot2_f32_f16 v72, v95, v87, v72
	;;#ASMEND
	;;#ASMSTART
	v_dot2_f32_f16 v72, v96, v88, v72
	;;#ASMEND
	;;#ASMSTART
	v_dot2_f32_f16 v72, v97, v89, v72
	;;#ASMEND
	s_waitcnt lgkmcnt(0)
	;;#ASMSTART
	v_dot2_f32_f16 v77, v98, v82, v77
	;;#ASMEND
	;;#ASMSTART
	v_dot2_f32_f16 v77, v99, v83, v77
	;;#ASMEND
	;; [unrolled: 3-line block ×8, first 2 shown]
	ds_load_b128 v[78:81], v42 offset:32
	ds_load_b128 v[82:85], v50 offset:32
	;; [unrolled: 1-line block ×6, first 2 shown]
	s_waitcnt lgkmcnt(4)
	;;#ASMSTART
	v_dot2_f32_f16 v74, v78, v82, v74
	;;#ASMEND
	;;#ASMSTART
	v_dot2_f32_f16 v74, v79, v83, v74
	;;#ASMEND
	;;#ASMSTART
	v_dot2_f32_f16 v74, v80, v84, v74
	;;#ASMEND
	;;#ASMSTART
	v_dot2_f32_f16 v74, v81, v85, v74
	;;#ASMEND
	s_waitcnt lgkmcnt(3)
	;;#ASMSTART
	v_dot2_f32_f16 v70, v78, v86, v70
	;;#ASMEND
	;;#ASMSTART
	v_dot2_f32_f16 v70, v79, v87, v70
	;;#ASMEND
	;;#ASMSTART
	v_dot2_f32_f16 v70, v80, v88, v70
	;;#ASMEND
	;;#ASMSTART
	v_dot2_f32_f16 v70, v81, v89, v70
	;;#ASMEND
	;; [unrolled: 13-line block ×3, first 2 shown]
	;;#ASMSTART
	v_dot2_f32_f16 v71, v90, v86, v71
	;;#ASMEND
	;;#ASMSTART
	v_dot2_f32_f16 v71, v91, v87, v71
	;;#ASMEND
	;;#ASMSTART
	v_dot2_f32_f16 v71, v92, v88, v71
	;;#ASMEND
	;;#ASMSTART
	v_dot2_f32_f16 v71, v93, v89, v71
	;;#ASMEND
	s_waitcnt lgkmcnt(1)
	;;#ASMSTART
	v_dot2_f32_f16 v76, v94, v82, v76
	;;#ASMEND
	;;#ASMSTART
	v_dot2_f32_f16 v76, v95, v83, v76
	;;#ASMEND
	;; [unrolled: 3-line block ×8, first 2 shown]
	s_waitcnt lgkmcnt(0)
	;;#ASMSTART
	v_dot2_f32_f16 v77, v98, v82, v77
	;;#ASMEND
	;;#ASMSTART
	v_dot2_f32_f16 v77, v99, v83, v77
	;;#ASMEND
	;; [unrolled: 3-line block ×8, first 2 shown]
	ds_load_b128 v[78:81], v42 offset:48
	ds_load_b128 v[82:85], v50 offset:48
	ds_load_b128 v[86:89], v50 offset:304
	ds_load_b128 v[90:93], v42 offset:8752
	ds_load_b128 v[94:97], v42 offset:17456
	ds_load_b128 v[98:101], v42 offset:26160
	s_waitcnt lgkmcnt(4)
	;;#ASMSTART
	v_dot2_f32_f16 v74, v78, v82, v74
	;;#ASMEND
	;;#ASMSTART
	v_dot2_f32_f16 v74, v79, v83, v74
	;;#ASMEND
	;;#ASMSTART
	v_dot2_f32_f16 v74, v80, v84, v74
	;;#ASMEND
	;;#ASMSTART
	v_dot2_f32_f16 v74, v81, v85, v74
	;;#ASMEND
	s_waitcnt lgkmcnt(3)
	;;#ASMSTART
	v_dot2_f32_f16 v70, v78, v86, v70
	;;#ASMEND
	;;#ASMSTART
	v_dot2_f32_f16 v70, v79, v87, v70
	;;#ASMEND
	;;#ASMSTART
	v_dot2_f32_f16 v70, v80, v88, v70
	;;#ASMEND
	;;#ASMSTART
	v_dot2_f32_f16 v70, v81, v89, v70
	;;#ASMEND
	;; [unrolled: 13-line block ×3, first 2 shown]
	;;#ASMSTART
	v_dot2_f32_f16 v71, v90, v86, v71
	;;#ASMEND
	;;#ASMSTART
	v_dot2_f32_f16 v71, v91, v87, v71
	;;#ASMEND
	;; [unrolled: 3-line block ×4, first 2 shown]
	s_waitcnt lgkmcnt(1)
	;;#ASMSTART
	v_dot2_f32_f16 v76, v94, v82, v76
	;;#ASMEND
	;;#ASMSTART
	v_dot2_f32_f16 v76, v95, v83, v76
	;;#ASMEND
	;; [unrolled: 3-line block ×8, first 2 shown]
	s_waitcnt lgkmcnt(0)
	;;#ASMSTART
	v_dot2_f32_f16 v77, v98, v82, v77
	;;#ASMEND
	;;#ASMSTART
	v_dot2_f32_f16 v77, v99, v83, v77
	;;#ASMEND
	;; [unrolled: 3-line block ×8, first 2 shown]
	ds_load_b128 v[78:81], v42 offset:64
	ds_load_b128 v[82:85], v50 offset:64
	;; [unrolled: 1-line block ×6, first 2 shown]
	s_waitcnt lgkmcnt(4)
	;;#ASMSTART
	v_dot2_f32_f16 v74, v78, v82, v74
	;;#ASMEND
	;;#ASMSTART
	v_dot2_f32_f16 v74, v79, v83, v74
	;;#ASMEND
	;;#ASMSTART
	v_dot2_f32_f16 v74, v80, v84, v74
	;;#ASMEND
	;;#ASMSTART
	v_dot2_f32_f16 v74, v81, v85, v74
	;;#ASMEND
	s_waitcnt lgkmcnt(3)
	;;#ASMSTART
	v_dot2_f32_f16 v70, v78, v86, v70
	;;#ASMEND
	;;#ASMSTART
	v_dot2_f32_f16 v70, v79, v87, v70
	;;#ASMEND
	;;#ASMSTART
	v_dot2_f32_f16 v70, v80, v88, v70
	;;#ASMEND
	;;#ASMSTART
	v_dot2_f32_f16 v70, v81, v89, v70
	;;#ASMEND
	;; [unrolled: 13-line block ×3, first 2 shown]
	;;#ASMSTART
	v_dot2_f32_f16 v71, v90, v86, v71
	;;#ASMEND
	;;#ASMSTART
	v_dot2_f32_f16 v71, v91, v87, v71
	;;#ASMEND
	;; [unrolled: 3-line block ×4, first 2 shown]
	s_waitcnt lgkmcnt(1)
	;;#ASMSTART
	v_dot2_f32_f16 v76, v94, v82, v76
	;;#ASMEND
	;;#ASMSTART
	v_dot2_f32_f16 v76, v95, v83, v76
	;;#ASMEND
	;; [unrolled: 3-line block ×8, first 2 shown]
	s_waitcnt lgkmcnt(0)
	;;#ASMSTART
	v_dot2_f32_f16 v77, v98, v82, v77
	;;#ASMEND
	;;#ASMSTART
	v_dot2_f32_f16 v77, v99, v83, v77
	;;#ASMEND
	;; [unrolled: 3-line block ×8, first 2 shown]
	ds_load_b128 v[78:81], v42 offset:80
	ds_load_b128 v[82:85], v50 offset:80
	;; [unrolled: 1-line block ×6, first 2 shown]
	s_waitcnt lgkmcnt(4)
	;;#ASMSTART
	v_dot2_f32_f16 v74, v78, v82, v74
	;;#ASMEND
	;;#ASMSTART
	v_dot2_f32_f16 v74, v79, v83, v74
	;;#ASMEND
	;;#ASMSTART
	v_dot2_f32_f16 v74, v80, v84, v74
	;;#ASMEND
	;;#ASMSTART
	v_dot2_f32_f16 v74, v81, v85, v74
	;;#ASMEND
	s_waitcnt lgkmcnt(3)
	;;#ASMSTART
	v_dot2_f32_f16 v70, v78, v86, v70
	;;#ASMEND
	;;#ASMSTART
	v_dot2_f32_f16 v70, v79, v87, v70
	;;#ASMEND
	;;#ASMSTART
	v_dot2_f32_f16 v70, v80, v88, v70
	;;#ASMEND
	;;#ASMSTART
	v_dot2_f32_f16 v70, v81, v89, v70
	;;#ASMEND
	;; [unrolled: 13-line block ×3, first 2 shown]
	;;#ASMSTART
	v_dot2_f32_f16 v71, v90, v86, v71
	;;#ASMEND
	;;#ASMSTART
	v_dot2_f32_f16 v71, v91, v87, v71
	;;#ASMEND
	;;#ASMSTART
	v_dot2_f32_f16 v71, v92, v88, v71
	;;#ASMEND
	;;#ASMSTART
	v_dot2_f32_f16 v71, v93, v89, v71
	;;#ASMEND
	s_waitcnt lgkmcnt(1)
	;;#ASMSTART
	v_dot2_f32_f16 v76, v94, v82, v76
	;;#ASMEND
	;;#ASMSTART
	v_dot2_f32_f16 v76, v95, v83, v76
	;;#ASMEND
	;;#ASMSTART
	v_dot2_f32_f16 v76, v96, v84, v76
	;;#ASMEND
	;;#ASMSTART
	v_dot2_f32_f16 v76, v97, v85, v76
	;;#ASMEND
	;;#ASMSTART
	v_dot2_f32_f16 v72, v94, v86, v72
	;;#ASMEND
	;;#ASMSTART
	v_dot2_f32_f16 v72, v95, v87, v72
	;;#ASMEND
	;;#ASMSTART
	v_dot2_f32_f16 v72, v96, v88, v72
	;;#ASMEND
	;;#ASMSTART
	v_dot2_f32_f16 v72, v97, v89, v72
	;;#ASMEND
	s_waitcnt lgkmcnt(0)
	;;#ASMSTART
	v_dot2_f32_f16 v77, v98, v82, v77
	;;#ASMEND
	;;#ASMSTART
	v_dot2_f32_f16 v77, v99, v83, v77
	;;#ASMEND
	;; [unrolled: 3-line block ×8, first 2 shown]
	ds_load_b128 v[78:81], v42 offset:96
	ds_load_b128 v[82:85], v50 offset:96
	;; [unrolled: 1-line block ×6, first 2 shown]
	s_waitcnt lgkmcnt(4)
	;;#ASMSTART
	v_dot2_f32_f16 v74, v78, v82, v74
	;;#ASMEND
	;;#ASMSTART
	v_dot2_f32_f16 v74, v79, v83, v74
	;;#ASMEND
	;;#ASMSTART
	v_dot2_f32_f16 v74, v80, v84, v74
	;;#ASMEND
	;;#ASMSTART
	v_dot2_f32_f16 v74, v81, v85, v74
	;;#ASMEND
	s_waitcnt lgkmcnt(3)
	;;#ASMSTART
	v_dot2_f32_f16 v70, v78, v86, v70
	;;#ASMEND
	;;#ASMSTART
	v_dot2_f32_f16 v70, v79, v87, v70
	;;#ASMEND
	;;#ASMSTART
	v_dot2_f32_f16 v70, v80, v88, v70
	;;#ASMEND
	;;#ASMSTART
	v_dot2_f32_f16 v70, v81, v89, v70
	;;#ASMEND
	;; [unrolled: 13-line block ×3, first 2 shown]
	;;#ASMSTART
	v_dot2_f32_f16 v71, v90, v86, v71
	;;#ASMEND
	;;#ASMSTART
	v_dot2_f32_f16 v71, v91, v87, v71
	;;#ASMEND
	;; [unrolled: 3-line block ×4, first 2 shown]
	s_waitcnt lgkmcnt(1)
	;;#ASMSTART
	v_dot2_f32_f16 v76, v94, v82, v76
	;;#ASMEND
	;;#ASMSTART
	v_dot2_f32_f16 v76, v95, v83, v76
	;;#ASMEND
	;;#ASMSTART
	v_dot2_f32_f16 v76, v96, v84, v76
	;;#ASMEND
	;;#ASMSTART
	v_dot2_f32_f16 v76, v97, v85, v76
	;;#ASMEND
	;;#ASMSTART
	v_dot2_f32_f16 v72, v94, v86, v72
	;;#ASMEND
	;;#ASMSTART
	v_dot2_f32_f16 v72, v95, v87, v72
	;;#ASMEND
	;;#ASMSTART
	v_dot2_f32_f16 v72, v96, v88, v72
	;;#ASMEND
	;;#ASMSTART
	v_dot2_f32_f16 v72, v97, v89, v72
	;;#ASMEND
	s_waitcnt lgkmcnt(0)
	;;#ASMSTART
	v_dot2_f32_f16 v77, v98, v82, v77
	;;#ASMEND
	;;#ASMSTART
	v_dot2_f32_f16 v77, v99, v83, v77
	;;#ASMEND
	;; [unrolled: 3-line block ×8, first 2 shown]
	ds_load_b128 v[78:81], v42 offset:112
	ds_load_b128 v[82:85], v50 offset:112
	;; [unrolled: 1-line block ×6, first 2 shown]
	s_waitcnt lgkmcnt(4)
	;;#ASMSTART
	v_dot2_f32_f16 v74, v78, v82, v74
	;;#ASMEND
	;;#ASMSTART
	v_dot2_f32_f16 v74, v79, v83, v74
	;;#ASMEND
	;;#ASMSTART
	v_dot2_f32_f16 v74, v80, v84, v74
	;;#ASMEND
	;;#ASMSTART
	v_dot2_f32_f16 v74, v81, v85, v74
	;;#ASMEND
	s_waitcnt lgkmcnt(3)
	;;#ASMSTART
	v_dot2_f32_f16 v70, v78, v86, v70
	;;#ASMEND
	;;#ASMSTART
	v_dot2_f32_f16 v70, v79, v87, v70
	;;#ASMEND
	;;#ASMSTART
	v_dot2_f32_f16 v70, v80, v88, v70
	;;#ASMEND
	;;#ASMSTART
	v_dot2_f32_f16 v70, v81, v89, v70
	;;#ASMEND
	;; [unrolled: 13-line block ×3, first 2 shown]
	;;#ASMSTART
	v_dot2_f32_f16 v71, v90, v86, v71
	;;#ASMEND
	;;#ASMSTART
	v_dot2_f32_f16 v71, v91, v87, v71
	;;#ASMEND
	;; [unrolled: 3-line block ×4, first 2 shown]
	s_waitcnt lgkmcnt(1)
	;;#ASMSTART
	v_dot2_f32_f16 v76, v94, v82, v76
	;;#ASMEND
	;;#ASMSTART
	v_dot2_f32_f16 v76, v95, v83, v76
	;;#ASMEND
	;; [unrolled: 3-line block ×8, first 2 shown]
	s_waitcnt lgkmcnt(0)
	;;#ASMSTART
	v_dot2_f32_f16 v77, v98, v82, v77
	;;#ASMEND
	;;#ASMSTART
	v_dot2_f32_f16 v77, v99, v83, v77
	;;#ASMEND
	;; [unrolled: 3-line block ×8, first 2 shown]
	ds_load_b128 v[78:81], v42 offset:128
	ds_load_b128 v[82:85], v50 offset:128
	;; [unrolled: 1-line block ×6, first 2 shown]
	s_waitcnt lgkmcnt(4)
	;;#ASMSTART
	v_dot2_f32_f16 v74, v78, v82, v74
	;;#ASMEND
	;;#ASMSTART
	v_dot2_f32_f16 v74, v79, v83, v74
	;;#ASMEND
	;;#ASMSTART
	v_dot2_f32_f16 v74, v80, v84, v74
	;;#ASMEND
	;;#ASMSTART
	v_dot2_f32_f16 v74, v81, v85, v74
	;;#ASMEND
	s_waitcnt lgkmcnt(3)
	;;#ASMSTART
	v_dot2_f32_f16 v70, v78, v86, v70
	;;#ASMEND
	;;#ASMSTART
	v_dot2_f32_f16 v70, v79, v87, v70
	;;#ASMEND
	;;#ASMSTART
	v_dot2_f32_f16 v70, v80, v88, v70
	;;#ASMEND
	;;#ASMSTART
	v_dot2_f32_f16 v70, v81, v89, v70
	;;#ASMEND
	s_waitcnt lgkmcnt(2)
	;;#ASMSTART
	v_dot2_f32_f16 v75, v90, v82, v75
	;;#ASMEND
	;;#ASMSTART
	v_dot2_f32_f16 v75, v91, v83, v75
	;;#ASMEND
	;;#ASMSTART
	v_dot2_f32_f16 v75, v92, v84, v75
	;;#ASMEND
	;;#ASMSTART
	v_dot2_f32_f16 v75, v93, v85, v75
	;;#ASMEND
	;;#ASMSTART
	v_dot2_f32_f16 v71, v90, v86, v71
	;;#ASMEND
	;;#ASMSTART
	v_dot2_f32_f16 v71, v91, v87, v71
	;;#ASMEND
	;;#ASMSTART
	v_dot2_f32_f16 v71, v92, v88, v71
	;;#ASMEND
	;;#ASMSTART
	v_dot2_f32_f16 v71, v93, v89, v71
	;;#ASMEND
	s_waitcnt lgkmcnt(1)
	;;#ASMSTART
	v_dot2_f32_f16 v76, v94, v82, v76
	;;#ASMEND
	;;#ASMSTART
	v_dot2_f32_f16 v76, v95, v83, v76
	;;#ASMEND
	;; [unrolled: 3-line block ×8, first 2 shown]
	s_waitcnt lgkmcnt(0)
	;;#ASMSTART
	v_dot2_f32_f16 v77, v98, v82, v77
	;;#ASMEND
	;;#ASMSTART
	v_dot2_f32_f16 v77, v99, v83, v77
	;;#ASMEND
	;;#ASMSTART
	v_dot2_f32_f16 v77, v100, v84, v77
	;;#ASMEND
	;;#ASMSTART
	v_dot2_f32_f16 v77, v101, v85, v77
	;;#ASMEND
	;;#ASMSTART
	v_dot2_f32_f16 v73, v98, v86, v73
	;;#ASMEND
	;;#ASMSTART
	v_dot2_f32_f16 v73, v99, v87, v73
	;;#ASMEND
	;;#ASMSTART
	v_dot2_f32_f16 v73, v100, v88, v73
	;;#ASMEND
	;;#ASMSTART
	v_dot2_f32_f16 v73, v101, v89, v73
	;;#ASMEND
	ds_load_b128 v[78:81], v42 offset:144
	ds_load_b128 v[82:85], v50 offset:144
	;; [unrolled: 1-line block ×6, first 2 shown]
	s_waitcnt lgkmcnt(4)
	;;#ASMSTART
	v_dot2_f32_f16 v74, v78, v82, v74
	;;#ASMEND
	;;#ASMSTART
	v_dot2_f32_f16 v74, v79, v83, v74
	;;#ASMEND
	;;#ASMSTART
	v_dot2_f32_f16 v74, v80, v84, v74
	;;#ASMEND
	;;#ASMSTART
	v_dot2_f32_f16 v74, v81, v85, v74
	;;#ASMEND
	s_waitcnt lgkmcnt(3)
	;;#ASMSTART
	v_dot2_f32_f16 v70, v78, v86, v70
	;;#ASMEND
	;;#ASMSTART
	v_dot2_f32_f16 v70, v79, v87, v70
	;;#ASMEND
	;;#ASMSTART
	v_dot2_f32_f16 v70, v80, v88, v70
	;;#ASMEND
	;;#ASMSTART
	v_dot2_f32_f16 v70, v81, v89, v70
	;;#ASMEND
	;; [unrolled: 13-line block ×3, first 2 shown]
	;;#ASMSTART
	v_dot2_f32_f16 v71, v90, v86, v71
	;;#ASMEND
	;;#ASMSTART
	v_dot2_f32_f16 v71, v91, v87, v71
	;;#ASMEND
	;; [unrolled: 3-line block ×4, first 2 shown]
	s_waitcnt lgkmcnt(1)
	;;#ASMSTART
	v_dot2_f32_f16 v76, v94, v82, v76
	;;#ASMEND
	;;#ASMSTART
	v_dot2_f32_f16 v76, v95, v83, v76
	;;#ASMEND
	;; [unrolled: 3-line block ×8, first 2 shown]
	s_waitcnt lgkmcnt(0)
	;;#ASMSTART
	v_dot2_f32_f16 v77, v98, v82, v77
	;;#ASMEND
	;;#ASMSTART
	v_dot2_f32_f16 v77, v99, v83, v77
	;;#ASMEND
	;; [unrolled: 3-line block ×8, first 2 shown]
	ds_load_b128 v[78:81], v42 offset:160
	ds_load_b128 v[82:85], v50 offset:160
	;; [unrolled: 1-line block ×6, first 2 shown]
	s_waitcnt lgkmcnt(4)
	;;#ASMSTART
	v_dot2_f32_f16 v74, v78, v82, v74
	;;#ASMEND
	;;#ASMSTART
	v_dot2_f32_f16 v74, v79, v83, v74
	;;#ASMEND
	;;#ASMSTART
	v_dot2_f32_f16 v74, v80, v84, v74
	;;#ASMEND
	;;#ASMSTART
	v_dot2_f32_f16 v74, v81, v85, v74
	;;#ASMEND
	s_waitcnt lgkmcnt(3)
	;;#ASMSTART
	v_dot2_f32_f16 v70, v78, v86, v70
	;;#ASMEND
	;;#ASMSTART
	v_dot2_f32_f16 v70, v79, v87, v70
	;;#ASMEND
	;;#ASMSTART
	v_dot2_f32_f16 v70, v80, v88, v70
	;;#ASMEND
	;;#ASMSTART
	v_dot2_f32_f16 v70, v81, v89, v70
	;;#ASMEND
	;; [unrolled: 13-line block ×3, first 2 shown]
	;;#ASMSTART
	v_dot2_f32_f16 v71, v90, v86, v71
	;;#ASMEND
	;;#ASMSTART
	v_dot2_f32_f16 v71, v91, v87, v71
	;;#ASMEND
	;; [unrolled: 3-line block ×4, first 2 shown]
	s_waitcnt lgkmcnt(1)
	;;#ASMSTART
	v_dot2_f32_f16 v76, v94, v82, v76
	;;#ASMEND
	;;#ASMSTART
	v_dot2_f32_f16 v76, v95, v83, v76
	;;#ASMEND
	;; [unrolled: 3-line block ×8, first 2 shown]
	s_waitcnt lgkmcnt(0)
	;;#ASMSTART
	v_dot2_f32_f16 v77, v98, v82, v77
	;;#ASMEND
	;;#ASMSTART
	v_dot2_f32_f16 v77, v99, v83, v77
	;;#ASMEND
	;; [unrolled: 3-line block ×8, first 2 shown]
	ds_load_b128 v[78:81], v42 offset:176
	ds_load_b128 v[82:85], v50 offset:176
	;; [unrolled: 1-line block ×6, first 2 shown]
	s_waitcnt lgkmcnt(4)
	;;#ASMSTART
	v_dot2_f32_f16 v74, v78, v82, v74
	;;#ASMEND
	;;#ASMSTART
	v_dot2_f32_f16 v74, v79, v83, v74
	;;#ASMEND
	;;#ASMSTART
	v_dot2_f32_f16 v74, v80, v84, v74
	;;#ASMEND
	;;#ASMSTART
	v_dot2_f32_f16 v74, v81, v85, v74
	;;#ASMEND
	s_waitcnt lgkmcnt(3)
	;;#ASMSTART
	v_dot2_f32_f16 v70, v78, v86, v70
	;;#ASMEND
	;;#ASMSTART
	v_dot2_f32_f16 v70, v79, v87, v70
	;;#ASMEND
	;;#ASMSTART
	v_dot2_f32_f16 v70, v80, v88, v70
	;;#ASMEND
	;;#ASMSTART
	v_dot2_f32_f16 v70, v81, v89, v70
	;;#ASMEND
	;; [unrolled: 13-line block ×3, first 2 shown]
	;;#ASMSTART
	v_dot2_f32_f16 v71, v90, v86, v71
	;;#ASMEND
	;;#ASMSTART
	v_dot2_f32_f16 v71, v91, v87, v71
	;;#ASMEND
	;; [unrolled: 3-line block ×4, first 2 shown]
	s_waitcnt lgkmcnt(1)
	;;#ASMSTART
	v_dot2_f32_f16 v76, v94, v82, v76
	;;#ASMEND
	;;#ASMSTART
	v_dot2_f32_f16 v76, v95, v83, v76
	;;#ASMEND
	;;#ASMSTART
	v_dot2_f32_f16 v76, v96, v84, v76
	;;#ASMEND
	;;#ASMSTART
	v_dot2_f32_f16 v76, v97, v85, v76
	;;#ASMEND
	;;#ASMSTART
	v_dot2_f32_f16 v72, v94, v86, v72
	;;#ASMEND
	;;#ASMSTART
	v_dot2_f32_f16 v72, v95, v87, v72
	;;#ASMEND
	;;#ASMSTART
	v_dot2_f32_f16 v72, v96, v88, v72
	;;#ASMEND
	;;#ASMSTART
	v_dot2_f32_f16 v72, v97, v89, v72
	;;#ASMEND
	s_waitcnt lgkmcnt(0)
	;;#ASMSTART
	v_dot2_f32_f16 v77, v98, v82, v77
	;;#ASMEND
	;;#ASMSTART
	v_dot2_f32_f16 v77, v99, v83, v77
	;;#ASMEND
	;; [unrolled: 3-line block ×8, first 2 shown]
	ds_load_b128 v[78:81], v42 offset:192
	ds_load_b128 v[82:85], v50 offset:192
	;; [unrolled: 1-line block ×6, first 2 shown]
	s_waitcnt lgkmcnt(4)
	;;#ASMSTART
	v_dot2_f32_f16 v74, v78, v82, v74
	;;#ASMEND
	;;#ASMSTART
	v_dot2_f32_f16 v74, v79, v83, v74
	;;#ASMEND
	;;#ASMSTART
	v_dot2_f32_f16 v74, v80, v84, v74
	;;#ASMEND
	;;#ASMSTART
	v_dot2_f32_f16 v74, v81, v85, v74
	;;#ASMEND
	s_waitcnt lgkmcnt(3)
	;;#ASMSTART
	v_dot2_f32_f16 v70, v78, v86, v70
	;;#ASMEND
	;;#ASMSTART
	v_dot2_f32_f16 v70, v79, v87, v70
	;;#ASMEND
	;;#ASMSTART
	v_dot2_f32_f16 v70, v80, v88, v70
	;;#ASMEND
	;;#ASMSTART
	v_dot2_f32_f16 v70, v81, v89, v70
	;;#ASMEND
	;; [unrolled: 13-line block ×3, first 2 shown]
	;;#ASMSTART
	v_dot2_f32_f16 v71, v90, v86, v71
	;;#ASMEND
	;;#ASMSTART
	v_dot2_f32_f16 v71, v91, v87, v71
	;;#ASMEND
	;; [unrolled: 3-line block ×4, first 2 shown]
	s_waitcnt lgkmcnt(1)
	;;#ASMSTART
	v_dot2_f32_f16 v76, v94, v82, v76
	;;#ASMEND
	;;#ASMSTART
	v_dot2_f32_f16 v76, v95, v83, v76
	;;#ASMEND
	;; [unrolled: 3-line block ×8, first 2 shown]
	s_waitcnt lgkmcnt(0)
	;;#ASMSTART
	v_dot2_f32_f16 v77, v98, v82, v77
	;;#ASMEND
	;;#ASMSTART
	v_dot2_f32_f16 v77, v99, v83, v77
	;;#ASMEND
	;; [unrolled: 3-line block ×8, first 2 shown]
	ds_load_b128 v[78:81], v42 offset:208
	ds_load_b128 v[82:85], v50 offset:208
	ds_load_b128 v[86:89], v50 offset:464
	ds_load_b128 v[90:93], v42 offset:8912
	ds_load_b128 v[94:97], v42 offset:17616
	ds_load_b128 v[98:101], v42 offset:26320
	s_waitcnt lgkmcnt(4)
	;;#ASMSTART
	v_dot2_f32_f16 v74, v78, v82, v74
	;;#ASMEND
	;;#ASMSTART
	v_dot2_f32_f16 v74, v79, v83, v74
	;;#ASMEND
	;;#ASMSTART
	v_dot2_f32_f16 v74, v80, v84, v74
	;;#ASMEND
	;;#ASMSTART
	v_dot2_f32_f16 v74, v81, v85, v74
	;;#ASMEND
	s_waitcnt lgkmcnt(3)
	;;#ASMSTART
	v_dot2_f32_f16 v70, v78, v86, v70
	;;#ASMEND
	;;#ASMSTART
	v_dot2_f32_f16 v70, v79, v87, v70
	;;#ASMEND
	;;#ASMSTART
	v_dot2_f32_f16 v70, v80, v88, v70
	;;#ASMEND
	;;#ASMSTART
	v_dot2_f32_f16 v70, v81, v89, v70
	;;#ASMEND
	;; [unrolled: 13-line block ×3, first 2 shown]
	;;#ASMSTART
	v_dot2_f32_f16 v71, v90, v86, v71
	;;#ASMEND
	;;#ASMSTART
	v_dot2_f32_f16 v71, v91, v87, v71
	;;#ASMEND
	;; [unrolled: 3-line block ×4, first 2 shown]
	s_waitcnt lgkmcnt(1)
	;;#ASMSTART
	v_dot2_f32_f16 v76, v94, v82, v76
	;;#ASMEND
	;;#ASMSTART
	v_dot2_f32_f16 v76, v95, v83, v76
	;;#ASMEND
	;; [unrolled: 3-line block ×8, first 2 shown]
	s_waitcnt lgkmcnt(0)
	;;#ASMSTART
	v_dot2_f32_f16 v77, v98, v82, v77
	;;#ASMEND
	;;#ASMSTART
	v_dot2_f32_f16 v77, v99, v83, v77
	;;#ASMEND
	;; [unrolled: 3-line block ×8, first 2 shown]
	ds_load_b128 v[78:81], v42 offset:224
	ds_load_b128 v[82:85], v50 offset:224
	ds_load_b128 v[86:89], v50 offset:480
	ds_load_b128 v[90:93], v42 offset:8928
	ds_load_b128 v[94:97], v42 offset:17632
	ds_load_b128 v[98:101], v42 offset:26336
	s_waitcnt lgkmcnt(4)
	;;#ASMSTART
	v_dot2_f32_f16 v74, v78, v82, v74
	;;#ASMEND
	;;#ASMSTART
	v_dot2_f32_f16 v74, v79, v83, v74
	;;#ASMEND
	;;#ASMSTART
	v_dot2_f32_f16 v74, v80, v84, v74
	;;#ASMEND
	;;#ASMSTART
	v_dot2_f32_f16 v74, v81, v85, v74
	;;#ASMEND
	s_waitcnt lgkmcnt(3)
	;;#ASMSTART
	v_dot2_f32_f16 v70, v78, v86, v70
	;;#ASMEND
	;;#ASMSTART
	v_dot2_f32_f16 v70, v79, v87, v70
	;;#ASMEND
	;;#ASMSTART
	v_dot2_f32_f16 v70, v80, v88, v70
	;;#ASMEND
	;;#ASMSTART
	v_dot2_f32_f16 v70, v81, v89, v70
	;;#ASMEND
	;; [unrolled: 13-line block ×3, first 2 shown]
	;;#ASMSTART
	v_dot2_f32_f16 v71, v90, v86, v71
	;;#ASMEND
	;;#ASMSTART
	v_dot2_f32_f16 v71, v91, v87, v71
	;;#ASMEND
	;; [unrolled: 3-line block ×4, first 2 shown]
	s_waitcnt lgkmcnt(1)
	;;#ASMSTART
	v_dot2_f32_f16 v76, v94, v82, v76
	;;#ASMEND
	;;#ASMSTART
	v_dot2_f32_f16 v76, v95, v83, v76
	;;#ASMEND
	;; [unrolled: 3-line block ×8, first 2 shown]
	s_waitcnt lgkmcnt(0)
	;;#ASMSTART
	v_dot2_f32_f16 v77, v98, v82, v77
	;;#ASMEND
	;;#ASMSTART
	v_dot2_f32_f16 v77, v99, v83, v77
	;;#ASMEND
	;; [unrolled: 3-line block ×8, first 2 shown]
	ds_load_b128 v[78:81], v42 offset:240
	ds_load_b128 v[82:85], v50 offset:240
	;; [unrolled: 1-line block ×6, first 2 shown]
	s_waitcnt lgkmcnt(4)
	;;#ASMSTART
	v_dot2_f32_f16 v74, v78, v82, v74
	;;#ASMEND
	;;#ASMSTART
	v_dot2_f32_f16 v74, v79, v83, v74
	;;#ASMEND
	;;#ASMSTART
	v_dot2_f32_f16 v74, v80, v84, v74
	;;#ASMEND
	;;#ASMSTART
	v_dot2_f32_f16 v74, v81, v85, v74
	;;#ASMEND
	s_waitcnt lgkmcnt(3)
	;;#ASMSTART
	v_dot2_f32_f16 v70, v78, v86, v70
	;;#ASMEND
	;;#ASMSTART
	v_dot2_f32_f16 v70, v79, v87, v70
	;;#ASMEND
	;;#ASMSTART
	v_dot2_f32_f16 v70, v80, v88, v70
	;;#ASMEND
	;;#ASMSTART
	v_dot2_f32_f16 v70, v81, v89, v70
	;;#ASMEND
	;; [unrolled: 13-line block ×3, first 2 shown]
	;;#ASMSTART
	v_dot2_f32_f16 v71, v90, v86, v71
	;;#ASMEND
	;;#ASMSTART
	v_dot2_f32_f16 v71, v91, v87, v71
	;;#ASMEND
	;; [unrolled: 3-line block ×4, first 2 shown]
	s_waitcnt lgkmcnt(1)
	;;#ASMSTART
	v_dot2_f32_f16 v76, v94, v82, v76
	;;#ASMEND
	;;#ASMSTART
	v_dot2_f32_f16 v76, v95, v83, v76
	;;#ASMEND
	;; [unrolled: 3-line block ×8, first 2 shown]
	s_waitcnt lgkmcnt(0)
	;;#ASMSTART
	v_dot2_f32_f16 v77, v98, v82, v77
	;;#ASMEND
	v_cmp_ngt_f32_e64 s19, 0x3f200000, |v74|
	;;#ASMSTART
	v_dot2_f32_f16 v77, v99, v83, v77
	;;#ASMEND
	;;#ASMSTART
	v_dot2_f32_f16 v77, v100, v84, v77
	;;#ASMEND
	;; [unrolled: 3-line block ×7, first 2 shown]
                                        ; implicit-def: $vgpr78
	s_and_saveexec_b32 s20, s19
	s_delay_alu instid0(SALU_CYCLE_1)
	s_xor_b32 s19, exec_lo, s20
	s_cbranch_execz .LBB77_11
; %bb.10:                               ;   in Loop: Header=BB77_9 Depth=1
	v_add_f32_e64 v35, |v74|, |v74|
	s_delay_alu instid0(VALU_DEP_1) | instskip(SKIP_1) | instid1(VALU_DEP_2)
	v_mul_f32_e32 v36, 0x3fb8aa3b, v35
	v_cmp_ngt_f32_e32 vcc_lo, 0xc2ce8ed0, v35
	v_rndne_f32_e32 v78, v36
	v_fma_f32 v79, 0x3fb8aa3b, v35, -v36
	s_delay_alu instid0(VALU_DEP_1) | instskip(SKIP_1) | instid1(VALU_DEP_2)
	v_dual_sub_f32 v36, v36, v78 :: v_dual_fmac_f32 v79, 0x32a5705f, v35
	v_cvt_i32_f32_e32 v78, v78
	v_add_f32_e32 v36, v36, v79
	s_delay_alu instid0(VALU_DEP_1) | instskip(SKIP_2) | instid1(VALU_DEP_1)
	v_exp_f32_e32 v36, v36
	s_waitcnt_depctr 0xfff
	v_ldexp_f32 v36, v36, v78
	v_cndmask_b32_e32 v36, 0, v36, vcc_lo
	v_cmp_nlt_f32_e32 vcc_lo, 0x42b17218, v35
	s_delay_alu instid0(VALU_DEP_2) | instskip(NEXT) | instid1(VALU_DEP_1)
	v_cndmask_b32_e32 v35, 0x7f800000, v36, vcc_lo
	v_add_f32_e32 v35, 1.0, v35
	s_delay_alu instid0(VALU_DEP_1)
	v_rcp_f32_e32 v35, v35
	s_waitcnt_depctr 0xfff
	v_fma_f32 v78, v35, -2.0, 1.0
.LBB77_11:                              ;   in Loop: Header=BB77_9 Depth=1
	s_and_not1_saveexec_b32 s19, s19
; %bb.12:                               ;   in Loop: Header=BB77_9 Depth=1
	v_mul_f32_e32 v35, v74, v74
	s_delay_alu instid0(VALU_DEP_1) | instskip(NEXT) | instid1(VALU_DEP_1)
	v_fmaak_f32 v36, s18, v35, 0x3ca908c9
	v_fmaak_f32 v36, v35, v36, 0xbd5c1c4e
	s_delay_alu instid0(VALU_DEP_1) | instskip(NEXT) | instid1(VALU_DEP_1)
	v_fmaak_f32 v36, v35, v36, 0x3e088382
	v_fmaak_f32 v36, v35, v36, 0xbeaaaa99
	s_delay_alu instid0(VALU_DEP_1) | instskip(NEXT) | instid1(VALU_DEP_1)
	v_mul_f32_e64 v36, |v74|, v36
	v_fma_f32 v78, v35, v36, |v74|
; %bb.13:                               ;   in Loop: Header=BB77_9 Depth=1
	s_or_b32 exec_lo, exec_lo, s19
	v_add_nc_u32_e32 v35, s3, v2
	v_cmp_ngt_f32_e64 s19, 0x3f200000, |v75|
                                        ; implicit-def: $vgpr82
	s_delay_alu instid0(VALU_DEP_2) | instskip(NEXT) | instid1(VALU_DEP_1)
	v_ashrrev_i32_e32 v36, 31, v35
	v_lshlrev_b64 v[35:36], 1, v[35:36]
	s_delay_alu instid0(VALU_DEP_1) | instskip(NEXT) | instid1(VALU_DEP_2)
	v_add_co_u32 v35, vcc_lo, s34, v35
	v_add_co_ci_u32_e32 v36, vcc_lo, s35, v36, vcc_lo
	flat_load_u16 v79, v[35:36]
	s_and_saveexec_b32 s20, s19
	s_delay_alu instid0(SALU_CYCLE_1)
	s_xor_b32 s19, exec_lo, s20
	s_cbranch_execz .LBB77_15
; %bb.14:                               ;   in Loop: Header=BB77_9 Depth=1
	v_add_f32_e64 v80, |v75|, |v75|
	s_delay_alu instid0(VALU_DEP_1) | instskip(SKIP_1) | instid1(VALU_DEP_2)
	v_mul_f32_e32 v81, 0x3fb8aa3b, v80
	v_cmp_ngt_f32_e32 vcc_lo, 0xc2ce8ed0, v80
	v_rndne_f32_e32 v82, v81
	v_fma_f32 v83, 0x3fb8aa3b, v80, -v81
	s_delay_alu instid0(VALU_DEP_2) | instskip(NEXT) | instid1(VALU_DEP_2)
	v_sub_f32_e32 v81, v81, v82
	v_fmac_f32_e32 v83, 0x32a5705f, v80
	v_cvt_i32_f32_e32 v82, v82
	s_delay_alu instid0(VALU_DEP_2) | instskip(NEXT) | instid1(VALU_DEP_1)
	v_add_f32_e32 v81, v81, v83
	v_exp_f32_e32 v81, v81
	s_waitcnt_depctr 0xfff
	v_ldexp_f32 v81, v81, v82
	s_delay_alu instid0(VALU_DEP_1) | instskip(SKIP_1) | instid1(VALU_DEP_2)
	v_cndmask_b32_e32 v81, 0, v81, vcc_lo
	v_cmp_nlt_f32_e32 vcc_lo, 0x42b17218, v80
	v_cndmask_b32_e32 v80, 0x7f800000, v81, vcc_lo
	s_delay_alu instid0(VALU_DEP_1) | instskip(NEXT) | instid1(VALU_DEP_1)
	v_add_f32_e32 v80, 1.0, v80
	v_rcp_f32_e32 v80, v80
	s_waitcnt_depctr 0xfff
	v_fma_f32 v82, v80, -2.0, 1.0
.LBB77_15:                              ;   in Loop: Header=BB77_9 Depth=1
	s_and_not1_saveexec_b32 s19, s19
; %bb.16:                               ;   in Loop: Header=BB77_9 Depth=1
	v_mul_f32_e32 v80, v75, v75
	s_delay_alu instid0(VALU_DEP_1) | instskip(NEXT) | instid1(VALU_DEP_1)
	v_fmaak_f32 v81, s18, v80, 0x3ca908c9
	v_fmaak_f32 v81, v80, v81, 0xbd5c1c4e
	s_delay_alu instid0(VALU_DEP_1) | instskip(NEXT) | instid1(VALU_DEP_1)
	v_fmaak_f32 v81, v80, v81, 0x3e088382
	v_fmaak_f32 v81, v80, v81, 0xbeaaaa99
	s_delay_alu instid0(VALU_DEP_1) | instskip(NEXT) | instid1(VALU_DEP_1)
	v_mul_f32_e64 v81, |v75|, v81
	v_fma_f32 v82, v80, v81, |v75|
; %bb.17:                               ;   in Loop: Header=BB77_9 Depth=1
	s_or_b32 exec_lo, exec_lo, s19
	flat_load_u16 v80, v[35:36] offset:64
	v_cmp_ngt_f32_e64 s19, 0x3f200000, |v76|
                                        ; implicit-def: $vgpr84
	s_delay_alu instid0(VALU_DEP_1) | instskip(NEXT) | instid1(SALU_CYCLE_1)
	s_and_saveexec_b32 s20, s19
	s_xor_b32 s19, exec_lo, s20
	s_cbranch_execz .LBB77_19
; %bb.18:                               ;   in Loop: Header=BB77_9 Depth=1
	v_add_f32_e64 v81, |v76|, |v76|
	s_delay_alu instid0(VALU_DEP_1) | instskip(SKIP_1) | instid1(VALU_DEP_2)
	v_mul_f32_e32 v83, 0x3fb8aa3b, v81
	v_cmp_ngt_f32_e32 vcc_lo, 0xc2ce8ed0, v81
	v_rndne_f32_e32 v84, v83
	v_fma_f32 v85, 0x3fb8aa3b, v81, -v83
	s_delay_alu instid0(VALU_DEP_2) | instskip(NEXT) | instid1(VALU_DEP_2)
	v_sub_f32_e32 v83, v83, v84
	v_fmac_f32_e32 v85, 0x32a5705f, v81
	v_cvt_i32_f32_e32 v84, v84
	s_delay_alu instid0(VALU_DEP_2) | instskip(NEXT) | instid1(VALU_DEP_1)
	v_add_f32_e32 v83, v83, v85
	v_exp_f32_e32 v83, v83
	s_waitcnt_depctr 0xfff
	v_ldexp_f32 v83, v83, v84
	s_delay_alu instid0(VALU_DEP_1) | instskip(SKIP_1) | instid1(VALU_DEP_2)
	v_cndmask_b32_e32 v83, 0, v83, vcc_lo
	v_cmp_nlt_f32_e32 vcc_lo, 0x42b17218, v81
	v_cndmask_b32_e32 v81, 0x7f800000, v83, vcc_lo
	s_delay_alu instid0(VALU_DEP_1) | instskip(NEXT) | instid1(VALU_DEP_1)
	v_add_f32_e32 v81, 1.0, v81
	v_rcp_f32_e32 v81, v81
	s_waitcnt_depctr 0xfff
	v_fma_f32 v84, v81, -2.0, 1.0
.LBB77_19:                              ;   in Loop: Header=BB77_9 Depth=1
	s_and_not1_saveexec_b32 s19, s19
; %bb.20:                               ;   in Loop: Header=BB77_9 Depth=1
	v_mul_f32_e32 v81, v76, v76
	s_delay_alu instid0(VALU_DEP_1) | instskip(NEXT) | instid1(VALU_DEP_1)
	v_fmaak_f32 v83, s18, v81, 0x3ca908c9
	v_fmaak_f32 v83, v81, v83, 0xbd5c1c4e
	s_delay_alu instid0(VALU_DEP_1) | instskip(NEXT) | instid1(VALU_DEP_1)
	v_fmaak_f32 v83, v81, v83, 0x3e088382
	v_fmaak_f32 v83, v81, v83, 0xbeaaaa99
	s_delay_alu instid0(VALU_DEP_1) | instskip(NEXT) | instid1(VALU_DEP_1)
	v_mul_f32_e64 v83, |v76|, v83
	v_fma_f32 v84, v81, v83, |v76|
; %bb.21:                               ;   in Loop: Header=BB77_9 Depth=1
	s_or_b32 exec_lo, exec_lo, s19
	flat_load_u16 v81, v[35:36] offset:128
	v_cmp_ngt_f32_e64 s19, 0x3f200000, |v77|
                                        ; implicit-def: $vgpr85
	s_delay_alu instid0(VALU_DEP_1) | instskip(NEXT) | instid1(SALU_CYCLE_1)
	s_and_saveexec_b32 s20, s19
	s_xor_b32 s19, exec_lo, s20
	s_cbranch_execz .LBB77_23
; %bb.22:                               ;   in Loop: Header=BB77_9 Depth=1
	v_add_f32_e64 v83, |v77|, |v77|
	s_delay_alu instid0(VALU_DEP_1) | instskip(SKIP_1) | instid1(VALU_DEP_2)
	v_mul_f32_e32 v85, 0x3fb8aa3b, v83
	v_cmp_ngt_f32_e32 vcc_lo, 0xc2ce8ed0, v83
	v_rndne_f32_e32 v86, v85
	v_fma_f32 v87, 0x3fb8aa3b, v83, -v85
	s_delay_alu instid0(VALU_DEP_2) | instskip(NEXT) | instid1(VALU_DEP_2)
	v_sub_f32_e32 v85, v85, v86
	v_fmac_f32_e32 v87, 0x32a5705f, v83
	v_cvt_i32_f32_e32 v86, v86
	s_delay_alu instid0(VALU_DEP_2) | instskip(NEXT) | instid1(VALU_DEP_1)
	v_add_f32_e32 v85, v85, v87
	v_exp_f32_e32 v85, v85
	s_waitcnt_depctr 0xfff
	v_ldexp_f32 v85, v85, v86
	s_delay_alu instid0(VALU_DEP_1) | instskip(SKIP_1) | instid1(VALU_DEP_2)
	v_cndmask_b32_e32 v85, 0, v85, vcc_lo
	v_cmp_nlt_f32_e32 vcc_lo, 0x42b17218, v83
	v_cndmask_b32_e32 v83, 0x7f800000, v85, vcc_lo
	s_delay_alu instid0(VALU_DEP_1) | instskip(NEXT) | instid1(VALU_DEP_1)
	v_add_f32_e32 v83, 1.0, v83
	v_rcp_f32_e32 v83, v83
	s_waitcnt_depctr 0xfff
	v_fma_f32 v85, v83, -2.0, 1.0
.LBB77_23:                              ;   in Loop: Header=BB77_9 Depth=1
	s_and_not1_saveexec_b32 s19, s19
; %bb.24:                               ;   in Loop: Header=BB77_9 Depth=1
	v_mul_f32_e32 v83, v77, v77
	s_delay_alu instid0(VALU_DEP_1) | instskip(NEXT) | instid1(VALU_DEP_1)
	v_fmaak_f32 v85, s18, v83, 0x3ca908c9
	v_fmaak_f32 v85, v83, v85, 0xbd5c1c4e
	s_delay_alu instid0(VALU_DEP_1) | instskip(NEXT) | instid1(VALU_DEP_1)
	v_fmaak_f32 v85, v83, v85, 0x3e088382
	v_fmaak_f32 v85, v83, v85, 0xbeaaaa99
	s_delay_alu instid0(VALU_DEP_1) | instskip(NEXT) | instid1(VALU_DEP_1)
	v_mul_f32_e64 v85, |v77|, v85
	v_fma_f32 v85, v83, v85, |v77|
; %bb.25:                               ;   in Loop: Header=BB77_9 Depth=1
	s_or_b32 exec_lo, exec_lo, s19
	flat_load_u16 v35, v[35:36] offset:192
	v_bfi_b32 v36, 0x7fffffff, v78, v74
	v_bfi_b32 v74, 0x7fffffff, v82, v75
	v_xor_b32_e32 v78, 16, v39
	v_bfi_b32 v75, 0x7fffffff, v85, v77
	v_cmp_ngt_f32_e64 s19, 0x3f200000, |v70|
	s_waitcnt vmcnt(3) lgkmcnt(3)
	v_fma_mix_f32 v82, v36, s17, v79 op_sel_hi:[0,0,1]
	s_waitcnt vmcnt(2) lgkmcnt(2)
	v_fma_mix_f32 v83, v74, s17, v80 op_sel_hi:[0,0,1]
	v_bfi_b32 v36, 0x7fffffff, v84, v76
	v_cmp_gt_i32_e32 vcc_lo, 32, v78
	s_delay_alu instid0(VALU_DEP_3) | instskip(SKIP_1) | instid1(VALU_DEP_3)
	v_add_f32_e32 v76, 0x40051340, v83
	s_waitcnt vmcnt(1) lgkmcnt(1)
	v_fma_mix_f32 v84, v36, s17, v81 op_sel_hi:[0,0,1]
	s_waitcnt vmcnt(0) lgkmcnt(0)
	v_fma_mix_f32 v85, v75, s17, v35 op_sel_hi:[0,0,1]
	v_cndmask_b32_e32 v75, v39, v78, vcc_lo
	s_delay_alu instid0(VALU_DEP_1) | instskip(NEXT) | instid1(VALU_DEP_1)
	v_dual_add_f32 v74, 0x40051340, v82 :: v_dual_lshlrev_b32 v87, 2, v75
	v_max3_f32 v36, v69, v74, v76
	v_add_f32_e32 v74, 0x40051340, v84
	v_add_f32_e32 v76, 0x40051340, v85
	s_delay_alu instid0(VALU_DEP_1)
	v_max3_f32 v36, v36, v74, v76
	v_xor_b32_e32 v74, 8, v39
	ds_bpermute_b32 v75, v87, v36
	v_cmp_gt_i32_e32 vcc_lo, 32, v74
	v_cndmask_b32_e32 v76, v39, v74, vcc_lo
	s_waitcnt lgkmcnt(0)
	v_max_f32_e32 v75, v75, v75
	s_delay_alu instid0(VALU_DEP_1) | instskip(SKIP_1) | instid1(VALU_DEP_1)
	v_max_f32_e32 v36, v36, v75
	v_xor_b32_e32 v75, 4, v39
	v_cmp_gt_i32_e32 vcc_lo, 32, v75
	v_cndmask_b32_e32 v77, v39, v75, vcc_lo
	s_delay_alu instid0(VALU_DEP_1) | instskip(SKIP_4) | instid1(VALU_DEP_1)
	v_lshlrev_b32_e32 v89, 2, v77
	v_lshlrev_b32_e32 v88, 2, v76
	ds_bpermute_b32 v76, v88, v36
	s_waitcnt lgkmcnt(0)
	v_max_f32_e32 v76, v76, v76
	v_max_f32_e32 v36, v36, v76
	v_xor_b32_e32 v76, 2, v39
	ds_bpermute_b32 v77, v89, v36
	v_cmp_gt_i32_e32 vcc_lo, 32, v76
	v_cndmask_b32_e32 v86, v39, v76, vcc_lo
	s_waitcnt lgkmcnt(0)
	s_delay_alu instid0(VALU_DEP_1) | instskip(NEXT) | instid1(VALU_DEP_1)
	v_dual_max_f32 v77, v77, v77 :: v_dual_lshlrev_b32 v86, 2, v86
	v_max_f32_e32 v90, v36, v77
	v_xor_b32_e32 v77, 1, v39
	ds_bpermute_b32 v36, v86, v90
	v_cmp_gt_i32_e32 vcc_lo, 32, v77
	s_waitcnt lgkmcnt(0)
	v_dual_cndmask_b32 v91, v39, v77 :: v_dual_max_f32 v92, v36, v36
	s_delay_alu instid0(VALU_DEP_1) | instskip(NEXT) | instid1(VALU_DEP_2)
	v_lshlrev_b32_e32 v36, 2, v91
	v_max_f32_e32 v90, v90, v92
                                        ; implicit-def: $vgpr92
	ds_bpermute_b32 v91, v36, v90
	s_and_saveexec_b32 s20, s19
	s_delay_alu instid0(SALU_CYCLE_1)
	s_xor_b32 s19, exec_lo, s20
	s_cbranch_execz .LBB77_27
; %bb.26:                               ;   in Loop: Header=BB77_9 Depth=1
	v_add_f32_e64 v92, |v70|, |v70|
	s_delay_alu instid0(VALU_DEP_1) | instskip(SKIP_1) | instid1(VALU_DEP_2)
	v_mul_f32_e32 v93, 0x3fb8aa3b, v92
	v_cmp_ngt_f32_e32 vcc_lo, 0xc2ce8ed0, v92
	v_rndne_f32_e32 v94, v93
	v_fma_f32 v95, 0x3fb8aa3b, v92, -v93
	s_delay_alu instid0(VALU_DEP_2) | instskip(NEXT) | instid1(VALU_DEP_2)
	v_sub_f32_e32 v93, v93, v94
	v_fmac_f32_e32 v95, 0x32a5705f, v92
	v_cvt_i32_f32_e32 v94, v94
	s_delay_alu instid0(VALU_DEP_2) | instskip(NEXT) | instid1(VALU_DEP_1)
	v_add_f32_e32 v93, v93, v95
	v_exp_f32_e32 v93, v93
	s_waitcnt_depctr 0xfff
	v_ldexp_f32 v93, v93, v94
	s_delay_alu instid0(VALU_DEP_1) | instskip(SKIP_1) | instid1(VALU_DEP_2)
	v_cndmask_b32_e32 v93, 0, v93, vcc_lo
	v_cmp_nlt_f32_e32 vcc_lo, 0x42b17218, v92
	v_cndmask_b32_e32 v92, 0x7f800000, v93, vcc_lo
	s_delay_alu instid0(VALU_DEP_1) | instskip(NEXT) | instid1(VALU_DEP_1)
	v_add_f32_e32 v92, 1.0, v92
	v_rcp_f32_e32 v92, v92
	s_waitcnt_depctr 0xfff
	v_fma_f32 v92, v92, -2.0, 1.0
.LBB77_27:                              ;   in Loop: Header=BB77_9 Depth=1
	s_and_not1_saveexec_b32 s19, s19
; %bb.28:                               ;   in Loop: Header=BB77_9 Depth=1
	v_mul_f32_e32 v92, v70, v70
	s_delay_alu instid0(VALU_DEP_1) | instskip(NEXT) | instid1(VALU_DEP_1)
	v_fmaak_f32 v93, s18, v92, 0x3ca908c9
	v_fmaak_f32 v93, v92, v93, 0xbd5c1c4e
	s_delay_alu instid0(VALU_DEP_1) | instskip(NEXT) | instid1(VALU_DEP_1)
	v_fmaak_f32 v93, v92, v93, 0x3e088382
	v_fmaak_f32 v93, v92, v93, 0xbeaaaa99
	s_delay_alu instid0(VALU_DEP_1) | instskip(NEXT) | instid1(VALU_DEP_1)
	v_mul_f32_e64 v93, |v70|, v93
	v_fma_f32 v92, v92, v93, |v70|
; %bb.29:                               ;   in Loop: Header=BB77_9 Depth=1
	s_or_b32 exec_lo, exec_lo, s19
	v_cmp_ngt_f32_e64 s19, 0x3f200000, |v71|
                                        ; implicit-def: $vgpr93
	s_delay_alu instid0(VALU_DEP_1) | instskip(NEXT) | instid1(SALU_CYCLE_1)
	s_and_saveexec_b32 s20, s19
	s_xor_b32 s19, exec_lo, s20
	s_cbranch_execz .LBB77_31
; %bb.30:                               ;   in Loop: Header=BB77_9 Depth=1
	v_add_f32_e64 v93, |v71|, |v71|
	s_delay_alu instid0(VALU_DEP_1) | instskip(SKIP_1) | instid1(VALU_DEP_2)
	v_mul_f32_e32 v94, 0x3fb8aa3b, v93
	v_cmp_ngt_f32_e32 vcc_lo, 0xc2ce8ed0, v93
	v_rndne_f32_e32 v95, v94
	v_fma_f32 v96, 0x3fb8aa3b, v93, -v94
	s_delay_alu instid0(VALU_DEP_2) | instskip(NEXT) | instid1(VALU_DEP_2)
	v_sub_f32_e32 v94, v94, v95
	v_fmac_f32_e32 v96, 0x32a5705f, v93
	v_cvt_i32_f32_e32 v95, v95
	s_delay_alu instid0(VALU_DEP_2) | instskip(NEXT) | instid1(VALU_DEP_1)
	v_add_f32_e32 v94, v94, v96
	v_exp_f32_e32 v94, v94
	s_waitcnt_depctr 0xfff
	v_ldexp_f32 v94, v94, v95
	s_delay_alu instid0(VALU_DEP_1) | instskip(SKIP_1) | instid1(VALU_DEP_2)
	v_cndmask_b32_e32 v94, 0, v94, vcc_lo
	v_cmp_nlt_f32_e32 vcc_lo, 0x42b17218, v93
	v_cndmask_b32_e32 v93, 0x7f800000, v94, vcc_lo
	s_delay_alu instid0(VALU_DEP_1) | instskip(NEXT) | instid1(VALU_DEP_1)
	v_add_f32_e32 v93, 1.0, v93
	v_rcp_f32_e32 v93, v93
	s_waitcnt_depctr 0xfff
	v_fma_f32 v93, v93, -2.0, 1.0
.LBB77_31:                              ;   in Loop: Header=BB77_9 Depth=1
	s_and_not1_saveexec_b32 s19, s19
; %bb.32:                               ;   in Loop: Header=BB77_9 Depth=1
	v_mul_f32_e32 v93, v71, v71
	s_delay_alu instid0(VALU_DEP_1) | instskip(NEXT) | instid1(VALU_DEP_1)
	v_fmaak_f32 v94, s18, v93, 0x3ca908c9
	v_fmaak_f32 v94, v93, v94, 0xbd5c1c4e
	s_delay_alu instid0(VALU_DEP_1) | instskip(NEXT) | instid1(VALU_DEP_1)
	v_fmaak_f32 v94, v93, v94, 0x3e088382
	v_fmaak_f32 v94, v93, v94, 0xbeaaaa99
	s_delay_alu instid0(VALU_DEP_1) | instskip(NEXT) | instid1(VALU_DEP_1)
	v_mul_f32_e64 v94, |v71|, v94
	v_fma_f32 v93, v93, v94, |v71|
; %bb.33:                               ;   in Loop: Header=BB77_9 Depth=1
	s_or_b32 exec_lo, exec_lo, s19
	v_cmp_ngt_f32_e64 s19, 0x3f200000, |v72|
                                        ; implicit-def: $vgpr94
	s_delay_alu instid0(VALU_DEP_1) | instskip(NEXT) | instid1(SALU_CYCLE_1)
	s_and_saveexec_b32 s20, s19
	s_xor_b32 s19, exec_lo, s20
	s_cbranch_execz .LBB77_35
; %bb.34:                               ;   in Loop: Header=BB77_9 Depth=1
	v_add_f32_e64 v94, |v72|, |v72|
	s_delay_alu instid0(VALU_DEP_1) | instskip(SKIP_1) | instid1(VALU_DEP_2)
	v_mul_f32_e32 v95, 0x3fb8aa3b, v94
	v_cmp_ngt_f32_e32 vcc_lo, 0xc2ce8ed0, v94
	v_rndne_f32_e32 v96, v95
	v_fma_f32 v97, 0x3fb8aa3b, v94, -v95
	s_delay_alu instid0(VALU_DEP_2) | instskip(NEXT) | instid1(VALU_DEP_2)
	v_sub_f32_e32 v95, v95, v96
	v_fmac_f32_e32 v97, 0x32a5705f, v94
	v_cvt_i32_f32_e32 v96, v96
	s_delay_alu instid0(VALU_DEP_2) | instskip(NEXT) | instid1(VALU_DEP_1)
	v_add_f32_e32 v95, v95, v97
	v_exp_f32_e32 v95, v95
	s_waitcnt_depctr 0xfff
	v_ldexp_f32 v95, v95, v96
	s_delay_alu instid0(VALU_DEP_1) | instskip(SKIP_1) | instid1(VALU_DEP_2)
	v_cndmask_b32_e32 v95, 0, v95, vcc_lo
	v_cmp_nlt_f32_e32 vcc_lo, 0x42b17218, v94
	v_cndmask_b32_e32 v94, 0x7f800000, v95, vcc_lo
	s_delay_alu instid0(VALU_DEP_1) | instskip(NEXT) | instid1(VALU_DEP_1)
	v_add_f32_e32 v94, 1.0, v94
	v_rcp_f32_e32 v94, v94
	s_waitcnt_depctr 0xfff
	v_fma_f32 v94, v94, -2.0, 1.0
.LBB77_35:                              ;   in Loop: Header=BB77_9 Depth=1
	s_and_not1_saveexec_b32 s19, s19
; %bb.36:                               ;   in Loop: Header=BB77_9 Depth=1
	v_mul_f32_e32 v94, v72, v72
	s_delay_alu instid0(VALU_DEP_1) | instskip(NEXT) | instid1(VALU_DEP_1)
	v_fmaak_f32 v95, s18, v94, 0x3ca908c9
	v_fmaak_f32 v95, v94, v95, 0xbd5c1c4e
	s_delay_alu instid0(VALU_DEP_1) | instskip(NEXT) | instid1(VALU_DEP_1)
	v_fmaak_f32 v95, v94, v95, 0x3e088382
	v_fmaak_f32 v95, v94, v95, 0xbeaaaa99
	s_delay_alu instid0(VALU_DEP_1) | instskip(NEXT) | instid1(VALU_DEP_1)
	v_mul_f32_e64 v95, |v72|, v95
	v_fma_f32 v94, v94, v95, |v72|
; %bb.37:                               ;   in Loop: Header=BB77_9 Depth=1
	s_or_b32 exec_lo, exec_lo, s19
	v_cmp_ngt_f32_e64 s19, 0x3f200000, |v73|
                                        ; implicit-def: $vgpr95
	s_delay_alu instid0(VALU_DEP_1) | instskip(NEXT) | instid1(SALU_CYCLE_1)
	s_and_saveexec_b32 s20, s19
	s_xor_b32 s19, exec_lo, s20
	s_cbranch_execz .LBB77_39
; %bb.38:                               ;   in Loop: Header=BB77_9 Depth=1
	v_add_f32_e64 v95, |v73|, |v73|
	s_delay_alu instid0(VALU_DEP_1) | instskip(SKIP_1) | instid1(VALU_DEP_2)
	v_mul_f32_e32 v96, 0x3fb8aa3b, v95
	v_cmp_ngt_f32_e32 vcc_lo, 0xc2ce8ed0, v95
	v_rndne_f32_e32 v97, v96
	v_fma_f32 v98, 0x3fb8aa3b, v95, -v96
	s_delay_alu instid0(VALU_DEP_2) | instskip(NEXT) | instid1(VALU_DEP_2)
	v_sub_f32_e32 v96, v96, v97
	v_fmac_f32_e32 v98, 0x32a5705f, v95
	v_cvt_i32_f32_e32 v97, v97
	s_delay_alu instid0(VALU_DEP_2) | instskip(NEXT) | instid1(VALU_DEP_1)
	v_add_f32_e32 v96, v96, v98
	v_exp_f32_e32 v96, v96
	s_waitcnt_depctr 0xfff
	v_ldexp_f32 v96, v96, v97
	s_delay_alu instid0(VALU_DEP_1) | instskip(SKIP_1) | instid1(VALU_DEP_2)
	v_cndmask_b32_e32 v96, 0, v96, vcc_lo
	v_cmp_nlt_f32_e32 vcc_lo, 0x42b17218, v95
	v_cndmask_b32_e32 v95, 0x7f800000, v96, vcc_lo
	s_delay_alu instid0(VALU_DEP_1) | instskip(NEXT) | instid1(VALU_DEP_1)
	v_add_f32_e32 v95, 1.0, v95
	v_rcp_f32_e32 v95, v95
	s_waitcnt_depctr 0xfff
	v_fma_f32 v95, v95, -2.0, 1.0
.LBB77_39:                              ;   in Loop: Header=BB77_9 Depth=1
	s_and_not1_saveexec_b32 s19, s19
; %bb.40:                               ;   in Loop: Header=BB77_9 Depth=1
	v_mul_f32_e32 v95, v73, v73
	s_delay_alu instid0(VALU_DEP_1) | instskip(NEXT) | instid1(VALU_DEP_1)
	v_fmaak_f32 v96, s18, v95, 0x3ca908c9
	v_fmaak_f32 v96, v95, v96, 0xbd5c1c4e
	s_delay_alu instid0(VALU_DEP_1) | instskip(NEXT) | instid1(VALU_DEP_1)
	v_fmaak_f32 v96, v95, v96, 0x3e088382
	v_fmaak_f32 v96, v95, v96, 0xbeaaaa99
	s_delay_alu instid0(VALU_DEP_1) | instskip(NEXT) | instid1(VALU_DEP_1)
	v_mul_f32_e64 v96, |v73|, v96
	v_fma_f32 v95, v95, v96, |v73|
; %bb.41:                               ;   in Loop: Header=BB77_9 Depth=1
	s_or_b32 exec_lo, exec_lo, s19
	s_mul_hi_i32 s21, s3, s10
	s_mul_i32 s20, s3, s10
	s_waitcnt lgkmcnt(0)
	s_lshl_b64 s[20:21], s[20:21], 2
	s_barrier
	s_add_u32 s19, s11, s20
	s_addc_u32 s20, s16, s21
	v_add_co_u32 v96, vcc_lo, s19, v19
	v_add_co_ci_u32_e32 v97, vcc_lo, s20, v20, vcc_lo
	v_add_co_u32 v98, vcc_lo, s19, v21
	v_add_co_ci_u32_e32 v99, vcc_lo, s20, v22, vcc_lo
	s_delay_alu instid0(VALU_DEP_4) | instskip(NEXT) | instid1(VALU_DEP_4)
	v_add_co_u32 v96, vcc_lo, v96, v61
	v_add_co_ci_u32_e32 v97, vcc_lo, 0, v97, vcc_lo
	s_delay_alu instid0(VALU_DEP_4) | instskip(NEXT) | instid1(VALU_DEP_4)
	v_add_co_u32 v100, vcc_lo, v98, v61
	v_add_co_ci_u32_e32 v101, vcc_lo, 0, v99, vcc_lo
	v_add_co_u32 v104, vcc_lo, s19, v23
	v_add_co_ci_u32_e32 v105, vcc_lo, s20, v24, vcc_lo
	v_add_co_u32 v106, vcc_lo, s19, v25
	v_add_co_ci_u32_e32 v107, vcc_lo, s20, v26, vcc_lo
	s_delay_alu instid0(VALU_DEP_4) | instskip(NEXT) | instid1(VALU_DEP_4)
	v_add_co_u32 v104, vcc_lo, v104, v61
	v_add_co_ci_u32_e32 v105, vcc_lo, 0, v105, vcc_lo
	s_delay_alu instid0(VALU_DEP_4) | instskip(NEXT) | instid1(VALU_DEP_4)
	v_add_co_u32 v108, vcc_lo, v106, v61
	v_add_co_ci_u32_e32 v109, vcc_lo, 0, v107, vcc_lo
	;; [unrolled: 10-line block ×4, first 2 shown]
	buffer_gl0_inv
	s_clause 0x7
	global_load_b128 v[96:99], v[96:97], off
	global_load_b128 v[100:103], v[100:101], off
	;; [unrolled: 1-line block ×8, first 2 shown]
	v_cvt_f32_f16_e64 v128, v79
	v_cvt_f32_f16_e32 v80, v80
	v_bfi_b32 v70, 0x7fffffff, v92, v70
	v_bfi_b32 v71, 0x7fffffff, v93, v71
	v_cvt_f32_f16_e32 v81, v81
	v_cvt_f32_f16_e32 v92, v35
	v_bfi_b32 v35, 0x7fffffff, v94, v72
	v_bfi_b32 v72, 0x7fffffff, v95, v73
	v_fmac_f32_e32 v128, s17, v70
	v_fmac_f32_e32 v80, s17, v71
	s_delay_alu instid0(VALU_DEP_3) | instskip(NEXT) | instid1(VALU_DEP_3)
	v_dual_fmac_f32 v81, s17, v35 :: v_dual_fmac_f32 v92, s17, v72
	v_add_f32_e32 v35, 0x40051340, v128
	s_delay_alu instid0(VALU_DEP_2) | instskip(NEXT) | instid1(VALU_DEP_3)
	v_dual_add_f32 v70, 0x40051340, v80 :: v_dual_add_f32 v71, 0x40051340, v81
	v_add_f32_e32 v72, 0x40051340, v92
	s_delay_alu instid0(VALU_DEP_2) | instskip(NEXT) | instid1(VALU_DEP_1)
	v_max3_f32 v35, v68, v35, v70
	v_max3_f32 v35, v35, v71, v72
	v_max_f32_e32 v72, v90, v90
	ds_bpermute_b32 v70, v87, v35
	s_waitcnt lgkmcnt(0)
	v_max_f32_e32 v70, v70, v70
	s_delay_alu instid0(VALU_DEP_1) | instskip(SKIP_3) | instid1(VALU_DEP_1)
	v_max_f32_e32 v35, v35, v70
	ds_bpermute_b32 v70, v88, v35
	s_waitcnt lgkmcnt(0)
	v_max_f32_e32 v70, v70, v70
	v_max_f32_e32 v70, v35, v70
	;; [unrolled: 1-line block ×3, first 2 shown]
	s_delay_alu instid0(VALU_DEP_1) | instskip(NEXT) | instid1(VALU_DEP_1)
	v_max_f32_e32 v35, v72, v35
	v_dual_sub_f32 v72, v83, v35 :: v_dual_add_nc_u32 v87, v52, v38
	v_sub_f32_e32 v79, v82, v35
	ds_bpermute_b32 v71, v89, v70
	v_sub_f32_e32 v82, v69, v35
	v_sub_f32_e32 v83, v85, v35
	v_mul_f32_e32 v73, 0x3fb8aa3b, v72
	v_sub_f32_e32 v69, v84, v35
	s_delay_alu instid0(VALU_DEP_4) | instskip(NEXT) | instid1(VALU_DEP_4)
	v_dual_mul_f32 v84, 0x3fb8aa3b, v79 :: v_dual_mul_f32 v89, 0x3fb8aa3b, v82
	v_mul_f32_e32 v88, 0x3fb8aa3b, v83
	s_delay_alu instid0(VALU_DEP_4) | instskip(NEXT) | instid1(VALU_DEP_4)
	v_fma_f32 v90, 0x3fb8aa3b, v72, -v73
	v_mul_f32_e32 v85, 0x3fb8aa3b, v69
	s_delay_alu instid0(VALU_DEP_4)
	v_rndne_f32_e32 v93, v84
	v_fma_f32 v131, 0x3fb8aa3b, v82, -v89
	v_fma_f32 v129, 0x3fb8aa3b, v83, -v88
	v_fmac_f32_e32 v90, 0x32a5705f, v72
	v_rndne_f32_e32 v95, v85
	v_rndne_f32_e32 v130, v88
	v_fmac_f32_e32 v131, 0x32a5705f, v82
	v_fma_f32 v91, 0x3fb8aa3b, v79, -v84
	v_fma_f32 v94, 0x3fb8aa3b, v69, -v85
	s_waitcnt lgkmcnt(0)
	v_dual_sub_f32 v84, v84, v93 :: v_dual_max_f32 v71, v71, v71
	v_dual_sub_f32 v85, v85, v95 :: v_dual_sub_f32 v88, v88, v130
	v_rndne_f32_e32 v132, v89
	v_dual_fmac_f32 v91, 0x32a5705f, v79 :: v_dual_fmac_f32 v94, 0x32a5705f, v69
	s_delay_alu instid0(VALU_DEP_4) | instskip(SKIP_2) | instid1(VALU_DEP_4)
	v_max_f32_e32 v70, v70, v71
	v_rndne_f32_e32 v71, v73
	v_cmp_ngt_f32_e32 vcc_lo, 0xc2ce8ed0, v72
	v_dual_sub_f32 v89, v89, v132 :: v_dual_add_f32 v84, v84, v91
	ds_bpermute_b32 v86, v86, v70
	v_sub_f32_e32 v73, v73, v71
	v_fmac_f32_e32 v129, 0x32a5705f, v83
	v_cvt_i32_f32_e32 v71, v71
	v_exp_f32_e32 v84, v84
	v_cvt_i32_f32_e32 v93, v93
	v_cvt_i32_f32_e32 v91, v132
	s_waitcnt lgkmcnt(0)
	v_max_f32_e32 v86, v86, v86
	v_dual_add_f32 v73, v73, v90 :: v_dual_add_f32 v88, v88, v129
	v_cvt_i32_f32_e32 v90, v130
	s_delay_alu instid0(VALU_DEP_2)
	v_exp_f32_e32 v73, v73
	s_waitcnt_depctr 0xfff
	v_ldexp_f32 v71, v73, v71
	v_max_f32_e32 v70, v70, v86
	v_ldexp_f32 v73, v84, v93
	v_exp_f32_e32 v86, v88
	v_add_f32_e32 v88, v89, v131
	v_cndmask_b32_e32 v71, 0, v71, vcc_lo
	ds_bpermute_b32 v36, v36, v70
	v_cmp_ngt_f32_e32 vcc_lo, 0xc2ce8ed0, v79
	v_add_f32_e32 v85, v85, v94
	v_cvt_i32_f32_e32 v89, v95
	s_delay_alu instid0(VALU_DEP_2)
	v_exp_f32_e32 v85, v85
	s_waitcnt_depctr 0xfff
	v_ldexp_f32 v84, v85, v89
	v_ldexp_f32 v85, v86, v90
	v_cndmask_b32_e32 v86, 0, v73, vcc_lo
	s_waitcnt lgkmcnt(0)
	v_max_f32_e32 v36, v36, v36
	v_cmp_ngt_f32_e32 vcc_lo, 0xc2ce8ed0, v69
	s_delay_alu instid0(VALU_DEP_2) | instskip(NEXT) | instid1(VALU_DEP_1)
	v_max_f32_e32 v36, v70, v36
	v_sub_f32_e32 v90, v92, v36
	s_delay_alu instid0(VALU_DEP_1)
	v_mul_f32_e32 v93, 0x3fb8aa3b, v90
	v_sub_f32_e32 v89, v81, v36
	v_cndmask_b32_e32 v84, 0, v84, vcc_lo
	v_cmp_ngt_f32_e32 vcc_lo, 0xc2ce8ed0, v83
	v_sub_f32_e32 v92, v68, v36
	v_rndne_f32_e32 v134, v93
	v_mul_f32_e32 v81, 0x3fb8aa3b, v89
	v_cndmask_b32_e32 v85, 0, v85, vcc_lo
	v_cmp_nlt_f32_e32 vcc_lo, 0x42b17218, v72
	v_exp_f32_e32 v88, v88
	s_delay_alu instid0(VALU_DEP_3)
	v_rndne_f32_e32 v132, v81
	v_cndmask_b32_e32 v73, 0x7f800000, v71, vcc_lo
	v_cmp_nlt_f32_e32 vcc_lo, 0x42b17218, v69
	v_cndmask_b32_e32 v72, 0x7f800000, v84, vcc_lo
	v_cmp_nlt_f32_e32 vcc_lo, 0x42b17218, v83
	s_waitcnt_depctr 0xfff
	v_ldexp_f32 v91, v88, v91
	v_cndmask_b32_e32 v71, 0x7f800000, v85, vcc_lo
	v_cmp_nlt_f32_e32 vcc_lo, 0x42b17218, v79
	s_delay_alu instid0(VALU_DEP_2) | instskip(SKIP_3) | instid1(VALU_DEP_3)
	v_cvt_f16_f32_e32 v84, v71
	v_dual_cndmask_b32 v79, 0x7f800000, v86 :: v_dual_sub_f32 v86, v80, v36
	v_sub_f32_e32 v69, v128, v36
	v_cvt_f16_f32_e32 v70, v73
	v_cvt_f16_f32_e32 v85, v79
	s_delay_alu instid0(VALU_DEP_4) | instskip(NEXT) | instid1(VALU_DEP_4)
	v_mul_f32_e32 v80, 0x3fb8aa3b, v86
	v_mul_f32_e32 v68, 0x3fb8aa3b, v69
	v_fma_f32 v131, 0x3fb8aa3b, v89, -v81
	v_cmp_ngt_f32_e32 vcc_lo, 0xc2ce8ed0, v69
	v_add_f32_e32 v73, v79, v73
	v_fma_f32 v129, 0x3fb8aa3b, v86, -v80
	v_fma_f32 v95, 0x3fb8aa3b, v69, -v68
	v_rndne_f32_e32 v128, v68
	v_rndne_f32_e32 v130, v80
	v_fmac_f32_e32 v131, 0x32a5705f, v89
	v_fmac_f32_e32 v129, 0x32a5705f, v86
	s_delay_alu instid0(VALU_DEP_4) | instskip(SKIP_2) | instid1(VALU_DEP_3)
	v_dual_fmac_f32 v95, 0x32a5705f, v69 :: v_dual_sub_f32 v68, v68, v128
	v_fma_f32 v133, 0x3fb8aa3b, v90, -v93
	v_dual_sub_f32 v80, v80, v130 :: v_dual_sub_f32 v81, v81, v132
	v_dual_sub_f32 v93, v93, v134 :: v_dual_add_f32 v68, v68, v95
	s_delay_alu instid0(VALU_DEP_2) | instskip(NEXT) | instid1(VALU_DEP_3)
	v_dual_fmac_f32 v133, 0x32a5705f, v90 :: v_dual_add_f32 v80, v80, v129
	v_dual_mul_f32 v94, 0x3fb8aa3b, v92 :: v_dual_add_f32 v81, v81, v131
	s_delay_alu instid0(VALU_DEP_3) | instskip(SKIP_1) | instid1(VALU_DEP_3)
	v_exp_f32_e32 v68, v68
	v_cvt_i32_f32_e32 v95, v128
	v_exp_f32_e32 v80, v80
	s_delay_alu instid0(VALU_DEP_2)
	v_rndne_f32_e32 v136, v94
	v_add_f32_e32 v93, v93, v133
	v_exp_f32_e32 v81, v81
	v_cvt_i32_f32_e32 v128, v130
	v_fma_f32 v135, 0x3fb8aa3b, v92, -v94
	v_sub_f32_e32 v94, v94, v136
	v_exp_f32_e32 v93, v93
	v_ldexp_f32 v68, v68, v95
	v_cvt_i32_f32_e32 v129, v132
	v_ldexp_f32 v80, v80, v128
	v_cvt_i32_f32_e32 v130, v134
	v_cvt_f16_f32_e32 v83, v72
	v_cndmask_b32_e32 v68, 0, v68, vcc_lo
	v_cmp_ngt_f32_e32 vcc_lo, 0xc2ce8ed0, v86
	v_ldexp_f32 v81, v81, v129
	s_delay_alu instid0(TRANS32_DEP_1) | instskip(SKIP_2) | instid1(VALU_DEP_4)
	v_ldexp_f32 v93, v93, v130
	v_cndmask_b32_e32 v95, 0, v80, vcc_lo
	v_cmp_ngt_f32_e32 vcc_lo, 0xc2ce8ed0, v89
	v_dual_fmac_f32 v135, 0x32a5705f, v92 :: v_dual_cndmask_b32 v128, 0, v81
	v_cmp_ngt_f32_e32 vcc_lo, 0xc2ce8ed0, v90
	s_delay_alu instid0(VALU_DEP_2) | instskip(SKIP_3) | instid1(VALU_DEP_4)
	v_dual_add_f32 v94, v94, v135 :: v_dual_cndmask_b32 v93, 0, v93
	v_cmp_nlt_f32_e32 vcc_lo, 0x42b17218, v69
	v_cndmask_b32_e32 v80, 0x7f800000, v68, vcc_lo
	v_cmp_nlt_f32_e32 vcc_lo, 0x42b17218, v86
	v_exp_f32_e32 v86, v94
	v_cndmask_b32_e32 v81, 0x7f800000, v95, vcc_lo
	v_cmp_nlt_f32_e32 vcc_lo, 0x42b17218, v89
	v_cvt_f16_f32_e32 v89, v80
	v_cvt_i32_f32_e32 v95, v136
	v_cndmask_b32_e32 v69, 0x7f800000, v128, vcc_lo
	v_cmp_nlt_f32_e32 vcc_lo, 0x42b17218, v90
	v_cvt_f16_f32_e32 v90, v81
	v_pack_b32_f16 v85, v85, v89
	v_cndmask_b32_e32 v68, 0x7f800000, v93, vcc_lo
	v_cvt_f16_f32_e32 v93, v69
	s_delay_alu instid0(VALU_DEP_4) | instskip(SKIP_1) | instid1(VALU_DEP_4)
	v_pack_b32_f16 v70, v70, v90
	v_cmp_ngt_f32_e32 vcc_lo, 0xc2ce8ed0, v92
	v_cvt_f16_f32_e32 v94, v68
	s_delay_alu instid0(VALU_DEP_4) | instskip(SKIP_1) | instid1(VALU_DEP_3)
	v_pack_b32_f16 v83, v83, v93
	v_ldexp_f32 v93, v86, v95
	v_pack_b32_f16 v84, v84, v94
	ds_store_2addr_b32 v87, v85, v70 offset1:32
	ds_store_2addr_b32 v87, v83, v84 offset0:64 offset1:96
	s_waitcnt vmcnt(7)
	ds_store_b128 v51, v[96:99]
	s_waitcnt vmcnt(6)
	ds_store_b128 v53, v[100:103]
	;; [unrolled: 2-line block ×8, first 2 shown]
	s_waitcnt lgkmcnt(0)
	s_barrier
	buffer_gl0_inv
	ds_load_2addr_b64 v[83:86], v60 offset1:32
	ds_load_b128 v[87:90], v52
	v_cndmask_b32_e32 v70, 0, v93, vcc_lo
	v_cmp_ngt_f32_e32 vcc_lo, 0xc2ce8ed0, v82
	v_add_nc_u32_e32 v107, 0x800, v60
	v_add_nc_u32_e32 v109, 0x7000, v60
	v_dual_cndmask_b32 v91, 0, v91 :: v_dual_add_nc_u32 v110, 0x7800, v60
	v_cmp_nlt_f32_e32 vcc_lo, 0x42b17218, v92
	v_cndmask_b32_e32 v70, 0x7f800000, v70, vcc_lo
	v_cmp_nlt_f32_e32 vcc_lo, 0x42b17218, v82
	s_delay_alu instid0(VALU_DEP_2)
	v_cvt_f16_f32_e32 v103, v70
	v_cndmask_b32_e32 v82, 0x7f800000, v91, vcc_lo
	ds_load_2addr_b64 v[91:94], v60 offset0:64 offset1:96
	s_waitcnt lgkmcnt(1)
	v_pk_mul_f16 v105, v83, v87 op_sel_hi:[1,0]
	v_pk_mul_f16 v83, v83, v87 op_sel:[0,1]
	v_pk_mul_f16 v64, v103, v64 op_sel_hi:[0,1]
	v_cvt_f16_f32_e32 v104, v82
	v_pk_mul_f16 v106, v84, v87 op_sel_hi:[1,0]
	ds_load_2addr_b64 v[95:98], v60 offset0:128 offset1:160
	ds_load_b128 v[99:102], v52 offset:16
	v_pk_fma_f16 v65, v65, v103, v83 op_sel_hi:[1,0,1]
	v_pk_fma_f16 v64, v84, v87, v64 op_sel:[0,1,0]
	v_pk_fma_f16 v66, v104, v66, v105 op_sel_hi:[0,1,1]
	v_pk_fma_f16 v67, v104, v67, v106 op_sel_hi:[0,1,1]
	s_delay_alu instid0(VALU_DEP_4) | instskip(NEXT) | instid1(VALU_DEP_4)
	v_pk_fma_f16 v84, v85, v88, v65 op_sel:[0,1,0]
	v_pk_fma_f16 v64, v86, v88, v64 op_sel:[0,1,0]
	s_delay_alu instid0(VALU_DEP_4) | instskip(NEXT) | instid1(VALU_DEP_4)
	v_pk_fma_f16 v83, v85, v88, v66 op_sel_hi:[1,0,1]
	v_pk_fma_f16 v85, v86, v88, v67 op_sel_hi:[1,0,1]
	s_waitcnt lgkmcnt(2)
	s_delay_alu instid0(VALU_DEP_3)
	v_pk_fma_f16 v86, v92, v89, v64 op_sel:[0,1,0]
	ds_load_2addr_b64 v[64:67], v60 offset0:192 offset1:224
	v_pk_fma_f16 v87, v91, v89, v83 op_sel_hi:[1,0,1]
	v_pk_fma_f16 v88, v91, v89, v84 op_sel:[0,1,0]
	v_pk_fma_f16 v89, v92, v89, v85 op_sel_hi:[1,0,1]
	v_pk_fma_f16 v91, v94, v90, v86 op_sel:[0,1,0]
	ds_load_2addr_b64 v[83:86], v107 offset1:32
	v_pk_fma_f16 v92, v93, v90, v87 op_sel_hi:[1,0,1]
	v_pk_fma_f16 v93, v93, v90, v88 op_sel:[0,1,0]
	v_pk_fma_f16 v94, v94, v90, v89 op_sel_hi:[1,0,1]
	s_waitcnt lgkmcnt(2)
	v_pk_fma_f16 v91, v96, v99, v91 op_sel:[0,1,0]
	ds_load_b128 v[87:90], v52 offset:32
	v_pk_fma_f16 v103, v95, v99, v92 op_sel_hi:[1,0,1]
	v_pk_fma_f16 v95, v95, v99, v93 op_sel:[0,1,0]
	v_pk_fma_f16 v96, v96, v99, v94 op_sel_hi:[1,0,1]
	v_pk_fma_f16 v99, v98, v100, v91 op_sel:[0,1,0]
	ds_load_2addr_b64 v[91:94], v107 offset0:64 offset1:96
	v_pk_fma_f16 v103, v97, v100, v103 op_sel_hi:[1,0,1]
	v_pk_fma_f16 v104, v97, v100, v95 op_sel:[0,1,0]
	v_pk_fma_f16 v100, v98, v100, v96 op_sel_hi:[1,0,1]
	ds_load_2addr_b64 v[95:98], v107 offset0:128 offset1:160
	s_waitcnt lgkmcnt(4)
	v_pk_fma_f16 v99, v65, v101, v99 op_sel:[0,1,0]
	v_pk_fma_f16 v108, v64, v101, v103 op_sel_hi:[1,0,1]
	v_pk_fma_f16 v64, v64, v101, v104 op_sel:[0,1,0]
	ds_load_b128 v[103:106], v52 offset:48
	v_pk_fma_f16 v65, v65, v101, v100 op_sel_hi:[1,0,1]
	v_pk_fma_f16 v99, v67, v102, v99 op_sel:[0,1,0]
	v_pk_fma_f16 v100, v66, v102, v108 op_sel_hi:[1,0,1]
	v_pk_fma_f16 v64, v66, v102, v64 op_sel:[0,1,0]
	v_add_nc_u32_e32 v108, 0x1000, v60
	v_pk_fma_f16 v65, v67, v102, v65 op_sel_hi:[1,0,1]
	s_waitcnt lgkmcnt(3)
	v_pk_fma_f16 v66, v84, v87, v99 op_sel:[0,1,0]
	v_pk_fma_f16 v67, v83, v87, v100 op_sel_hi:[1,0,1]
	v_pk_fma_f16 v64, v83, v87, v64 op_sel:[0,1,0]
	v_pk_fma_f16 v65, v84, v87, v65 op_sel_hi:[1,0,1]
	s_delay_alu instid0(VALU_DEP_4) | instskip(NEXT) | instid1(VALU_DEP_4)
	v_pk_fma_f16 v66, v86, v88, v66 op_sel:[0,1,0]
	v_pk_fma_f16 v83, v85, v88, v67 op_sel_hi:[1,0,1]
	s_delay_alu instid0(VALU_DEP_4) | instskip(NEXT) | instid1(VALU_DEP_4)
	v_pk_fma_f16 v84, v85, v88, v64 op_sel:[0,1,0]
	v_pk_fma_f16 v85, v86, v88, v65 op_sel_hi:[1,0,1]
	s_waitcnt lgkmcnt(2)
	v_pk_fma_f16 v86, v92, v89, v66 op_sel:[0,1,0]
	ds_load_2addr_b64 v[64:67], v107 offset0:192 offset1:224
	v_pk_fma_f16 v87, v91, v89, v83 op_sel_hi:[1,0,1]
	v_pk_fma_f16 v88, v91, v89, v84 op_sel:[0,1,0]
	v_pk_fma_f16 v89, v92, v89, v85 op_sel_hi:[1,0,1]
	v_pk_fma_f16 v91, v94, v90, v86 op_sel:[0,1,0]
	ds_load_2addr_b64 v[83:86], v108 offset1:32
	v_pk_fma_f16 v92, v93, v90, v87 op_sel_hi:[1,0,1]
	v_pk_fma_f16 v93, v93, v90, v88 op_sel:[0,1,0]
	v_pk_fma_f16 v94, v94, v90, v89 op_sel_hi:[1,0,1]
	s_waitcnt lgkmcnt(2)
	v_pk_fma_f16 v91, v96, v103, v91 op_sel:[0,1,0]
	ds_load_b128 v[87:90], v52 offset:64
	v_pk_fma_f16 v99, v95, v103, v92 op_sel_hi:[1,0,1]
	v_pk_fma_f16 v95, v95, v103, v93 op_sel:[0,1,0]
	v_pk_fma_f16 v96, v96, v103, v94 op_sel_hi:[1,0,1]
	v_pk_fma_f16 v100, v98, v104, v91 op_sel:[0,1,0]
	ds_load_2addr_b64 v[91:94], v108 offset0:64 offset1:96
	v_pk_fma_f16 v99, v97, v104, v99 op_sel_hi:[1,0,1]
	v_pk_fma_f16 v101, v97, v104, v95 op_sel:[0,1,0]
	v_pk_fma_f16 v102, v98, v104, v96 op_sel_hi:[1,0,1]
	ds_load_2addr_b64 v[95:98], v108 offset0:128 offset1:160
	s_waitcnt lgkmcnt(4)
	v_pk_fma_f16 v100, v65, v105, v100 op_sel:[0,1,0]
	v_pk_fma_f16 v103, v64, v105, v99 op_sel_hi:[1,0,1]
	v_pk_fma_f16 v64, v64, v105, v101 op_sel:[0,1,0]
	v_pk_fma_f16 v65, v65, v105, v102 op_sel_hi:[1,0,1]
	v_add_nc_u32_e32 v107, 0x1800, v60
	v_pk_fma_f16 v104, v67, v106, v100 op_sel:[0,1,0]
	ds_load_b128 v[99:102], v52 offset:80
	v_pk_fma_f16 v103, v66, v106, v103 op_sel_hi:[1,0,1]
	v_pk_fma_f16 v64, v66, v106, v64 op_sel:[0,1,0]
	v_pk_fma_f16 v65, v67, v106, v65 op_sel_hi:[1,0,1]
	s_waitcnt lgkmcnt(3)
	v_pk_fma_f16 v66, v84, v87, v104 op_sel:[0,1,0]
	v_pk_fma_f16 v67, v83, v87, v103 op_sel_hi:[1,0,1]
	v_pk_fma_f16 v64, v83, v87, v64 op_sel:[0,1,0]
	v_pk_fma_f16 v65, v84, v87, v65 op_sel_hi:[1,0,1]
	s_delay_alu instid0(VALU_DEP_4) | instskip(NEXT) | instid1(VALU_DEP_4)
	v_pk_fma_f16 v66, v86, v88, v66 op_sel:[0,1,0]
	v_pk_fma_f16 v83, v85, v88, v67 op_sel_hi:[1,0,1]
	s_delay_alu instid0(VALU_DEP_4) | instskip(NEXT) | instid1(VALU_DEP_4)
	v_pk_fma_f16 v84, v85, v88, v64 op_sel:[0,1,0]
	v_pk_fma_f16 v85, v86, v88, v65 op_sel_hi:[1,0,1]
	s_waitcnt lgkmcnt(2)
	v_pk_fma_f16 v86, v92, v89, v66 op_sel:[0,1,0]
	ds_load_2addr_b64 v[64:67], v108 offset0:192 offset1:224
	v_pk_fma_f16 v87, v91, v89, v83 op_sel_hi:[1,0,1]
	v_pk_fma_f16 v88, v91, v89, v84 op_sel:[0,1,0]
	v_pk_fma_f16 v89, v92, v89, v85 op_sel_hi:[1,0,1]
	v_pk_fma_f16 v91, v94, v90, v86 op_sel:[0,1,0]
	ds_load_2addr_b64 v[83:86], v107 offset1:32
	v_pk_fma_f16 v92, v93, v90, v87 op_sel_hi:[1,0,1]
	v_pk_fma_f16 v93, v93, v90, v88 op_sel:[0,1,0]
	v_pk_fma_f16 v94, v94, v90, v89 op_sel_hi:[1,0,1]
	s_waitcnt lgkmcnt(2)
	v_pk_fma_f16 v91, v96, v99, v91 op_sel:[0,1,0]
	ds_load_b128 v[87:90], v52 offset:96
	v_pk_fma_f16 v103, v95, v99, v92 op_sel_hi:[1,0,1]
	v_pk_fma_f16 v95, v95, v99, v93 op_sel:[0,1,0]
	v_pk_fma_f16 v96, v96, v99, v94 op_sel_hi:[1,0,1]
	v_pk_fma_f16 v99, v98, v100, v91 op_sel:[0,1,0]
	ds_load_2addr_b64 v[91:94], v107 offset0:64 offset1:96
	v_pk_fma_f16 v103, v97, v100, v103 op_sel_hi:[1,0,1]
	v_pk_fma_f16 v104, v97, v100, v95 op_sel:[0,1,0]
	v_pk_fma_f16 v100, v98, v100, v96 op_sel_hi:[1,0,1]
	ds_load_2addr_b64 v[95:98], v107 offset0:128 offset1:160
	s_waitcnt lgkmcnt(4)
	v_pk_fma_f16 v99, v65, v101, v99 op_sel:[0,1,0]
	v_pk_fma_f16 v108, v64, v101, v103 op_sel_hi:[1,0,1]
	v_pk_fma_f16 v64, v64, v101, v104 op_sel:[0,1,0]
	ds_load_b128 v[103:106], v52 offset:112
	v_pk_fma_f16 v65, v65, v101, v100 op_sel_hi:[1,0,1]
	v_pk_fma_f16 v99, v67, v102, v99 op_sel:[0,1,0]
	v_pk_fma_f16 v100, v66, v102, v108 op_sel_hi:[1,0,1]
	v_pk_fma_f16 v64, v66, v102, v64 op_sel:[0,1,0]
	v_add_nc_u32_e32 v108, 0x2000, v60
	v_pk_fma_f16 v65, v67, v102, v65 op_sel_hi:[1,0,1]
	s_waitcnt lgkmcnt(3)
	v_pk_fma_f16 v66, v84, v87, v99 op_sel:[0,1,0]
	v_pk_fma_f16 v67, v83, v87, v100 op_sel_hi:[1,0,1]
	v_pk_fma_f16 v64, v83, v87, v64 op_sel:[0,1,0]
	v_pk_fma_f16 v65, v84, v87, v65 op_sel_hi:[1,0,1]
	s_delay_alu instid0(VALU_DEP_4) | instskip(NEXT) | instid1(VALU_DEP_4)
	v_pk_fma_f16 v66, v86, v88, v66 op_sel:[0,1,0]
	v_pk_fma_f16 v83, v85, v88, v67 op_sel_hi:[1,0,1]
	s_delay_alu instid0(VALU_DEP_4) | instskip(NEXT) | instid1(VALU_DEP_4)
	v_pk_fma_f16 v84, v85, v88, v64 op_sel:[0,1,0]
	v_pk_fma_f16 v85, v86, v88, v65 op_sel_hi:[1,0,1]
	s_waitcnt lgkmcnt(2)
	v_pk_fma_f16 v86, v92, v89, v66 op_sel:[0,1,0]
	ds_load_2addr_b64 v[64:67], v107 offset0:192 offset1:224
	v_pk_fma_f16 v87, v91, v89, v83 op_sel_hi:[1,0,1]
	v_pk_fma_f16 v88, v91, v89, v84 op_sel:[0,1,0]
	v_pk_fma_f16 v89, v92, v89, v85 op_sel_hi:[1,0,1]
	v_pk_fma_f16 v91, v94, v90, v86 op_sel:[0,1,0]
	ds_load_2addr_b64 v[83:86], v108 offset1:32
	v_pk_fma_f16 v92, v93, v90, v87 op_sel_hi:[1,0,1]
	v_pk_fma_f16 v93, v93, v90, v88 op_sel:[0,1,0]
	v_pk_fma_f16 v94, v94, v90, v89 op_sel_hi:[1,0,1]
	s_waitcnt lgkmcnt(2)
	v_pk_fma_f16 v91, v96, v103, v91 op_sel:[0,1,0]
	ds_load_b128 v[87:90], v52 offset:128
	v_pk_fma_f16 v99, v95, v103, v92 op_sel_hi:[1,0,1]
	v_pk_fma_f16 v95, v95, v103, v93 op_sel:[0,1,0]
	v_pk_fma_f16 v96, v96, v103, v94 op_sel_hi:[1,0,1]
	v_pk_fma_f16 v100, v98, v104, v91 op_sel:[0,1,0]
	ds_load_2addr_b64 v[91:94], v108 offset0:64 offset1:96
	v_pk_fma_f16 v99, v97, v104, v99 op_sel_hi:[1,0,1]
	v_pk_fma_f16 v101, v97, v104, v95 op_sel:[0,1,0]
	v_pk_fma_f16 v102, v98, v104, v96 op_sel_hi:[1,0,1]
	ds_load_2addr_b64 v[95:98], v108 offset0:128 offset1:160
	s_waitcnt lgkmcnt(4)
	v_pk_fma_f16 v100, v65, v105, v100 op_sel:[0,1,0]
	v_pk_fma_f16 v103, v64, v105, v99 op_sel_hi:[1,0,1]
	v_pk_fma_f16 v64, v64, v105, v101 op_sel:[0,1,0]
	v_pk_fma_f16 v65, v65, v105, v102 op_sel_hi:[1,0,1]
	v_add_nc_u32_e32 v107, 0x2800, v60
	v_pk_fma_f16 v104, v67, v106, v100 op_sel:[0,1,0]
	ds_load_b128 v[99:102], v52 offset:144
	v_pk_fma_f16 v103, v66, v106, v103 op_sel_hi:[1,0,1]
	v_pk_fma_f16 v64, v66, v106, v64 op_sel:[0,1,0]
	v_pk_fma_f16 v65, v67, v106, v65 op_sel_hi:[1,0,1]
	s_waitcnt lgkmcnt(3)
	v_pk_fma_f16 v66, v84, v87, v104 op_sel:[0,1,0]
	v_pk_fma_f16 v67, v83, v87, v103 op_sel_hi:[1,0,1]
	v_pk_fma_f16 v64, v83, v87, v64 op_sel:[0,1,0]
	v_pk_fma_f16 v65, v84, v87, v65 op_sel_hi:[1,0,1]
	s_delay_alu instid0(VALU_DEP_4) | instskip(NEXT) | instid1(VALU_DEP_4)
	v_pk_fma_f16 v66, v86, v88, v66 op_sel:[0,1,0]
	v_pk_fma_f16 v83, v85, v88, v67 op_sel_hi:[1,0,1]
	s_delay_alu instid0(VALU_DEP_4) | instskip(NEXT) | instid1(VALU_DEP_4)
	v_pk_fma_f16 v84, v85, v88, v64 op_sel:[0,1,0]
	v_pk_fma_f16 v85, v86, v88, v65 op_sel_hi:[1,0,1]
	s_waitcnt lgkmcnt(2)
	v_pk_fma_f16 v86, v92, v89, v66 op_sel:[0,1,0]
	ds_load_2addr_b64 v[64:67], v108 offset0:192 offset1:224
	v_pk_fma_f16 v87, v91, v89, v83 op_sel_hi:[1,0,1]
	v_pk_fma_f16 v88, v91, v89, v84 op_sel:[0,1,0]
	v_pk_fma_f16 v89, v92, v89, v85 op_sel_hi:[1,0,1]
	v_pk_fma_f16 v91, v94, v90, v86 op_sel:[0,1,0]
	ds_load_2addr_b64 v[83:86], v107 offset1:32
	v_pk_fma_f16 v92, v93, v90, v87 op_sel_hi:[1,0,1]
	v_pk_fma_f16 v93, v93, v90, v88 op_sel:[0,1,0]
	v_pk_fma_f16 v94, v94, v90, v89 op_sel_hi:[1,0,1]
	s_waitcnt lgkmcnt(2)
	v_pk_fma_f16 v91, v96, v99, v91 op_sel:[0,1,0]
	ds_load_b128 v[87:90], v52 offset:160
	v_pk_fma_f16 v103, v95, v99, v92 op_sel_hi:[1,0,1]
	v_pk_fma_f16 v95, v95, v99, v93 op_sel:[0,1,0]
	v_pk_fma_f16 v96, v96, v99, v94 op_sel_hi:[1,0,1]
	v_pk_fma_f16 v99, v98, v100, v91 op_sel:[0,1,0]
	ds_load_2addr_b64 v[91:94], v107 offset0:64 offset1:96
	v_pk_fma_f16 v103, v97, v100, v103 op_sel_hi:[1,0,1]
	v_pk_fma_f16 v104, v97, v100, v95 op_sel:[0,1,0]
	v_pk_fma_f16 v100, v98, v100, v96 op_sel_hi:[1,0,1]
	ds_load_2addr_b64 v[95:98], v107 offset0:128 offset1:160
	s_waitcnt lgkmcnt(4)
	v_pk_fma_f16 v99, v65, v101, v99 op_sel:[0,1,0]
	v_pk_fma_f16 v108, v64, v101, v103 op_sel_hi:[1,0,1]
	v_pk_fma_f16 v64, v64, v101, v104 op_sel:[0,1,0]
	ds_load_b128 v[103:106], v52 offset:176
	v_pk_fma_f16 v65, v65, v101, v100 op_sel_hi:[1,0,1]
	v_pk_fma_f16 v99, v67, v102, v99 op_sel:[0,1,0]
	v_pk_fma_f16 v100, v66, v102, v108 op_sel_hi:[1,0,1]
	v_pk_fma_f16 v64, v66, v102, v64 op_sel:[0,1,0]
	v_add_nc_u32_e32 v108, 0x3000, v60
	v_pk_fma_f16 v65, v67, v102, v65 op_sel_hi:[1,0,1]
	s_waitcnt lgkmcnt(3)
	v_pk_fma_f16 v66, v84, v87, v99 op_sel:[0,1,0]
	v_pk_fma_f16 v67, v83, v87, v100 op_sel_hi:[1,0,1]
	v_pk_fma_f16 v64, v83, v87, v64 op_sel:[0,1,0]
	v_pk_fma_f16 v65, v84, v87, v65 op_sel_hi:[1,0,1]
	s_delay_alu instid0(VALU_DEP_4) | instskip(NEXT) | instid1(VALU_DEP_4)
	v_pk_fma_f16 v66, v86, v88, v66 op_sel:[0,1,0]
	v_pk_fma_f16 v83, v85, v88, v67 op_sel_hi:[1,0,1]
	s_delay_alu instid0(VALU_DEP_4) | instskip(NEXT) | instid1(VALU_DEP_4)
	v_pk_fma_f16 v84, v85, v88, v64 op_sel:[0,1,0]
	v_pk_fma_f16 v85, v86, v88, v65 op_sel_hi:[1,0,1]
	s_waitcnt lgkmcnt(2)
	v_pk_fma_f16 v86, v92, v89, v66 op_sel:[0,1,0]
	ds_load_2addr_b64 v[64:67], v107 offset0:192 offset1:224
	v_pk_fma_f16 v87, v91, v89, v83 op_sel_hi:[1,0,1]
	v_pk_fma_f16 v88, v91, v89, v84 op_sel:[0,1,0]
	v_pk_fma_f16 v89, v92, v89, v85 op_sel_hi:[1,0,1]
	v_pk_fma_f16 v91, v94, v90, v86 op_sel:[0,1,0]
	ds_load_2addr_b64 v[83:86], v108 offset1:32
	v_pk_fma_f16 v92, v93, v90, v87 op_sel_hi:[1,0,1]
	v_pk_fma_f16 v93, v93, v90, v88 op_sel:[0,1,0]
	v_pk_fma_f16 v94, v94, v90, v89 op_sel_hi:[1,0,1]
	s_waitcnt lgkmcnt(2)
	v_pk_fma_f16 v91, v96, v103, v91 op_sel:[0,1,0]
	ds_load_b128 v[87:90], v52 offset:192
	v_pk_fma_f16 v99, v95, v103, v92 op_sel_hi:[1,0,1]
	v_pk_fma_f16 v95, v95, v103, v93 op_sel:[0,1,0]
	v_pk_fma_f16 v96, v96, v103, v94 op_sel_hi:[1,0,1]
	v_pk_fma_f16 v100, v98, v104, v91 op_sel:[0,1,0]
	ds_load_2addr_b64 v[91:94], v108 offset0:64 offset1:96
	v_pk_fma_f16 v99, v97, v104, v99 op_sel_hi:[1,0,1]
	v_pk_fma_f16 v101, v97, v104, v95 op_sel:[0,1,0]
	v_pk_fma_f16 v102, v98, v104, v96 op_sel_hi:[1,0,1]
	ds_load_2addr_b64 v[95:98], v108 offset0:128 offset1:160
	s_waitcnt lgkmcnt(4)
	v_pk_fma_f16 v100, v65, v105, v100 op_sel:[0,1,0]
	v_pk_fma_f16 v103, v64, v105, v99 op_sel_hi:[1,0,1]
	v_pk_fma_f16 v64, v64, v105, v101 op_sel:[0,1,0]
	v_pk_fma_f16 v65, v65, v105, v102 op_sel_hi:[1,0,1]
	v_add_nc_u32_e32 v107, 0x3800, v60
	v_pk_fma_f16 v104, v67, v106, v100 op_sel:[0,1,0]
	ds_load_b128 v[99:102], v52 offset:208
	v_pk_fma_f16 v103, v66, v106, v103 op_sel_hi:[1,0,1]
	v_pk_fma_f16 v64, v66, v106, v64 op_sel:[0,1,0]
	v_pk_fma_f16 v65, v67, v106, v65 op_sel_hi:[1,0,1]
	s_waitcnt lgkmcnt(3)
	v_pk_fma_f16 v66, v84, v87, v104 op_sel:[0,1,0]
	v_pk_fma_f16 v67, v83, v87, v103 op_sel_hi:[1,0,1]
	v_pk_fma_f16 v64, v83, v87, v64 op_sel:[0,1,0]
	v_pk_fma_f16 v65, v84, v87, v65 op_sel_hi:[1,0,1]
	s_delay_alu instid0(VALU_DEP_4) | instskip(NEXT) | instid1(VALU_DEP_4)
	v_pk_fma_f16 v66, v86, v88, v66 op_sel:[0,1,0]
	v_pk_fma_f16 v83, v85, v88, v67 op_sel_hi:[1,0,1]
	s_delay_alu instid0(VALU_DEP_4) | instskip(NEXT) | instid1(VALU_DEP_4)
	v_pk_fma_f16 v84, v85, v88, v64 op_sel:[0,1,0]
	v_pk_fma_f16 v85, v86, v88, v65 op_sel_hi:[1,0,1]
	s_waitcnt lgkmcnt(2)
	v_pk_fma_f16 v86, v92, v89, v66 op_sel:[0,1,0]
	ds_load_2addr_b64 v[64:67], v108 offset0:192 offset1:224
	v_pk_fma_f16 v87, v91, v89, v83 op_sel_hi:[1,0,1]
	v_pk_fma_f16 v88, v91, v89, v84 op_sel:[0,1,0]
	v_pk_fma_f16 v89, v92, v89, v85 op_sel_hi:[1,0,1]
	v_pk_fma_f16 v91, v94, v90, v86 op_sel:[0,1,0]
	ds_load_2addr_b64 v[83:86], v107 offset1:32
	v_pk_fma_f16 v92, v93, v90, v87 op_sel_hi:[1,0,1]
	v_pk_fma_f16 v93, v93, v90, v88 op_sel:[0,1,0]
	v_pk_fma_f16 v94, v94, v90, v89 op_sel_hi:[1,0,1]
	s_waitcnt lgkmcnt(2)
	v_pk_fma_f16 v91, v96, v99, v91 op_sel:[0,1,0]
	ds_load_b128 v[87:90], v52 offset:224
	v_pk_fma_f16 v103, v95, v99, v92 op_sel_hi:[1,0,1]
	v_pk_fma_f16 v95, v95, v99, v93 op_sel:[0,1,0]
	v_pk_fma_f16 v96, v96, v99, v94 op_sel_hi:[1,0,1]
	v_pk_fma_f16 v99, v98, v100, v91 op_sel:[0,1,0]
	ds_load_2addr_b64 v[91:94], v107 offset0:64 offset1:96
	v_pk_fma_f16 v103, v97, v100, v103 op_sel_hi:[1,0,1]
	v_pk_fma_f16 v104, v97, v100, v95 op_sel:[0,1,0]
	v_pk_fma_f16 v100, v98, v100, v96 op_sel_hi:[1,0,1]
	ds_load_2addr_b64 v[95:98], v107 offset0:128 offset1:160
	s_waitcnt lgkmcnt(4)
	v_pk_fma_f16 v99, v65, v101, v99 op_sel:[0,1,0]
	v_pk_fma_f16 v108, v64, v101, v103 op_sel_hi:[1,0,1]
	v_pk_fma_f16 v64, v64, v101, v104 op_sel:[0,1,0]
	ds_load_b128 v[103:106], v52 offset:240
	v_pk_fma_f16 v65, v65, v101, v100 op_sel_hi:[1,0,1]
	v_pk_fma_f16 v99, v67, v102, v99 op_sel:[0,1,0]
	v_pk_fma_f16 v100, v66, v102, v108 op_sel_hi:[1,0,1]
	v_pk_fma_f16 v64, v66, v102, v64 op_sel:[0,1,0]
	v_add_nc_u32_e32 v108, 0x4000, v60
	v_pk_fma_f16 v65, v67, v102, v65 op_sel_hi:[1,0,1]
	s_waitcnt lgkmcnt(3)
	v_pk_fma_f16 v66, v84, v87, v99 op_sel:[0,1,0]
	v_pk_fma_f16 v67, v83, v87, v100 op_sel_hi:[1,0,1]
	v_pk_fma_f16 v64, v83, v87, v64 op_sel:[0,1,0]
	v_pk_fma_f16 v65, v84, v87, v65 op_sel_hi:[1,0,1]
	s_delay_alu instid0(VALU_DEP_4) | instskip(NEXT) | instid1(VALU_DEP_4)
	v_pk_fma_f16 v66, v86, v88, v66 op_sel:[0,1,0]
	v_pk_fma_f16 v83, v85, v88, v67 op_sel_hi:[1,0,1]
	s_delay_alu instid0(VALU_DEP_4) | instskip(NEXT) | instid1(VALU_DEP_4)
	v_pk_fma_f16 v84, v85, v88, v64 op_sel:[0,1,0]
	v_pk_fma_f16 v85, v86, v88, v65 op_sel_hi:[1,0,1]
	s_waitcnt lgkmcnt(2)
	v_pk_fma_f16 v86, v92, v89, v66 op_sel:[0,1,0]
	ds_load_2addr_b64 v[64:67], v107 offset0:192 offset1:224
	v_pk_fma_f16 v87, v91, v89, v83 op_sel_hi:[1,0,1]
	v_pk_fma_f16 v88, v91, v89, v84 op_sel:[0,1,0]
	v_pk_fma_f16 v89, v92, v89, v85 op_sel_hi:[1,0,1]
	v_pk_fma_f16 v91, v94, v90, v86 op_sel:[0,1,0]
	ds_load_2addr_b64 v[83:86], v108 offset1:32
	v_pk_fma_f16 v92, v93, v90, v87 op_sel_hi:[1,0,1]
	v_pk_fma_f16 v93, v93, v90, v88 op_sel:[0,1,0]
	v_pk_fma_f16 v94, v94, v90, v89 op_sel_hi:[1,0,1]
	s_waitcnt lgkmcnt(2)
	v_pk_fma_f16 v91, v96, v103, v91 op_sel:[0,1,0]
	ds_load_b128 v[87:90], v52 offset:256
	v_pk_fma_f16 v99, v95, v103, v92 op_sel_hi:[1,0,1]
	v_pk_fma_f16 v95, v95, v103, v93 op_sel:[0,1,0]
	v_pk_fma_f16 v96, v96, v103, v94 op_sel_hi:[1,0,1]
	v_pk_fma_f16 v100, v98, v104, v91 op_sel:[0,1,0]
	ds_load_2addr_b64 v[91:94], v108 offset0:64 offset1:96
	v_pk_fma_f16 v99, v97, v104, v99 op_sel_hi:[1,0,1]
	v_pk_fma_f16 v101, v97, v104, v95 op_sel:[0,1,0]
	v_pk_fma_f16 v102, v98, v104, v96 op_sel_hi:[1,0,1]
	ds_load_2addr_b64 v[95:98], v108 offset0:128 offset1:160
	s_waitcnt lgkmcnt(4)
	v_pk_fma_f16 v100, v65, v105, v100 op_sel:[0,1,0]
	v_pk_fma_f16 v103, v64, v105, v99 op_sel_hi:[1,0,1]
	v_pk_fma_f16 v64, v64, v105, v101 op_sel:[0,1,0]
	v_pk_fma_f16 v65, v65, v105, v102 op_sel_hi:[1,0,1]
	v_add_nc_u32_e32 v107, 0x4800, v60
	v_pk_fma_f16 v104, v67, v106, v100 op_sel:[0,1,0]
	ds_load_b128 v[99:102], v52 offset:272
	v_pk_fma_f16 v103, v66, v106, v103 op_sel_hi:[1,0,1]
	v_pk_fma_f16 v64, v66, v106, v64 op_sel:[0,1,0]
	v_pk_fma_f16 v65, v67, v106, v65 op_sel_hi:[1,0,1]
	s_waitcnt lgkmcnt(3)
	v_pk_fma_f16 v66, v84, v87, v104 op_sel:[0,1,0]
	v_pk_fma_f16 v67, v83, v87, v103 op_sel_hi:[1,0,1]
	v_pk_fma_f16 v64, v83, v87, v64 op_sel:[0,1,0]
	v_pk_fma_f16 v65, v84, v87, v65 op_sel_hi:[1,0,1]
	s_delay_alu instid0(VALU_DEP_4) | instskip(NEXT) | instid1(VALU_DEP_4)
	v_pk_fma_f16 v66, v86, v88, v66 op_sel:[0,1,0]
	v_pk_fma_f16 v83, v85, v88, v67 op_sel_hi:[1,0,1]
	s_delay_alu instid0(VALU_DEP_4) | instskip(NEXT) | instid1(VALU_DEP_4)
	v_pk_fma_f16 v84, v85, v88, v64 op_sel:[0,1,0]
	v_pk_fma_f16 v85, v86, v88, v65 op_sel_hi:[1,0,1]
	s_waitcnt lgkmcnt(2)
	v_pk_fma_f16 v86, v92, v89, v66 op_sel:[0,1,0]
	ds_load_2addr_b64 v[64:67], v108 offset0:192 offset1:224
	v_pk_fma_f16 v87, v91, v89, v83 op_sel_hi:[1,0,1]
	v_pk_fma_f16 v88, v91, v89, v84 op_sel:[0,1,0]
	v_pk_fma_f16 v89, v92, v89, v85 op_sel_hi:[1,0,1]
	v_pk_fma_f16 v91, v94, v90, v86 op_sel:[0,1,0]
	ds_load_2addr_b64 v[83:86], v107 offset1:32
	v_pk_fma_f16 v92, v93, v90, v87 op_sel_hi:[1,0,1]
	v_pk_fma_f16 v93, v93, v90, v88 op_sel:[0,1,0]
	v_pk_fma_f16 v94, v94, v90, v89 op_sel_hi:[1,0,1]
	s_waitcnt lgkmcnt(2)
	v_pk_fma_f16 v91, v96, v99, v91 op_sel:[0,1,0]
	ds_load_b128 v[87:90], v52 offset:288
	v_pk_fma_f16 v103, v95, v99, v92 op_sel_hi:[1,0,1]
	v_pk_fma_f16 v95, v95, v99, v93 op_sel:[0,1,0]
	v_pk_fma_f16 v96, v96, v99, v94 op_sel_hi:[1,0,1]
	v_pk_fma_f16 v99, v98, v100, v91 op_sel:[0,1,0]
	ds_load_2addr_b64 v[91:94], v107 offset0:64 offset1:96
	v_pk_fma_f16 v103, v97, v100, v103 op_sel_hi:[1,0,1]
	v_pk_fma_f16 v104, v97, v100, v95 op_sel:[0,1,0]
	v_pk_fma_f16 v100, v98, v100, v96 op_sel_hi:[1,0,1]
	ds_load_2addr_b64 v[95:98], v107 offset0:128 offset1:160
	s_waitcnt lgkmcnt(4)
	v_pk_fma_f16 v99, v65, v101, v99 op_sel:[0,1,0]
	v_pk_fma_f16 v108, v64, v101, v103 op_sel_hi:[1,0,1]
	v_pk_fma_f16 v64, v64, v101, v104 op_sel:[0,1,0]
	ds_load_b128 v[103:106], v52 offset:304
	v_pk_fma_f16 v65, v65, v101, v100 op_sel_hi:[1,0,1]
	v_pk_fma_f16 v99, v67, v102, v99 op_sel:[0,1,0]
	v_pk_fma_f16 v100, v66, v102, v108 op_sel_hi:[1,0,1]
	v_pk_fma_f16 v64, v66, v102, v64 op_sel:[0,1,0]
	v_add_nc_u32_e32 v108, 0x5000, v60
	v_pk_fma_f16 v65, v67, v102, v65 op_sel_hi:[1,0,1]
	s_waitcnt lgkmcnt(3)
	v_pk_fma_f16 v66, v84, v87, v99 op_sel:[0,1,0]
	v_pk_fma_f16 v67, v83, v87, v100 op_sel_hi:[1,0,1]
	v_pk_fma_f16 v64, v83, v87, v64 op_sel:[0,1,0]
	v_pk_fma_f16 v65, v84, v87, v65 op_sel_hi:[1,0,1]
	s_delay_alu instid0(VALU_DEP_4) | instskip(NEXT) | instid1(VALU_DEP_4)
	v_pk_fma_f16 v66, v86, v88, v66 op_sel:[0,1,0]
	v_pk_fma_f16 v83, v85, v88, v67 op_sel_hi:[1,0,1]
	s_delay_alu instid0(VALU_DEP_4) | instskip(NEXT) | instid1(VALU_DEP_4)
	v_pk_fma_f16 v84, v85, v88, v64 op_sel:[0,1,0]
	v_pk_fma_f16 v85, v86, v88, v65 op_sel_hi:[1,0,1]
	s_waitcnt lgkmcnt(2)
	v_pk_fma_f16 v86, v92, v89, v66 op_sel:[0,1,0]
	ds_load_2addr_b64 v[64:67], v107 offset0:192 offset1:224
	v_pk_fma_f16 v87, v91, v89, v83 op_sel_hi:[1,0,1]
	v_pk_fma_f16 v88, v91, v89, v84 op_sel:[0,1,0]
	v_pk_fma_f16 v89, v92, v89, v85 op_sel_hi:[1,0,1]
	v_pk_fma_f16 v91, v94, v90, v86 op_sel:[0,1,0]
	ds_load_2addr_b64 v[83:86], v108 offset1:32
	v_pk_fma_f16 v92, v93, v90, v87 op_sel_hi:[1,0,1]
	v_pk_fma_f16 v93, v93, v90, v88 op_sel:[0,1,0]
	v_pk_fma_f16 v94, v94, v90, v89 op_sel_hi:[1,0,1]
	s_waitcnt lgkmcnt(2)
	v_pk_fma_f16 v91, v96, v103, v91 op_sel:[0,1,0]
	ds_load_b128 v[87:90], v52 offset:320
	v_pk_fma_f16 v99, v95, v103, v92 op_sel_hi:[1,0,1]
	v_pk_fma_f16 v95, v95, v103, v93 op_sel:[0,1,0]
	v_pk_fma_f16 v96, v96, v103, v94 op_sel_hi:[1,0,1]
	v_pk_fma_f16 v100, v98, v104, v91 op_sel:[0,1,0]
	ds_load_2addr_b64 v[91:94], v108 offset0:64 offset1:96
	v_pk_fma_f16 v99, v97, v104, v99 op_sel_hi:[1,0,1]
	v_pk_fma_f16 v101, v97, v104, v95 op_sel:[0,1,0]
	v_pk_fma_f16 v102, v98, v104, v96 op_sel_hi:[1,0,1]
	ds_load_2addr_b64 v[95:98], v108 offset0:128 offset1:160
	s_waitcnt lgkmcnt(4)
	v_pk_fma_f16 v100, v65, v105, v100 op_sel:[0,1,0]
	v_pk_fma_f16 v103, v64, v105, v99 op_sel_hi:[1,0,1]
	v_pk_fma_f16 v64, v64, v105, v101 op_sel:[0,1,0]
	v_pk_fma_f16 v65, v65, v105, v102 op_sel_hi:[1,0,1]
	v_add_nc_u32_e32 v107, 0x5800, v60
	v_pk_fma_f16 v104, v67, v106, v100 op_sel:[0,1,0]
	ds_load_b128 v[99:102], v52 offset:336
	v_pk_fma_f16 v103, v66, v106, v103 op_sel_hi:[1,0,1]
	v_pk_fma_f16 v64, v66, v106, v64 op_sel:[0,1,0]
	v_pk_fma_f16 v65, v67, v106, v65 op_sel_hi:[1,0,1]
	s_waitcnt lgkmcnt(3)
	v_pk_fma_f16 v66, v84, v87, v104 op_sel:[0,1,0]
	v_pk_fma_f16 v67, v83, v87, v103 op_sel_hi:[1,0,1]
	v_pk_fma_f16 v64, v83, v87, v64 op_sel:[0,1,0]
	v_pk_fma_f16 v65, v84, v87, v65 op_sel_hi:[1,0,1]
	s_delay_alu instid0(VALU_DEP_4) | instskip(NEXT) | instid1(VALU_DEP_4)
	v_pk_fma_f16 v66, v86, v88, v66 op_sel:[0,1,0]
	v_pk_fma_f16 v83, v85, v88, v67 op_sel_hi:[1,0,1]
	s_delay_alu instid0(VALU_DEP_4) | instskip(NEXT) | instid1(VALU_DEP_4)
	v_pk_fma_f16 v84, v85, v88, v64 op_sel:[0,1,0]
	v_pk_fma_f16 v85, v86, v88, v65 op_sel_hi:[1,0,1]
	s_waitcnt lgkmcnt(2)
	v_pk_fma_f16 v86, v92, v89, v66 op_sel:[0,1,0]
	ds_load_2addr_b64 v[64:67], v108 offset0:192 offset1:224
	v_pk_fma_f16 v87, v91, v89, v83 op_sel_hi:[1,0,1]
	v_pk_fma_f16 v88, v91, v89, v84 op_sel:[0,1,0]
	v_pk_fma_f16 v89, v92, v89, v85 op_sel_hi:[1,0,1]
	v_pk_fma_f16 v91, v94, v90, v86 op_sel:[0,1,0]
	ds_load_2addr_b64 v[83:86], v107 offset1:32
	v_pk_fma_f16 v92, v93, v90, v87 op_sel_hi:[1,0,1]
	v_pk_fma_f16 v93, v93, v90, v88 op_sel:[0,1,0]
	v_pk_fma_f16 v94, v94, v90, v89 op_sel_hi:[1,0,1]
	s_waitcnt lgkmcnt(2)
	v_pk_fma_f16 v91, v96, v99, v91 op_sel:[0,1,0]
	ds_load_b128 v[87:90], v52 offset:352
	v_pk_fma_f16 v103, v95, v99, v92 op_sel_hi:[1,0,1]
	v_pk_fma_f16 v95, v95, v99, v93 op_sel:[0,1,0]
	v_pk_fma_f16 v96, v96, v99, v94 op_sel_hi:[1,0,1]
	v_pk_fma_f16 v99, v98, v100, v91 op_sel:[0,1,0]
	ds_load_2addr_b64 v[91:94], v107 offset0:64 offset1:96
	v_pk_fma_f16 v103, v97, v100, v103 op_sel_hi:[1,0,1]
	v_pk_fma_f16 v104, v97, v100, v95 op_sel:[0,1,0]
	v_pk_fma_f16 v100, v98, v100, v96 op_sel_hi:[1,0,1]
	ds_load_2addr_b64 v[95:98], v107 offset0:128 offset1:160
	s_waitcnt lgkmcnt(4)
	v_pk_fma_f16 v99, v65, v101, v99 op_sel:[0,1,0]
	v_pk_fma_f16 v108, v64, v101, v103 op_sel_hi:[1,0,1]
	v_pk_fma_f16 v64, v64, v101, v104 op_sel:[0,1,0]
	ds_load_b128 v[103:106], v52 offset:368
	v_pk_fma_f16 v65, v65, v101, v100 op_sel_hi:[1,0,1]
	v_pk_fma_f16 v99, v67, v102, v99 op_sel:[0,1,0]
	v_pk_fma_f16 v100, v66, v102, v108 op_sel_hi:[1,0,1]
	v_pk_fma_f16 v64, v66, v102, v64 op_sel:[0,1,0]
	v_add_nc_u32_e32 v108, 0x6000, v60
	v_pk_fma_f16 v65, v67, v102, v65 op_sel_hi:[1,0,1]
	s_waitcnt lgkmcnt(3)
	v_pk_fma_f16 v66, v84, v87, v99 op_sel:[0,1,0]
	v_pk_fma_f16 v67, v83, v87, v100 op_sel_hi:[1,0,1]
	v_pk_fma_f16 v64, v83, v87, v64 op_sel:[0,1,0]
	v_pk_fma_f16 v65, v84, v87, v65 op_sel_hi:[1,0,1]
	s_delay_alu instid0(VALU_DEP_4) | instskip(NEXT) | instid1(VALU_DEP_4)
	v_pk_fma_f16 v66, v86, v88, v66 op_sel:[0,1,0]
	v_pk_fma_f16 v83, v85, v88, v67 op_sel_hi:[1,0,1]
	s_delay_alu instid0(VALU_DEP_4) | instskip(NEXT) | instid1(VALU_DEP_4)
	v_pk_fma_f16 v84, v85, v88, v64 op_sel:[0,1,0]
	v_pk_fma_f16 v85, v86, v88, v65 op_sel_hi:[1,0,1]
	s_waitcnt lgkmcnt(2)
	v_pk_fma_f16 v86, v92, v89, v66 op_sel:[0,1,0]
	ds_load_2addr_b64 v[64:67], v107 offset0:192 offset1:224
	v_pk_fma_f16 v87, v91, v89, v83 op_sel_hi:[1,0,1]
	v_pk_fma_f16 v88, v91, v89, v84 op_sel:[0,1,0]
	v_pk_fma_f16 v89, v92, v89, v85 op_sel_hi:[1,0,1]
	v_pk_fma_f16 v91, v94, v90, v86 op_sel:[0,1,0]
	ds_load_2addr_b64 v[83:86], v108 offset1:32
	v_pk_fma_f16 v92, v93, v90, v87 op_sel_hi:[1,0,1]
	v_pk_fma_f16 v93, v93, v90, v88 op_sel:[0,1,0]
	v_pk_fma_f16 v94, v94, v90, v89 op_sel_hi:[1,0,1]
	s_waitcnt lgkmcnt(2)
	v_pk_fma_f16 v91, v96, v103, v91 op_sel:[0,1,0]
	ds_load_b128 v[87:90], v52 offset:384
	v_pk_fma_f16 v99, v95, v103, v92 op_sel_hi:[1,0,1]
	v_pk_fma_f16 v95, v95, v103, v93 op_sel:[0,1,0]
	v_pk_fma_f16 v96, v96, v103, v94 op_sel_hi:[1,0,1]
	v_pk_fma_f16 v100, v98, v104, v91 op_sel:[0,1,0]
	ds_load_2addr_b64 v[91:94], v108 offset0:64 offset1:96
	v_pk_fma_f16 v99, v97, v104, v99 op_sel_hi:[1,0,1]
	v_pk_fma_f16 v101, v97, v104, v95 op_sel:[0,1,0]
	v_pk_fma_f16 v102, v98, v104, v96 op_sel_hi:[1,0,1]
	ds_load_2addr_b64 v[95:98], v108 offset0:128 offset1:160
	s_waitcnt lgkmcnt(4)
	v_pk_fma_f16 v100, v65, v105, v100 op_sel:[0,1,0]
	v_pk_fma_f16 v103, v64, v105, v99 op_sel_hi:[1,0,1]
	v_pk_fma_f16 v64, v64, v105, v101 op_sel:[0,1,0]
	v_pk_fma_f16 v65, v65, v105, v102 op_sel_hi:[1,0,1]
	v_add_nc_u32_e32 v107, 0x6800, v60
	v_pk_fma_f16 v104, v67, v106, v100 op_sel:[0,1,0]
	ds_load_b128 v[99:102], v52 offset:400
	v_pk_fma_f16 v103, v66, v106, v103 op_sel_hi:[1,0,1]
	v_pk_fma_f16 v64, v66, v106, v64 op_sel:[0,1,0]
	v_pk_fma_f16 v65, v67, v106, v65 op_sel_hi:[1,0,1]
	s_waitcnt lgkmcnt(3)
	v_pk_fma_f16 v66, v84, v87, v104 op_sel:[0,1,0]
	v_pk_fma_f16 v67, v83, v87, v103 op_sel_hi:[1,0,1]
	v_pk_fma_f16 v64, v83, v87, v64 op_sel:[0,1,0]
	v_pk_fma_f16 v65, v84, v87, v65 op_sel_hi:[1,0,1]
	s_delay_alu instid0(VALU_DEP_4) | instskip(NEXT) | instid1(VALU_DEP_4)
	v_pk_fma_f16 v66, v86, v88, v66 op_sel:[0,1,0]
	v_pk_fma_f16 v83, v85, v88, v67 op_sel_hi:[1,0,1]
	s_delay_alu instid0(VALU_DEP_4) | instskip(NEXT) | instid1(VALU_DEP_4)
	v_pk_fma_f16 v84, v85, v88, v64 op_sel:[0,1,0]
	v_pk_fma_f16 v85, v86, v88, v65 op_sel_hi:[1,0,1]
	s_waitcnt lgkmcnt(2)
	v_pk_fma_f16 v86, v92, v89, v66 op_sel:[0,1,0]
	ds_load_2addr_b64 v[64:67], v108 offset0:192 offset1:224
	v_pk_fma_f16 v87, v91, v89, v83 op_sel_hi:[1,0,1]
	v_pk_fma_f16 v88, v91, v89, v84 op_sel:[0,1,0]
	v_pk_fma_f16 v89, v92, v89, v85 op_sel_hi:[1,0,1]
	v_pk_fma_f16 v91, v94, v90, v86 op_sel:[0,1,0]
	ds_load_2addr_b64 v[83:86], v107 offset1:32
	v_pk_fma_f16 v92, v93, v90, v87 op_sel_hi:[1,0,1]
	v_pk_fma_f16 v93, v93, v90, v88 op_sel:[0,1,0]
	v_pk_fma_f16 v94, v94, v90, v89 op_sel_hi:[1,0,1]
	s_waitcnt lgkmcnt(2)
	v_pk_fma_f16 v91, v96, v99, v91 op_sel:[0,1,0]
	ds_load_b128 v[87:90], v52 offset:416
	v_pk_fma_f16 v79, v95, v99, v92 op_sel_hi:[1,0,1]
	v_pk_fma_f16 v95, v95, v99, v93 op_sel:[0,1,0]
	v_pk_fma_f16 v96, v96, v99, v94 op_sel_hi:[1,0,1]
	v_pk_fma_f16 v99, v98, v100, v91 op_sel:[0,1,0]
	ds_load_2addr_b64 v[91:94], v107 offset0:64 offset1:96
	v_pk_fma_f16 v79, v97, v100, v79 op_sel_hi:[1,0,1]
	v_pk_fma_f16 v103, v97, v100, v95 op_sel:[0,1,0]
	v_pk_fma_f16 v100, v98, v100, v96 op_sel_hi:[1,0,1]
	ds_load_2addr_b64 v[95:98], v107 offset0:128 offset1:160
	s_waitcnt lgkmcnt(4)
	v_pk_fma_f16 v99, v65, v101, v99 op_sel:[0,1,0]
	v_pk_fma_f16 v79, v64, v101, v79 op_sel_hi:[1,0,1]
	v_pk_fma_f16 v64, v64, v101, v103 op_sel:[0,1,0]
	ds_load_b128 v[103:106], v52 offset:432
	v_pk_fma_f16 v65, v65, v101, v100 op_sel_hi:[1,0,1]
	v_pk_fma_f16 v99, v67, v102, v99 op_sel:[0,1,0]
	v_pk_fma_f16 v79, v66, v102, v79 op_sel_hi:[1,0,1]
	v_pk_fma_f16 v64, v66, v102, v64 op_sel:[0,1,0]
	s_delay_alu instid0(VALU_DEP_4)
	v_pk_fma_f16 v65, v67, v102, v65 op_sel_hi:[1,0,1]
	s_waitcnt lgkmcnt(3)
	v_pk_fma_f16 v66, v84, v87, v99 op_sel:[0,1,0]
	v_add_f32_e32 v67, v72, v73
	v_pk_fma_f16 v72, v83, v87, v79 op_sel_hi:[1,0,1]
	v_pk_fma_f16 v64, v83, v87, v64 op_sel:[0,1,0]
	v_pk_fma_f16 v65, v84, v87, v65 op_sel_hi:[1,0,1]
	v_pk_fma_f16 v66, v86, v88, v66 op_sel:[0,1,0]
	v_add_f32_e32 v71, v71, v67
	v_pk_fma_f16 v72, v85, v88, v72 op_sel_hi:[1,0,1]
	v_pk_fma_f16 v73, v85, v88, v64 op_sel:[0,1,0]
	v_pk_fma_f16 v79, v86, v88, v65 op_sel_hi:[1,0,1]
	s_waitcnt lgkmcnt(2)
	v_pk_fma_f16 v83, v92, v89, v66 op_sel:[0,1,0]
	ds_load_2addr_b64 v[64:67], v107 offset0:192 offset1:224
	v_pk_fma_f16 v72, v91, v89, v72 op_sel_hi:[1,0,1]
	v_pk_fma_f16 v73, v91, v89, v73 op_sel:[0,1,0]
	v_pk_fma_f16 v79, v92, v89, v79 op_sel_hi:[1,0,1]
	v_pk_fma_f16 v87, v94, v90, v83 op_sel:[0,1,0]
	ds_load_2addr_b64 v[83:86], v109 offset1:32
	v_pk_fma_f16 v72, v93, v90, v72 op_sel_hi:[1,0,1]
	v_pk_fma_f16 v73, v93, v90, v73 op_sel:[0,1,0]
	v_pk_fma_f16 v79, v94, v90, v79 op_sel_hi:[1,0,1]
	s_waitcnt lgkmcnt(2)
	v_pk_fma_f16 v91, v96, v103, v87 op_sel:[0,1,0]
	ds_load_b128 v[87:90], v52 offset:448
	ds_load_b128 v[99:102], v52 offset:464
	v_fmac_f32_e32 v71, v63, v82
	v_pk_fma_f16 v63, v95, v103, v72 op_sel_hi:[1,0,1]
	v_pk_fma_f16 v72, v95, v103, v73 op_sel:[0,1,0]
	v_pk_fma_f16 v73, v96, v103, v79 op_sel_hi:[1,0,1]
	v_pk_fma_f16 v79, v98, v104, v91 op_sel:[0,1,0]
	ds_load_2addr_b64 v[91:94], v109 offset0:64 offset1:96
	v_pk_fma_f16 v63, v97, v104, v63 op_sel_hi:[1,0,1]
	v_pk_fma_f16 v72, v97, v104, v72 op_sel:[0,1,0]
	v_pk_fma_f16 v73, v98, v104, v73 op_sel_hi:[1,0,1]
	s_waitcnt lgkmcnt(4)
	v_pk_fma_f16 v79, v65, v105, v79 op_sel:[0,1,0]
	ds_load_2addr_b64 v[95:98], v109 offset0:128 offset1:160
	v_pk_fma_f16 v63, v64, v105, v63 op_sel_hi:[1,0,1]
	v_pk_fma_f16 v64, v64, v105, v72 op_sel:[0,1,0]
	v_pk_fma_f16 v65, v65, v105, v73 op_sel_hi:[1,0,1]
	v_pk_fma_f16 v72, v67, v106, v79 op_sel:[0,1,0]
	s_delay_alu instid0(VALU_DEP_4) | instskip(NEXT) | instid1(VALU_DEP_4)
	v_pk_fma_f16 v63, v66, v106, v63 op_sel_hi:[1,0,1]
	v_pk_fma_f16 v64, v66, v106, v64 op_sel:[0,1,0]
	s_delay_alu instid0(VALU_DEP_4)
	v_pk_fma_f16 v65, v67, v106, v65 op_sel_hi:[1,0,1]
	s_waitcnt lgkmcnt(3)
	v_pk_fma_f16 v66, v84, v87, v72 op_sel:[0,1,0]
	v_add_f32_e32 v67, v80, v81
	v_pk_fma_f16 v72, v83, v87, v63 op_sel_hi:[1,0,1]
	v_pk_fma_f16 v73, v83, v87, v64 op_sel:[0,1,0]
	v_pk_fma_f16 v79, v84, v87, v65 op_sel_hi:[1,0,1]
	v_pk_fma_f16 v80, v86, v88, v66 op_sel:[0,1,0]
	ds_load_2addr_b64 v[63:66], v109 offset0:192 offset1:224
	v_pk_fma_f16 v72, v85, v88, v72 op_sel_hi:[1,0,1]
	v_pk_fma_f16 v73, v85, v88, v73 op_sel:[0,1,0]
	v_pk_fma_f16 v83, v86, v88, v79 op_sel_hi:[1,0,1]
	s_waitcnt lgkmcnt(2)
	v_pk_fma_f16 v84, v92, v89, v80 op_sel:[0,1,0]
	ds_load_2addr_b64 v[79:82], v110 offset1:32
	v_pk_fma_f16 v72, v91, v89, v72 op_sel_hi:[1,0,1]
	v_pk_fma_f16 v73, v91, v89, v73 op_sel:[0,1,0]
	v_pk_fma_f16 v87, v92, v89, v83 op_sel_hi:[1,0,1]
	v_pk_fma_f16 v88, v94, v90, v84 op_sel:[0,1,0]
	ds_load_2addr_b64 v[83:86], v110 offset0:64 offset1:96
	v_pk_fma_f16 v72, v93, v90, v72 op_sel_hi:[1,0,1]
	v_pk_fma_f16 v73, v93, v90, v73 op_sel:[0,1,0]
	v_pk_fma_f16 v91, v94, v90, v87 op_sel_hi:[1,0,1]
	s_waitcnt lgkmcnt(3)
	v_pk_fma_f16 v103, v96, v99, v88 op_sel:[0,1,0]
	ds_load_b128 v[87:90], v52 offset:480
	v_pk_fma_f16 v72, v95, v99, v72 op_sel_hi:[1,0,1]
	v_pk_fma_f16 v73, v95, v99, v73 op_sel:[0,1,0]
	v_pk_fma_f16 v95, v96, v99, v91 op_sel_hi:[1,0,1]
	v_pk_fma_f16 v99, v98, v100, v103 op_sel:[0,1,0]
	ds_load_2addr_b64 v[91:94], v110 offset0:128 offset1:160
	v_pk_fma_f16 v72, v97, v100, v72 op_sel_hi:[1,0,1]
	v_pk_fma_f16 v73, v97, v100, v73 op_sel:[0,1,0]
	v_pk_fma_f16 v100, v98, v100, v95 op_sel_hi:[1,0,1]
	ds_load_b128 v[95:98], v52 offset:496
	s_waitcnt lgkmcnt(5)
	v_pk_fma_f16 v99, v64, v101, v99 op_sel:[0,1,0]
	v_pk_fma_f16 v72, v63, v101, v72 op_sel_hi:[1,0,1]
	v_pk_fma_f16 v63, v63, v101, v73 op_sel:[0,1,0]
	v_pk_fma_f16 v64, v64, v101, v100 op_sel_hi:[1,0,1]
	ds_load_2addr_b64 v[103:106], v110 offset0:192 offset1:224
	v_pk_fma_f16 v73, v66, v102, v99 op_sel:[0,1,0]
	v_pk_fma_f16 v72, v65, v102, v72 op_sel_hi:[1,0,1]
	v_pk_fma_f16 v63, v65, v102, v63 op_sel:[0,1,0]
	v_pk_fma_f16 v64, v66, v102, v64 op_sel_hi:[1,0,1]
	s_waitcnt lgkmcnt(0)
	v_pk_fma_f16 v65, v80, v87, v73 op_sel:[0,1,0]
	v_pk_fma_f16 v66, v79, v87, v72 op_sel_hi:[1,0,1]
	v_pk_fma_f16 v63, v79, v87, v63 op_sel:[0,1,0]
	v_pk_fma_f16 v64, v80, v87, v64 op_sel_hi:[1,0,1]
	s_barrier
	v_pk_fma_f16 v65, v82, v88, v65 op_sel:[0,1,0]
	v_pk_fma_f16 v66, v81, v88, v66 op_sel_hi:[1,0,1]
	v_pk_fma_f16 v63, v81, v88, v63 op_sel:[0,1,0]
	v_pk_fma_f16 v64, v82, v88, v64 op_sel_hi:[1,0,1]
	buffer_gl0_inv
	v_pk_fma_f16 v65, v84, v89, v65 op_sel:[0,1,0]
	v_pk_fma_f16 v66, v83, v89, v66 op_sel_hi:[1,0,1]
	v_pk_fma_f16 v63, v83, v89, v63 op_sel:[0,1,0]
	v_pk_fma_f16 v64, v84, v89, v64 op_sel_hi:[1,0,1]
	s_load_b32 s19, s[4:5], 0x4
	v_pk_fma_f16 v65, v86, v90, v65 op_sel:[0,1,0]
	v_pk_fma_f16 v66, v85, v90, v66 op_sel_hi:[1,0,1]
	v_pk_fma_f16 v63, v85, v90, v63 op_sel:[0,1,0]
	v_pk_fma_f16 v64, v86, v90, v64 op_sel_hi:[1,0,1]
	v_add_f32_e32 v67, v69, v67
	v_pk_fma_f16 v65, v92, v95, v65 op_sel:[0,1,0]
	v_pk_fma_f16 v66, v91, v95, v66 op_sel_hi:[1,0,1]
	v_pk_fma_f16 v63, v91, v95, v63 op_sel:[0,1,0]
	v_pk_fma_f16 v64, v92, v95, v64 op_sel_hi:[1,0,1]
	v_add_f32_e32 v72, v68, v67
	v_pk_fma_f16 v65, v94, v96, v65 op_sel:[0,1,0]
	v_pk_fma_f16 v66, v93, v96, v66 op_sel_hi:[1,0,1]
	v_pk_fma_f16 v63, v93, v96, v63 op_sel:[0,1,0]
	v_pk_fma_f16 v64, v94, v96, v64 op_sel_hi:[1,0,1]
	v_fmac_f32_e32 v72, v62, v70
	v_pk_fma_f16 v62, v104, v97, v65 op_sel:[0,1,0]
	v_pk_fma_f16 v65, v103, v97, v66 op_sel_hi:[1,0,1]
	v_pk_fma_f16 v63, v103, v97, v63 op_sel:[0,1,0]
	v_pk_fma_f16 v67, v104, v97, v64 op_sel_hi:[1,0,1]
	s_waitcnt lgkmcnt(0)
	s_lshl_b32 s19, s19, 7
	v_pk_fma_f16 v64, v106, v98, v62 op_sel:[0,1,0]
	v_pk_fma_f16 v66, v105, v98, v65 op_sel_hi:[1,0,1]
	v_pk_fma_f16 v65, v105, v98, v63 op_sel:[0,1,0]
	v_pk_fma_f16 v67, v106, v98, v67 op_sel_hi:[1,0,1]
	s_add_i32 s3, s19, s3
	s_delay_alu instid0(SALU_CYCLE_1)
	s_cmp_ge_i32 s3, s2
	s_cbranch_scc1 .LBB77_43
; %bb.42:                               ;   in Loop: Header=BB77_9 Depth=1
	v_dual_mov_b32 v69, v35 :: v_dual_mov_b32 v68, v36
	v_dual_mov_b32 v63, v71 :: v_dual_mov_b32 v62, v72
	s_branch .LBB77_9
.LBB77_43:
	v_mov_b32_e32 v5, v39
.LBB77_44:
	v_cmp_lt_i32_e32 vcc_lo, v78, v40
	s_cmp_lg_u64 s[24:25], 0
	s_cselect_b32 s2, -1, 0
	s_cmp_eq_u32 s14, 0
	v_cndmask_b32_e32 v2, v5, v78, vcc_lo
	v_cmp_lt_i32_e32 vcc_lo, v74, v40
	s_cselect_b32 s3, -1, 0
	s_delay_alu instid0(SALU_CYCLE_1)
	s_and_b32 s2, s3, s2
	v_cndmask_b32_e32 v4, v5, v74, vcc_lo
	v_cmp_lt_i32_e32 vcc_lo, v75, v40
	v_dual_cndmask_b32 v7, v5, v75 :: v_dual_lshlrev_b32 v2, 2, v2
	ds_bpermute_b32 v3, v2, v71
	ds_bpermute_b32 v2, v2, v72
	v_cmp_lt_i32_e32 vcc_lo, v76, v40
	v_lshlrev_b32_e32 v7, 2, v7
	s_waitcnt lgkmcnt(1)
	v_dual_add_f32 v3, v71, v3 :: v_dual_lshlrev_b32 v4, 2, v4
	s_waitcnt lgkmcnt(0)
	v_add_f32_e32 v2, v72, v2
	ds_bpermute_b32 v6, v4, v3
	s_waitcnt lgkmcnt(0)
	v_add_f32_e32 v3, v3, v6
	ds_bpermute_b32 v4, v4, v2
	;; [unrolled: 3-line block ×3, first 2 shown]
	ds_bpermute_b32 v6, v7, v2
	v_cndmask_b32_e32 v7, v5, v76, vcc_lo
	v_cmp_lt_i32_e32 vcc_lo, v77, v40
	s_delay_alu instid0(VALU_DEP_2)
	v_lshlrev_b32_e32 v7, 2, v7
	s_waitcnt lgkmcnt(0)
	v_dual_add_f32 v3, v3, v4 :: v_dual_add_f32 v2, v2, v6
	ds_bpermute_b32 v4, v7, v3
	ds_bpermute_b32 v6, v7, v2
	v_cndmask_b32_e32 v5, v5, v77, vcc_lo
	s_and_b32 vcc_lo, exec_lo, s2
	s_waitcnt lgkmcnt(0)
	v_dual_add_f32 v3, v3, v4 :: v_dual_add_f32 v4, v2, v6
	s_delay_alu instid0(VALU_DEP_2)
	v_lshlrev_b32_e32 v5, 2, v5
	ds_bpermute_b32 v2, v5, v3
	s_waitcnt lgkmcnt(0)
	v_add_f32_e32 v2, v3, v2
	ds_bpermute_b32 v5, v5, v4
	s_waitcnt lgkmcnt(0)
	v_add_f32_e32 v3, v4, v5
	s_cbranch_vccz .LBB77_47
; %bb.45:
	v_add_nc_u32_e32 v4, s15, v37
	s_delay_alu instid0(VALU_DEP_1) | instskip(NEXT) | instid1(VALU_DEP_1)
	v_ashrrev_i32_e32 v5, 31, v4
	v_lshlrev_b64 v[4:5], 2, v[4:5]
	s_delay_alu instid0(VALU_DEP_1) | instskip(NEXT) | instid1(VALU_DEP_2)
	v_add_co_u32 v4, vcc_lo, s24, v4
	v_add_co_ci_u32_e32 v5, vcc_lo, s25, v5, vcc_lo
	global_load_b64 v[4:5], v[4:5], off
	v_max_f32_e32 v6, v35, v35
	s_waitcnt vmcnt(0)
	v_dual_max_f32 v8, v36, v36 :: v_dual_max_f32 v9, v5, v5
	v_max_f32_e32 v7, v4, v4
	s_delay_alu instid0(VALU_DEP_1) | instskip(NEXT) | instid1(VALU_DEP_1)
	v_dual_max_f32 v6, v6, v7 :: v_dual_max_f32 v7, v8, v9
	v_dual_sub_f32 v8, v35, v6 :: v_dual_sub_f32 v5, v5, v7
	v_sub_f32_e32 v4, v4, v6
	v_dual_sub_f32 v9, v36, v7 :: v_dual_mov_b32 v36, v7
	s_delay_alu instid0(VALU_DEP_3) | instskip(NEXT) | instid1(VALU_DEP_4)
	v_cmp_ngt_f32_e32 vcc_lo, 0xc2ce8ed0, v8
	v_mul_f32_e32 v13, 0x3fb8aa3b, v5
	s_delay_alu instid0(VALU_DEP_3) | instskip(SKIP_1) | instid1(VALU_DEP_3)
	v_dual_mul_f32 v11, 0x3fb8aa3b, v4 :: v_dual_mul_f32 v12, 0x3fb8aa3b, v9
	v_mov_b32_e32 v35, v6
	v_fma_f32 v20, 0x3fb8aa3b, v5, -v13
	s_delay_alu instid0(VALU_DEP_3)
	v_rndne_f32_e32 v17, v11
	v_mul_f32_e32 v10, 0x3fb8aa3b, v8
	v_fma_f32 v16, 0x3fb8aa3b, v4, -v11
	v_rndne_f32_e32 v21, v13
	v_fma_f32 v18, 0x3fb8aa3b, v9, -v12
	v_sub_f32_e32 v11, v11, v17
	v_fma_f32 v14, 0x3fb8aa3b, v8, -v10
	v_fmac_f32_e32 v20, 0x32a5705f, v5
	v_sub_f32_e32 v13, v13, v21
	v_rndne_f32_e32 v15, v10
	v_fmac_f32_e32 v18, 0x32a5705f, v9
	v_fmac_f32_e32 v14, 0x32a5705f, v8
	;; [unrolled: 1-line block ×3, first 2 shown]
	s_delay_alu instid0(VALU_DEP_4) | instskip(SKIP_1) | instid1(VALU_DEP_3)
	v_dual_add_f32 v13, v13, v20 :: v_dual_sub_f32 v10, v10, v15
	v_rndne_f32_e32 v19, v12
	v_add_f32_e32 v11, v11, v16
	s_delay_alu instid0(VALU_DEP_3) | instskip(NEXT) | instid1(VALU_DEP_3)
	v_exp_f32_e32 v13, v13
	v_add_f32_e32 v10, v10, v14
	v_cvt_i32_f32_e32 v14, v15
	v_cvt_i32_f32_e32 v15, v17
	;; [unrolled: 1-line block ×3, first 2 shown]
	v_exp_f32_e32 v11, v11
	v_exp_f32_e32 v10, v10
	v_cvt_i32_f32_e32 v16, v19
	s_delay_alu instid0(TRANS32_DEP_3) | instid1(VALU_DEP_2)
	v_ldexp_f32 v13, v13, v17
	v_sub_f32_e32 v12, v12, v19
	s_waitcnt_depctr 0xfff
	v_ldexp_f32 v11, v11, v15
	v_add_f32_e32 v12, v12, v18
	v_ldexp_f32 v10, v10, v14
	s_delay_alu instid0(VALU_DEP_2) | instskip(NEXT) | instid1(VALU_DEP_1)
	v_exp_f32_e32 v12, v12
	v_cndmask_b32_e32 v10, 0, v10, vcc_lo
	v_cmp_ngt_f32_e32 vcc_lo, 0xc2ce8ed0, v4
	v_cndmask_b32_e32 v11, 0, v11, vcc_lo
	v_cmp_ngt_f32_e32 vcc_lo, 0xc2ce8ed0, v9
	s_waitcnt_depctr 0xfff
	v_ldexp_f32 v12, v12, v16
	s_delay_alu instid0(VALU_DEP_1)
	v_cndmask_b32_e32 v12, 0, v12, vcc_lo
	v_cmp_ngt_f32_e32 vcc_lo, 0xc2ce8ed0, v5
	v_cndmask_b32_e32 v13, 0, v13, vcc_lo
	v_cmp_nlt_f32_e32 vcc_lo, 0x42b17218, v8
	v_cndmask_b32_e32 v8, 0x7f800000, v10, vcc_lo
	v_cmp_nlt_f32_e32 vcc_lo, 0x42b17218, v4
	s_delay_alu instid0(VALU_DEP_2) | instskip(SKIP_2) | instid1(VALU_DEP_3)
	v_cvt_f16_f32_e32 v10, v8
	v_cndmask_b32_e32 v4, 0x7f800000, v11, vcc_lo
	v_cmp_nlt_f32_e32 vcc_lo, 0x42b17218, v9
	v_pk_mul_f16 v66, v10, v66 op_sel_hi:[0,1]
	s_delay_alu instid0(VALU_DEP_3) | instskip(SKIP_3) | instid1(VALU_DEP_4)
	v_fmac_f32_e32 v4, v2, v8
	v_cndmask_b32_e32 v9, 0x7f800000, v12, vcc_lo
	v_cmp_nlt_f32_e32 vcc_lo, 0x42b17218, v5
	v_pk_mul_f16 v67, v10, v67 op_sel_hi:[0,1]
	v_mov_b32_e32 v2, v4
	s_delay_alu instid0(VALU_DEP_4) | instskip(SKIP_1) | instid1(VALU_DEP_2)
	v_cvt_f16_f32_e32 v6, v9
	v_cndmask_b32_e32 v5, 0x7f800000, v13, vcc_lo
	v_pk_mul_f16 v65, v6, v65 op_sel_hi:[0,1]
	s_delay_alu instid0(VALU_DEP_2) | instskip(SKIP_1) | instid1(VALU_DEP_2)
	v_fmac_f32_e32 v5, v3, v9
	v_pk_mul_f16 v64, v6, v64 op_sel_hi:[0,1]
	v_mov_b32_e32 v3, v5
	s_mov_b32 s2, exec_lo
	v_cmpx_gt_i32_e64 s6, v1
	s_cbranch_execnz .LBB77_48
.LBB77_46:
	s_nop 0
	s_sendmsg sendmsg(MSG_DEALLOC_VGPRS)
	s_endpgm
.LBB77_47:
	s_delay_alu instid0(VALU_DEP_1)
	v_dual_mov_b32 v5, v3 :: v_dual_mov_b32 v4, v2
	s_mov_b32 s2, exec_lo
	v_cmpx_gt_i32_e64 s6, v1
	s_cbranch_execz .LBB77_46
.LBB77_48:
	s_load_b32 s1, s[0:1], 0xd4
	v_mov_b32_e32 v6, 1.0
	s_waitcnt lgkmcnt(0)
	s_cmp_lg_u32 s1, 1
	s_cselect_b32 s3, -1, 0
	s_cmp_eq_u32 s1, 1
	s_cselect_b32 s2, -1, 0
	s_and_b32 vcc_lo, exec_lo, s3
	s_cbranch_vccnz .LBB77_50
; %bb.49:
	v_div_scale_f32 v6, null, v2, v2, 1.0
	s_delay_alu instid0(VALU_DEP_1) | instskip(SKIP_2) | instid1(VALU_DEP_1)
	v_rcp_f32_e32 v7, v6
	s_waitcnt_depctr 0xfff
	v_fma_f32 v8, -v6, v7, 1.0
	v_fmac_f32_e32 v7, v8, v7
	v_div_scale_f32 v8, vcc_lo, 1.0, v2, 1.0
	s_delay_alu instid0(VALU_DEP_1) | instskip(NEXT) | instid1(VALU_DEP_1)
	v_mul_f32_e32 v9, v8, v7
	v_fma_f32 v10, -v6, v9, v8
	s_delay_alu instid0(VALU_DEP_1) | instskip(NEXT) | instid1(VALU_DEP_1)
	v_fmac_f32_e32 v9, v10, v7
	v_fma_f32 v6, -v6, v9, v8
	s_delay_alu instid0(VALU_DEP_1) | instskip(NEXT) | instid1(VALU_DEP_1)
	v_div_fmas_f32 v6, v6, v7, v9
	v_div_fixup_f32 v6, v6, v2, 1.0
.LBB77_50:
	v_mad_u64_u32 v[7:8], null, s12, s6, v[1:2]
	v_cvt_f32_f16_e32 v9, v66
	v_mov_b32_e32 v8, 0
	v_cmp_eq_u32_e32 vcc_lo, 0, v0
	v_lshrrev_b32_e32 v0, 16, v66
	v_cvt_f32_f16_e32 v10, v67
	v_mul_lo_u32 v1, v7, s7
	s_delay_alu instid0(VALU_DEP_3) | instskip(NEXT) | instid1(VALU_DEP_2)
	v_cvt_f32_f16_e32 v0, v0
	v_add3_u32 v7, s15, v37, v1
	s_delay_alu instid0(VALU_DEP_1) | instskip(SKIP_1) | instid1(VALU_DEP_1)
	v_mad_u64_u32 v[1:2], null, s1, v7, s[14:15]
	v_lshrrev_b32_e32 v2, 16, v67
	v_cvt_f32_f16_e32 v2, v2
	s_delay_alu instid0(VALU_DEP_3) | instskip(NEXT) | instid1(VALU_DEP_1)
	v_lshl_add_u32 v7, v1, 7, v38
	v_lshlrev_b64 v[11:12], 2, v[7:8]
	v_mul_f32_e32 v7, v6, v9
	v_mul_f32_e32 v9, v6, v10
	;; [unrolled: 1-line block ×4, first 2 shown]
	v_add_co_u32 v11, s0, s28, v11
	s_delay_alu instid0(VALU_DEP_1)
	v_add_co_ci_u32_e64 v12, s0, s29, v12, s0
	s_and_b32 s0, vcc_lo, s3
	global_store_b128 v[11:12], v[7:10], off
	s_and_saveexec_b32 s3, s0
	s_cbranch_execz .LBB77_52
; %bb.51:
	v_ashrrev_i32_e32 v2, 31, v1
	v_dual_mov_b32 v8, v35 :: v_dual_mov_b32 v9, v4
	s_delay_alu instid0(VALU_DEP_2) | instskip(NEXT) | instid1(VALU_DEP_1)
	v_lshlrev_b64 v[6:7], 3, v[1:2]
	v_add_co_u32 v6, vcc_lo, s30, v6
	s_delay_alu instid0(VALU_DEP_2)
	v_add_co_ci_u32_e32 v7, vcc_lo, s31, v7, vcc_lo
	global_store_b64 v[6:7], v[8:9], off
.LBB77_52:
	s_or_b32 exec_lo, exec_lo, s3
	v_mov_b32_e32 v2, 1.0
	s_and_not1_b32 vcc_lo, exec_lo, s2
	s_cbranch_vccnz .LBB77_54
; %bb.53:
	v_div_scale_f32 v0, null, v3, v3, 1.0
	s_delay_alu instid0(VALU_DEP_1) | instskip(SKIP_2) | instid1(VALU_DEP_1)
	v_rcp_f32_e32 v2, v0
	s_waitcnt_depctr 0xfff
	v_fma_f32 v4, -v0, v2, 1.0
	v_fmac_f32_e32 v2, v4, v2
	v_div_scale_f32 v4, vcc_lo, 1.0, v3, 1.0
	s_delay_alu instid0(VALU_DEP_1) | instskip(NEXT) | instid1(VALU_DEP_1)
	v_mul_f32_e32 v6, v4, v2
	v_fma_f32 v7, -v0, v6, v4
	s_delay_alu instid0(VALU_DEP_1) | instskip(NEXT) | instid1(VALU_DEP_1)
	v_fmac_f32_e32 v6, v7, v2
	v_fma_f32 v0, -v0, v6, v4
	s_delay_alu instid0(VALU_DEP_1) | instskip(NEXT) | instid1(VALU_DEP_1)
	v_div_fmas_f32 v0, v0, v2, v6
	v_div_fixup_f32 v2, v0, v3, 1.0
.LBB77_54:
	v_add_nc_u32_e32 v0, s1, v1
	v_lshrrev_b32_e32 v1, 16, v65
	v_lshrrev_b32_e32 v6, 16, v64
	v_cvt_f32_f16_e32 v7, v65
	v_cvt_f32_f16_e32 v8, v64
	v_lshl_add_u32 v3, v0, 7, v38
	v_cvt_f32_f16_e32 v1, v1
	v_mov_b32_e32 v4, 0
	v_cvt_f32_f16_e32 v9, v6
	v_mul_f32_e32 v6, v2, v7
	v_mul_f32_e32 v8, v2, v8
	;; [unrolled: 1-line block ×3, first 2 shown]
	v_lshlrev_b64 v[3:4], 2, v[3:4]
	v_mul_f32_e32 v9, v2, v9
	s_delay_alu instid0(VALU_DEP_2) | instskip(NEXT) | instid1(VALU_DEP_3)
	v_add_co_u32 v1, vcc_lo, s28, v3
	v_add_co_ci_u32_e32 v2, vcc_lo, s29, v4, vcc_lo
	global_store_b128 v[1:2], v[6:9], off
	s_and_b32 exec_lo, exec_lo, s0
	s_cbranch_execz .LBB77_46
; %bb.55:
	v_ashrrev_i32_e32 v1, 31, v0
	v_mov_b32_e32 v4, v36
	s_delay_alu instid0(VALU_DEP_2) | instskip(NEXT) | instid1(VALU_DEP_1)
	v_lshlrev_b64 v[0:1], 3, v[0:1]
	v_add_co_u32 v0, vcc_lo, s30, v0
	s_delay_alu instid0(VALU_DEP_2)
	v_add_co_ci_u32_e32 v1, vcc_lo, s31, v1, vcc_lo
	global_store_b64 v[0:1], v[4:5], off
	s_nop 0
	s_sendmsg sendmsg(MSG_DEALLOC_VGPRS)
	s_endpgm
	.section	.rodata,"a",@progbits
	.p2align	6, 0x0
	.amdhsa_kernel _ZL15flash_attn_tileILi128ELi128ELi4ELi4ELb1EEvPKcS1_S1_S1_S1_PKiPfP15HIP_vector_typeIfLj2EEffffjfiS5_IjLj3EEiiiiiiiiiiiliiliiiiil
		.amdhsa_group_segment_fixed_size 43008
		.amdhsa_private_segment_fixed_size 0
		.amdhsa_kernarg_size 464
		.amdhsa_user_sgpr_count 13
		.amdhsa_user_sgpr_dispatch_ptr 0
		.amdhsa_user_sgpr_queue_ptr 0
		.amdhsa_user_sgpr_kernarg_segment_ptr 1
		.amdhsa_user_sgpr_dispatch_id 0
		.amdhsa_user_sgpr_private_segment_size 0
		.amdhsa_wavefront_size32 1
		.amdhsa_uses_dynamic_stack 0
		.amdhsa_enable_private_segment 0
		.amdhsa_system_sgpr_workgroup_id_x 1
		.amdhsa_system_sgpr_workgroup_id_y 1
		.amdhsa_system_sgpr_workgroup_id_z 1
		.amdhsa_system_sgpr_workgroup_info 0
		.amdhsa_system_vgpr_workitem_id 1
		.amdhsa_next_free_vgpr 137
		.amdhsa_next_free_sgpr 40
		.amdhsa_reserve_vcc 1
		.amdhsa_float_round_mode_32 0
		.amdhsa_float_round_mode_16_64 0
		.amdhsa_float_denorm_mode_32 3
		.amdhsa_float_denorm_mode_16_64 3
		.amdhsa_dx10_clamp 1
		.amdhsa_ieee_mode 1
		.amdhsa_fp16_overflow 0
		.amdhsa_workgroup_processor_mode 1
		.amdhsa_memory_ordered 1
		.amdhsa_forward_progress 0
		.amdhsa_shared_vgpr_count 0
		.amdhsa_exception_fp_ieee_invalid_op 0
		.amdhsa_exception_fp_denorm_src 0
		.amdhsa_exception_fp_ieee_div_zero 0
		.amdhsa_exception_fp_ieee_overflow 0
		.amdhsa_exception_fp_ieee_underflow 0
		.amdhsa_exception_fp_ieee_inexact 0
		.amdhsa_exception_int_div_zero 0
	.end_amdhsa_kernel
	.section	.text._ZL15flash_attn_tileILi128ELi128ELi4ELi4ELb1EEvPKcS1_S1_S1_S1_PKiPfP15HIP_vector_typeIfLj2EEffffjfiS5_IjLj3EEiiiiiiiiiiiliiliiiiil,"axG",@progbits,_ZL15flash_attn_tileILi128ELi128ELi4ELi4ELb1EEvPKcS1_S1_S1_S1_PKiPfP15HIP_vector_typeIfLj2EEffffjfiS5_IjLj3EEiiiiiiiiiiiliiliiiiil,comdat
.Lfunc_end77:
	.size	_ZL15flash_attn_tileILi128ELi128ELi4ELi4ELb1EEvPKcS1_S1_S1_S1_PKiPfP15HIP_vector_typeIfLj2EEffffjfiS5_IjLj3EEiiiiiiiiiiiliiliiiiil, .Lfunc_end77-_ZL15flash_attn_tileILi128ELi128ELi4ELi4ELb1EEvPKcS1_S1_S1_S1_PKiPfP15HIP_vector_typeIfLj2EEffffjfiS5_IjLj3EEiiiiiiiiiiiliiliiiiil
                                        ; -- End function
	.section	.AMDGPU.csdata,"",@progbits
; Kernel info:
; codeLenInByte = 24780
; NumSgprs: 42
; NumVgprs: 137
; ScratchSize: 0
; MemoryBound: 0
; FloatMode: 240
; IeeeMode: 1
; LDSByteSize: 43008 bytes/workgroup (compile time only)
; SGPRBlocks: 5
; VGPRBlocks: 17
; NumSGPRsForWavesPerEU: 42
; NumVGPRsForWavesPerEU: 137
; Occupancy: 6
; WaveLimiterHint : 1
; COMPUTE_PGM_RSRC2:SCRATCH_EN: 0
; COMPUTE_PGM_RSRC2:USER_SGPR: 13
; COMPUTE_PGM_RSRC2:TRAP_HANDLER: 0
; COMPUTE_PGM_RSRC2:TGID_X_EN: 1
; COMPUTE_PGM_RSRC2:TGID_Y_EN: 1
; COMPUTE_PGM_RSRC2:TGID_Z_EN: 1
; COMPUTE_PGM_RSRC2:TIDIG_COMP_CNT: 1
	.section	.text._ZL15flash_attn_tileILi128ELi128ELi2ELi4ELb1EEvPKcS1_S1_S1_S1_PKiPfP15HIP_vector_typeIfLj2EEffffjfiS5_IjLj3EEiiiiiiiiiiiliiliiiiil,"axG",@progbits,_ZL15flash_attn_tileILi128ELi128ELi2ELi4ELb1EEvPKcS1_S1_S1_S1_PKiPfP15HIP_vector_typeIfLj2EEffffjfiS5_IjLj3EEiiiiiiiiiiiliiliiiiil,comdat
	.globl	_ZL15flash_attn_tileILi128ELi128ELi2ELi4ELb1EEvPKcS1_S1_S1_S1_PKiPfP15HIP_vector_typeIfLj2EEffffjfiS5_IjLj3EEiiiiiiiiiiiliiliiiiil ; -- Begin function _ZL15flash_attn_tileILi128ELi128ELi2ELi4ELb1EEvPKcS1_S1_S1_S1_PKiPfP15HIP_vector_typeIfLj2EEffffjfiS5_IjLj3EEiiiiiiiiiiiliiliiiiil
	.p2align	8
	.type	_ZL15flash_attn_tileILi128ELi128ELi2ELi4ELb1EEvPKcS1_S1_S1_S1_PKiPfP15HIP_vector_typeIfLj2EEffffjfiS5_IjLj3EEiiiiiiiiiiiliiliiiiil,@function
_ZL15flash_attn_tileILi128ELi128ELi2ELi4ELb1EEvPKcS1_S1_S1_S1_PKiPfP15HIP_vector_typeIfLj2EEffffjfiS5_IjLj3EEiiiiiiiiiiiliiliiiiil: ; @_ZL15flash_attn_tileILi128ELi128ELi2ELi4ELb1EEvPKcS1_S1_S1_S1_PKiPfP15HIP_vector_typeIfLj2EEffffjfiS5_IjLj3EEiiiiiiiiiiiliiliiiiil
; %bb.0:
	s_clause 0x1
	s_load_b128 s[4:7], s[0:1], 0x5c
	s_load_b64 s[2:3], s[0:1], 0x80
	s_mov_b64 s[34:35], 0
	s_waitcnt lgkmcnt(0)
	s_ashr_i32 s8, s7, 31
	s_delay_alu instid0(SALU_CYCLE_1) | instskip(NEXT) | instid1(SALU_CYCLE_1)
	s_lshr_b32 s8, s8, 30
	s_add_i32 s8, s7, s8
	s_delay_alu instid0(SALU_CYCLE_1) | instskip(NEXT) | instid1(SALU_CYCLE_1)
	s_ashr_i32 s8, s8, 2
	v_cvt_f32_u32_e32 v1, s8
	s_sub_i32 s10, 0, s8
	s_delay_alu instid0(VALU_DEP_1) | instskip(SKIP_2) | instid1(VALU_DEP_1)
	v_rcp_iflag_f32_e32 v1, v1
	s_waitcnt_depctr 0xfff
	v_mul_f32_e32 v1, 0x4f7ffffe, v1
	v_cvt_u32_f32_e32 v1, v1
	s_delay_alu instid0(VALU_DEP_1) | instskip(NEXT) | instid1(VALU_DEP_1)
	v_readfirstlane_b32 s9, v1
	s_mul_i32 s10, s10, s9
	s_delay_alu instid0(SALU_CYCLE_1) | instskip(NEXT) | instid1(SALU_CYCLE_1)
	s_mul_hi_u32 s10, s9, s10
	s_add_i32 s9, s9, s10
	s_delay_alu instid0(SALU_CYCLE_1) | instskip(NEXT) | instid1(SALU_CYCLE_1)
	s_mul_hi_u32 s9, s15, s9
	s_mul_i32 s10, s9, s8
	s_add_i32 s11, s9, 1
	s_sub_i32 s10, s15, s10
	s_delay_alu instid0(SALU_CYCLE_1)
	s_sub_i32 s12, s10, s8
	s_cmp_ge_u32 s10, s8
	s_cselect_b32 s9, s11, s9
	s_cselect_b32 s10, s12, s10
	s_add_i32 s11, s9, 1
	s_cmp_ge_u32 s10, s8
	s_cselect_b32 s12, s11, s9
	s_abs_i32 s8, s3
	s_abs_i32 s16, s7
	v_cvt_f32_u32_e32 v1, s8
	s_sub_i32 s10, 0, s8
	s_lshl_b32 s11, s15, 2
	s_mul_i32 s15, s12, s7
	s_xor_b32 s3, s7, s3
	v_rcp_iflag_f32_e32 v1, v1
	s_sub_i32 s15, s11, s15
	s_ashr_i32 s3, s3, 31
	s_waitcnt_depctr 0xfff
	v_mul_f32_e32 v1, 0x4f7ffffe, v1
	s_delay_alu instid0(VALU_DEP_1) | instskip(NEXT) | instid1(VALU_DEP_1)
	v_cvt_u32_f32_e32 v1, v1
	v_readfirstlane_b32 s9, v1
	s_delay_alu instid0(VALU_DEP_1) | instskip(NEXT) | instid1(SALU_CYCLE_1)
	s_mul_i32 s10, s10, s9
	s_mul_hi_u32 s10, s9, s10
	s_delay_alu instid0(SALU_CYCLE_1) | instskip(NEXT) | instid1(SALU_CYCLE_1)
	s_add_i32 s9, s9, s10
	s_mul_hi_u32 s9, s16, s9
	s_delay_alu instid0(SALU_CYCLE_1) | instskip(SKIP_2) | instid1(SALU_CYCLE_1)
	s_mul_i32 s10, s9, s8
	s_add_i32 s11, s9, 1
	s_sub_i32 s10, s16, s10
	s_sub_i32 s16, s10, s8
	s_cmp_ge_u32 s10, s8
	s_cselect_b32 s9, s11, s9
	s_cselect_b32 s10, s16, s10
	s_add_i32 s11, s9, 1
	s_cmp_ge_u32 s10, s8
	s_clause 0x1
	s_load_b512 s[16:31], s[0:1], 0x0
	s_load_b64 s[36:37], s[0:1], 0xb8
	s_cselect_b32 s8, s11, s9
	s_delay_alu instid0(SALU_CYCLE_1) | instskip(NEXT) | instid1(SALU_CYCLE_1)
	s_xor_b32 s8, s8, s3
	s_sub_i32 s38, s8, s3
	s_delay_alu instid0(SALU_CYCLE_1) | instskip(NEXT) | instid1(SALU_CYCLE_1)
	s_abs_i32 s33, s38
	v_cvt_f32_u32_e32 v1, s33
	s_delay_alu instid0(VALU_DEP_1) | instskip(SKIP_4) | instid1(VALU_DEP_1)
	v_rcp_iflag_f32_e32 v1, v1
	s_waitcnt lgkmcnt(0)
	s_cmp_eq_u64 s[22:23], 0
	s_waitcnt_depctr 0xfff
	v_mul_f32_e32 v1, 0x4f7ffffe, v1
	v_cvt_u32_f32_e32 v1, v1
	s_delay_alu instid0(VALU_DEP_1)
	v_readfirstlane_b32 s39, v1
	s_cbranch_scc1 .LBB78_2
; %bb.1:
	s_abs_i32 s3, s36
	s_abs_i32 s10, s12
	v_cvt_f32_u32_e32 v1, s3
	s_sub_i32 s9, 0, s3
	s_delay_alu instid0(VALU_DEP_1) | instskip(SKIP_2) | instid1(VALU_DEP_1)
	v_rcp_iflag_f32_e32 v1, v1
	s_waitcnt_depctr 0xfff
	v_mul_f32_e32 v1, 0x4f7ffffe, v1
	v_cvt_u32_f32_e32 v1, v1
	s_delay_alu instid0(VALU_DEP_1) | instskip(NEXT) | instid1(VALU_DEP_1)
	v_readfirstlane_b32 s8, v1
	s_mul_i32 s9, s9, s8
	s_delay_alu instid0(SALU_CYCLE_1) | instskip(NEXT) | instid1(SALU_CYCLE_1)
	s_mul_hi_u32 s9, s8, s9
	s_add_i32 s11, s8, s9
	s_load_b64 s[8:9], s[0:1], 0xc8
	s_mul_hi_u32 s11, s10, s11
	s_delay_alu instid0(SALU_CYCLE_1) | instskip(NEXT) | instid1(SALU_CYCLE_1)
	s_mul_i32 s11, s11, s3
	s_sub_i32 s10, s10, s11
	s_ashr_i32 s11, s12, 31
	s_sub_i32 s34, s10, s3
	s_cmp_ge_u32 s10, s3
	s_cselect_b32 s10, s34, s10
	s_delay_alu instid0(SALU_CYCLE_1) | instskip(SKIP_2) | instid1(SALU_CYCLE_1)
	s_sub_i32 s34, s10, s3
	s_cmp_ge_u32 s10, s3
	s_cselect_b32 s3, s34, s10
	s_xor_b32 s3, s3, s11
	s_delay_alu instid0(SALU_CYCLE_1)
	s_sub_i32 s3, s3, s11
	s_waitcnt lgkmcnt(0)
	s_mul_i32 s9, s3, s9
	s_mul_hi_u32 s10, s3, s8
	s_ashr_i32 s11, s3, 31
	s_add_i32 s9, s10, s9
	s_mul_i32 s11, s11, s8
	s_mul_i32 s3, s3, s8
	s_add_i32 s9, s9, s11
	s_add_u32 s34, s22, s3
	s_addc_u32 s35, s23, s9
.LBB78_2:
	v_bfe_u32 v1, v0, 10, 10
	s_load_b128 s[8:11], s[0:1], 0x70
	v_and_b32_e32 v17, 0x3ff, v0
	s_delay_alu instid0(VALU_DEP_2) | instskip(SKIP_1) | instid1(VALU_DEP_3)
	v_lshrrev_b32_e32 v2, 1, v1
	v_lshlrev_b32_e32 v3, 1, v1
	v_lshlrev_b32_e32 v0, 4, v17
	s_delay_alu instid0(VALU_DEP_3) | instskip(NEXT) | instid1(VALU_DEP_3)
	v_lshl_add_u32 v16, s13, 1, v2
	v_or_b32_e32 v13, 1, v3
	s_delay_alu instid0(VALU_DEP_2) | instskip(NEXT) | instid1(VALU_DEP_2)
	v_mul_hi_u32 v2, s4, v16
	v_and_b32_e32 v14, 3, v13
	v_lshlrev_b32_e32 v19, 6, v13
	s_waitcnt lgkmcnt(0)
	s_mul_i32 s3, s12, s10
	s_mul_i32 s4, s15, s9
	s_delay_alu instid0(VALU_DEP_3) | instskip(NEXT) | instid1(VALU_DEP_1)
	v_add_nc_u32_e32 v2, v16, v2
	v_lshrrev_b32_e32 v2, s5, v2
	s_ashr_i32 s5, s3, 31
	s_add_u32 s3, s16, s3
	s_addc_u32 s5, s17, s5
	s_ashr_i32 s10, s4, 31
	v_mul_lo_u32 v2, v2, s6
	s_add_u32 s3, s3, s4
	s_addc_u32 s4, s5, s10
	s_ashr_i32 s5, s8, 31
	s_delay_alu instid0(SALU_CYCLE_1) | instskip(SKIP_2) | instid1(VALU_DEP_2)
	v_alignbit_b32 v6, s5, s8, 2
	s_ashr_i32 s8, s9, 31
	s_lshr_b32 s5, s5, 2
	v_sub_nc_u32_e32 v2, v16, v2
	v_alignbit_b32 v11, s8, s9, 2
	s_lshr_b32 s10, s8, 2
	s_cmp_eq_u64 s[26:27], 0
	s_delay_alu instid0(VALU_DEP_2) | instskip(NEXT) | instid1(VALU_DEP_1)
	v_mad_u64_u32 v[4:5], null, v6, v2, 0
	v_mad_u64_u32 v[6:7], null, s5, v2, v[5:6]
	;; [unrolled: 1-line block ×3, first 2 shown]
	s_delay_alu instid0(VALU_DEP_1) | instskip(SKIP_1) | instid1(VALU_DEP_2)
	v_dual_mov_b32 v5, v6 :: v_dual_mov_b32 v6, v8
	v_and_b32_e32 v37, 2, v3
	v_lshlrev_b64 v[4:5], 2, v[4:5]
	s_delay_alu instid0(VALU_DEP_2) | instskip(SKIP_1) | instid1(VALU_DEP_3)
	v_mul_lo_u32 v12, s10, v37
	v_mad_u64_u32 v[9:10], null, v11, v37, 0
	v_add_co_u32 v4, vcc_lo, s3, v4
	s_delay_alu instid0(VALU_DEP_4) | instskip(SKIP_1) | instid1(VALU_DEP_2)
	v_add_co_ci_u32_e32 v5, vcc_lo, s4, v5, vcc_lo
	s_load_b32 s3, s[0:1], 0x40
	v_add_co_u32 v0, vcc_lo, v4, v0
	s_delay_alu instid0(VALU_DEP_4) | instskip(SKIP_2) | instid1(VALU_DEP_3)
	v_or_b32_e32 v10, v10, v12
	v_mad_u64_u32 v[11:12], null, s10, v14, v[6:7]
	v_lshlrev_b32_e32 v12, 7, v1
	v_lshlrev_b64 v[9:10], 2, v[9:10]
	s_delay_alu instid0(VALU_DEP_3) | instskip(SKIP_1) | instid1(VALU_DEP_3)
	v_mov_b32_e32 v8, v11
	v_add_co_ci_u32_e32 v11, vcc_lo, 0, v5, vcc_lo
	v_add_co_u32 v6, vcc_lo, v0, v9
	s_delay_alu instid0(VALU_DEP_3) | instskip(NEXT) | instid1(VALU_DEP_3)
	v_lshlrev_b64 v[4:5], 2, v[7:8]
	v_add_co_ci_u32_e32 v7, vcc_lo, v11, v10, vcc_lo
	s_delay_alu instid0(VALU_DEP_2) | instskip(NEXT) | instid1(VALU_DEP_3)
	v_add_co_u32 v8, vcc_lo, v0, v4
	v_add_co_ci_u32_e32 v9, vcc_lo, v11, v5, vcc_lo
	s_clause 0x1
	global_load_b128 v[4:7], v[6:7], off
	global_load_b128 v[8:11], v[8:9], off
	v_lshlrev_b32_e32 v0, 1, v17
	s_delay_alu instid0(VALU_DEP_1)
	v_add_lshl_u32 v18, v12, v0, 2
	v_add_lshl_u32 v0, v19, v0, 2
	s_waitcnt vmcnt(1) lgkmcnt(0)
	v_fma_mixlo_f16 v13, v6, s3, 0
	v_fma_mixlo_f16 v12, v4, s3, 0
	s_waitcnt vmcnt(0)
	v_fma_mixlo_f16 v15, v10, s3, 0
	v_fma_mixlo_f16 v14, v8, s3, 0
	v_fma_mixhi_f16 v13, v7, s3, 0
	v_fma_mixhi_f16 v12, v5, s3, 0
	s_delay_alu instid0(VALU_DEP_4) | instskip(NEXT) | instid1(VALU_DEP_4)
	v_fma_mixhi_f16 v15, v11, s3, 0
	v_fma_mixhi_f16 v14, v9, s3, 0
	ds_store_b64 v18, v[12:13] offset:9216
	ds_store_b64 v0, v[14:15] offset:9216
	s_waitcnt lgkmcnt(0)
	s_barrier
	buffer_gl0_inv
	s_cbranch_scc1 .LBB78_4
; %bb.3:
	s_load_b32 s2, s[0:1], 0xd0
	s_mov_b32 s3, 0
	s_waitcnt lgkmcnt(0)
	s_mul_i32 s2, s2, s12
	s_delay_alu instid0(SALU_CYCLE_1) | instskip(NEXT) | instid1(SALU_CYCLE_1)
	s_add_i32 s2, s2, s13
	s_lshl_b64 s[2:3], s[2:3], 2
	s_delay_alu instid0(SALU_CYCLE_1)
	s_add_u32 s2, s26, s2
	s_addc_u32 s3, s27, s3
	s_load_b32 s2, s[2:3], 0x0
.LBB78_4:
	v_mbcnt_lo_u32_b32 v39, -1, 0
	s_lshl_b32 s3, s14, 6
	s_waitcnt lgkmcnt(0)
	s_cmp_lt_i32 s3, s2
	s_cbranch_scc1 .LBB78_6
; %bb.5:
	v_mbcnt_lo_u32_b32 v0, -1, 0
	v_mov_b32_e32 v40, 32
	s_mov_b32 s4, 0
	s_mov_b32 s5, 0xfeffffff
	s_delay_alu instid0(VALU_DEP_2)
	v_xor_b32_e32 v67, 16, v0
	v_xor_b32_e32 v63, 8, v0
	;; [unrolled: 1-line block ×5, first 2 shown]
	s_branch .LBB78_7
.LBB78_6:
	s_mov_b32 s4, -1
                                        ; implicit-def: $sgpr5
                                        ; implicit-def: $vgpr0
                                        ; implicit-def: $vgpr40
                                        ; implicit-def: $vgpr67
                                        ; implicit-def: $vgpr63
                                        ; implicit-def: $vgpr64
                                        ; implicit-def: $vgpr65
                                        ; implicit-def: $vgpr66
.LBB78_7:
	s_delay_alu instid0(SALU_CYCLE_1) | instskip(SKIP_2) | instid1(VALU_DEP_3)
	v_cndmask_b32_e64 v4, 0, 1, s4
	v_dual_mov_b32 v36, s5 :: v_dual_mov_b32 v5, s4
	v_dual_mov_b32 v59, s4 :: v_dual_lshlrev_b32 v38, 2, v17
	v_cmp_ne_u32_e32 vcc_lo, 1, v4
	v_dual_mov_b32 v35, s5 :: v_dual_mov_b32 v4, s4
	v_dual_mov_b32 v60, s4 :: v_dual_mov_b32 v55, s4
	v_mov_b32_e32 v58, s4
	s_cbranch_vccnz .LBB78_28
; %bb.8:
	s_clause 0x1
	s_load_b128 s[8:11], s[0:1], 0x98
	s_load_b64 s[4:5], s[0:1], 0x8c
	s_sub_i32 s13, 0, s33
	s_abs_i32 s16, s15
	s_mul_i32 s13, s13, s39
	s_ashr_i32 s27, s37, 1
	s_mul_hi_u32 s13, s39, s13
	s_ashr_i32 s37, s12, 31
	s_add_i32 s39, s39, s13
	s_ashr_i32 s17, s15, 31
	s_mul_hi_u32 s36, s16, s39
	s_ashr_i32 s26, s38, 31
	s_load_b64 s[22:23], s[0:1], 0xa8
	s_mul_i32 s38, s36, s33
	v_lshrrev_b32_e32 v0, 3, v17
	v_dual_mov_b32 v40, 32 :: v_dual_and_b32 v21, 28, v38
	v_lshrrev_b32_e32 v7, 4, v17
	v_mov_b32_e32 v58, 0
	s_delay_alu instid0(VALU_DEP_4)
	v_lshl_add_u32 v0, v1, 2, v0
	s_waitcnt lgkmcnt(0)
	s_mul_i32 s39, s37, s8
	s_ashr_i32 s13, s4, 2
	s_mul_i32 s4, s12, s9
	s_mul_hi_u32 s9, s12, s8
	s_mul_i32 s8, s12, s8
	s_add_i32 s4, s9, s4
	s_ashr_i32 s10, s10, 2
	s_add_i32 s4, s4, s39
	s_add_u32 s9, s18, s8
	s_addc_u32 s4, s19, s4
	s_sub_i32 s8, s16, s38
	s_xor_b32 s17, s17, s26
	s_add_i32 s16, s36, 1
	s_sub_i32 s18, s8, s33
	s_cmp_ge_u32 s8, s33
	v_mul_lo_u32 v4, s13, v0
	s_cselect_b32 s16, s16, s36
	s_cselect_b32 s8, s18, s8
	s_add_i32 s18, s16, 1
	s_cmp_ge_u32 s8, s33
	s_load_b32 s8, s[0:1], 0x54
	s_cselect_b32 s16, s18, s16
	s_mul_i32 s18, s12, s23
	s_xor_b32 s16, s16, s17
	s_mul_hi_u32 s19, s12, s22
	s_sub_i32 s17, s16, s17
	s_mul_i32 s37, s37, s22
	s_mul_i32 s5, s17, s5
	;; [unrolled: 1-line block ×3, first 2 shown]
	s_ashr_i32 s16, s5, 31
	s_add_u32 s9, s9, s5
	s_addc_u32 s16, s4, s16
	s_add_i32 s4, s19, s18
	s_mul_i32 s5, s12, s22
	s_add_i32 s4, s4, s37
	s_add_u32 s5, s20, s5
	s_addc_u32 s4, s21, s4
	s_ashr_i32 s18, s17, 31
	s_add_u32 s11, s5, s17
	s_addc_u32 s17, s4, s18
	s_lshl_b32 s4, s13, 4
	v_lshlrev_b32_e32 v5, 2, v21
	v_dual_mov_b32 v60, 0 :: v_dual_add_nc_u32 v3, v7, v3
	v_dual_mov_b32 v55, 0 :: v_dual_add_nc_u32 v6, s4, v4
	s_delay_alu instid0(VALU_DEP_3) | instskip(NEXT) | instid1(VALU_DEP_3)
	v_mad_u32_u24 v41, 0x90, v0, v5
	v_mul_lo_u32 v0, s10, v3
	s_delay_alu instid0(VALU_DEP_3) | instskip(SKIP_2) | instid1(VALU_DEP_3)
	v_dual_mov_b32 v61, 0xfeffffff :: v_dual_add_nc_u32 v8, s4, v6
	v_dual_mov_b32 v62, 0xfeffffff :: v_dual_and_b32 v29, 60, v38
	v_mad_u64_u32 v[18:19], null, v2, s27, v[17:18]
	v_dual_mov_b32 v57, 0 :: v_dual_add_nc_u32 v10, s4, v8
	s_lshl_b32 s4, s10, 3
	s_delay_alu instid0(VALU_DEP_3)
	v_lshlrev_b32_e32 v13, 2, v29
	v_add_nc_u32_e32 v12, s4, v0
	v_ashrrev_i32_e32 v5, 31, v4
	v_ashrrev_i32_e32 v7, 31, v6
	;; [unrolled: 1-line block ×4, first 2 shown]
	v_add_nc_u32_e32 v14, s4, v12
	v_lshl_add_u32 v46, v1, 9, 0x2400
	v_lshl_or_b32 v47, v3, 8, v13
	v_lshl_add_u32 v48, v1, 8, 0x2c00
	v_ashrrev_i32_e32 v1, 31, v0
	v_add_nc_u32_e32 v2, s4, v14
	v_ashrrev_i32_e32 v13, 31, v12
	v_ashrrev_i32_e32 v15, 31, v14
	v_lshlrev_b64 v[19:20], 2, v[4:5]
	v_lshlrev_b32_e32 v53, 2, v21
	v_ashrrev_i32_e32 v3, 31, v2
	v_lshlrev_b64 v[21:22], 2, v[6:7]
	v_lshlrev_b64 v[23:24], 2, v[8:9]
	;; [unrolled: 1-line block ×4, first 2 shown]
	v_lshlrev_b32_e32 v54, 2, v29
	v_lshlrev_b64 v[29:30], 2, v[12:13]
	v_lshlrev_b64 v[31:32], 2, v[14:15]
	;; [unrolled: 1-line block ×3, first 2 shown]
	v_dual_mov_b32 v59, 0 :: v_dual_add_nc_u32 v42, 0x900, v41
	v_dual_mov_b32 v56, 0 :: v_dual_add_nc_u32 v43, 0x1200, v41
	v_add_nc_u32_e32 v44, 0x1b00, v41
	v_mul_u32_u24_e32 v45, 0x90, v17
	v_add_nc_u32_e32 v49, 0x800, v47
	v_add_nc_u32_e32 v50, 0x1000, v47
	;; [unrolled: 1-line block ×3, first 2 shown]
	v_lshlrev_b32_e32 v52, 3, v17
	s_add_u32 s4, s0, 0xd0
	s_addc_u32 s5, s1, 0
	s_mov_b32 s18, 0xbbbac73d
.LBB78_9:                               ; =>This Inner Loop Header: Depth=1
	s_mul_hi_i32 s21, s3, s13
	s_mul_i32 s20, s3, s13
	v_mov_b32_e32 v35, 0
	s_lshl_b64 s[20:21], s[20:21], 2
	v_mov_b32_e32 v36, 0
	s_add_u32 s19, s9, s20
	s_addc_u32 s20, s16, s21
	v_add_co_u32 v0, vcc_lo, s19, v19
	v_add_co_ci_u32_e32 v1, vcc_lo, s20, v20, vcc_lo
	v_add_co_u32 v2, vcc_lo, s19, v21
	v_add_co_ci_u32_e32 v3, vcc_lo, s20, v22, vcc_lo
	s_delay_alu instid0(VALU_DEP_4) | instskip(NEXT) | instid1(VALU_DEP_4)
	v_add_co_u32 v0, vcc_lo, v0, v53
	v_add_co_ci_u32_e32 v1, vcc_lo, 0, v1, vcc_lo
	s_delay_alu instid0(VALU_DEP_4) | instskip(NEXT) | instid1(VALU_DEP_4)
	v_add_co_u32 v2, vcc_lo, v2, v53
	v_add_co_ci_u32_e32 v3, vcc_lo, 0, v3, vcc_lo
	v_add_co_u32 v4, vcc_lo, s19, v23
	v_add_co_ci_u32_e32 v5, vcc_lo, s20, v24, vcc_lo
	;; [unrolled: 2-line block ×3, first 2 shown]
	s_delay_alu instid0(VALU_DEP_4) | instskip(NEXT) | instid1(VALU_DEP_4)
	v_add_co_u32 v4, vcc_lo, v4, v53
	v_add_co_ci_u32_e32 v5, vcc_lo, 0, v5, vcc_lo
	s_delay_alu instid0(VALU_DEP_4) | instskip(NEXT) | instid1(VALU_DEP_4)
	v_add_co_u32 v6, vcc_lo, v6, v53
	v_add_co_ci_u32_e32 v7, vcc_lo, 0, v7, vcc_lo
	s_clause 0x3
	global_load_b128 v[8:11], v[0:1], off
	global_load_b128 v[12:15], v[2:3], off
	;; [unrolled: 1-line block ×4, first 2 shown]
	s_waitcnt vmcnt(3)
	ds_store_b128 v41, v[8:11]
	s_waitcnt vmcnt(2)
	ds_store_b128 v42, v[12:15]
	;; [unrolled: 2-line block ×4, first 2 shown]
	s_waitcnt lgkmcnt(0)
	s_barrier
	buffer_gl0_inv
	ds_load_b128 v[10:13], v45
	ds_load_b128 v[63:66], v46
	ds_load_b128 v[67:70], v46 offset:256
	ds_load_b128 v[71:74], v45 offset:4608
	v_dual_mov_b32 v8, 0 :: v_dual_mov_b32 v9, 0
	s_waitcnt lgkmcnt(2)
	;;#ASMSTART
	v_dot2_f32_f16 v8, v10, v63, v8
	;;#ASMEND
	;;#ASMSTART
	v_dot2_f32_f16 v8, v11, v64, v8
	;;#ASMEND
	;;#ASMSTART
	v_dot2_f32_f16 v8, v12, v65, v8
	;;#ASMEND
	;;#ASMSTART
	v_dot2_f32_f16 v8, v13, v66, v8
	;;#ASMEND
	s_waitcnt lgkmcnt(1)
	;;#ASMSTART
	v_dot2_f32_f16 v35, v10, v67, v35
	;;#ASMEND
	;;#ASMSTART
	v_dot2_f32_f16 v35, v11, v68, v35
	;;#ASMEND
	;;#ASMSTART
	v_dot2_f32_f16 v35, v12, v69, v35
	;;#ASMEND
	;;#ASMSTART
	v_dot2_f32_f16 v35, v13, v70, v35
	;;#ASMEND
	s_waitcnt lgkmcnt(0)
	;;#ASMSTART
	v_dot2_f32_f16 v9, v71, v63, v9
	;;#ASMEND
	;;#ASMSTART
	v_dot2_f32_f16 v9, v72, v64, v9
	;;#ASMEND
	;;#ASMSTART
	v_dot2_f32_f16 v9, v73, v65, v9
	;;#ASMEND
	;;#ASMSTART
	v_dot2_f32_f16 v9, v74, v66, v9
	;;#ASMEND
	;;#ASMSTART
	v_dot2_f32_f16 v36, v71, v67, v36
	;;#ASMEND
	;;#ASMSTART
	v_dot2_f32_f16 v36, v72, v68, v36
	;;#ASMEND
	;;#ASMSTART
	v_dot2_f32_f16 v36, v73, v69, v36
	;;#ASMEND
	;;#ASMSTART
	v_dot2_f32_f16 v36, v74, v70, v36
	;;#ASMEND
	ds_load_b128 v[10:13], v45 offset:16
	ds_load_b128 v[63:66], v46 offset:16
	ds_load_b128 v[67:70], v46 offset:272
	ds_load_b128 v[71:74], v45 offset:4624
	s_waitcnt lgkmcnt(2)
	;;#ASMSTART
	v_dot2_f32_f16 v8, v10, v63, v8
	;;#ASMEND
	;;#ASMSTART
	v_dot2_f32_f16 v8, v11, v64, v8
	;;#ASMEND
	;;#ASMSTART
	v_dot2_f32_f16 v8, v12, v65, v8
	;;#ASMEND
	;;#ASMSTART
	v_dot2_f32_f16 v8, v13, v66, v8
	;;#ASMEND
	s_waitcnt lgkmcnt(1)
	;;#ASMSTART
	v_dot2_f32_f16 v35, v10, v67, v35
	;;#ASMEND
	;;#ASMSTART
	v_dot2_f32_f16 v35, v11, v68, v35
	;;#ASMEND
	;;#ASMSTART
	v_dot2_f32_f16 v35, v12, v69, v35
	;;#ASMEND
	;;#ASMSTART
	v_dot2_f32_f16 v35, v13, v70, v35
	;;#ASMEND
	s_waitcnt lgkmcnt(0)
	;;#ASMSTART
	v_dot2_f32_f16 v9, v71, v63, v9
	;;#ASMEND
	;;#ASMSTART
	v_dot2_f32_f16 v9, v72, v64, v9
	;;#ASMEND
	;;#ASMSTART
	v_dot2_f32_f16 v9, v73, v65, v9
	;;#ASMEND
	;;#ASMSTART
	v_dot2_f32_f16 v9, v74, v66, v9
	;;#ASMEND
	;;#ASMSTART
	v_dot2_f32_f16 v36, v71, v67, v36
	;;#ASMEND
	;;#ASMSTART
	v_dot2_f32_f16 v36, v72, v68, v36
	;;#ASMEND
	;;#ASMSTART
	v_dot2_f32_f16 v36, v73, v69, v36
	;;#ASMEND
	;;#ASMSTART
	v_dot2_f32_f16 v36, v74, v70, v36
	;;#ASMEND
	ds_load_b128 v[10:13], v45 offset:32
	ds_load_b128 v[63:66], v46 offset:32
	ds_load_b128 v[67:70], v46 offset:288
	ds_load_b128 v[71:74], v45 offset:4640
	;; [unrolled: 55-line block ×7, first 2 shown]
	s_waitcnt lgkmcnt(2)
	;;#ASMSTART
	v_dot2_f32_f16 v8, v10, v63, v8
	;;#ASMEND
	;;#ASMSTART
	v_dot2_f32_f16 v8, v11, v64, v8
	;;#ASMEND
	;;#ASMSTART
	v_dot2_f32_f16 v8, v12, v65, v8
	;;#ASMEND
	;;#ASMSTART
	v_dot2_f32_f16 v8, v13, v66, v8
	;;#ASMEND
	s_waitcnt lgkmcnt(1)
	;;#ASMSTART
	v_dot2_f32_f16 v35, v10, v67, v35
	;;#ASMEND
	;;#ASMSTART
	v_dot2_f32_f16 v35, v11, v68, v35
	;;#ASMEND
	;;#ASMSTART
	v_dot2_f32_f16 v35, v12, v69, v35
	;;#ASMEND
	;;#ASMSTART
	v_dot2_f32_f16 v35, v13, v70, v35
	;;#ASMEND
	;; [unrolled: 13-line block ×3, first 2 shown]
	;;#ASMSTART
	v_dot2_f32_f16 v36, v71, v67, v36
	;;#ASMEND
	;;#ASMSTART
	v_dot2_f32_f16 v36, v72, v68, v36
	;;#ASMEND
	;; [unrolled: 3-line block ×4, first 2 shown]
	s_barrier
	buffer_gl0_inv
	s_clause 0x3
	global_load_b128 v[10:13], v[0:1], off offset:128
	global_load_b128 v[0:3], v[2:3], off offset:128
	;; [unrolled: 1-line block ×4, first 2 shown]
	s_waitcnt vmcnt(3)
	ds_store_b128 v41, v[10:13]
	s_waitcnt vmcnt(2)
	ds_store_b128 v42, v[0:3]
	;; [unrolled: 2-line block ×4, first 2 shown]
	s_waitcnt lgkmcnt(0)
	s_barrier
	buffer_gl0_inv
	ds_load_b128 v[0:3], v45
	ds_load_b128 v[4:7], v46 offset:128
	ds_load_b128 v[10:13], v46 offset:384
	ds_load_b128 v[63:66], v45 offset:4608
	s_waitcnt lgkmcnt(2)
	;;#ASMSTART
	v_dot2_f32_f16 v8, v0, v4, v8
	;;#ASMEND
	;;#ASMSTART
	v_dot2_f32_f16 v8, v1, v5, v8
	;;#ASMEND
	;;#ASMSTART
	v_dot2_f32_f16 v8, v2, v6, v8
	;;#ASMEND
	;;#ASMSTART
	v_dot2_f32_f16 v8, v3, v7, v8
	;;#ASMEND
	s_waitcnt lgkmcnt(1)
	;;#ASMSTART
	v_dot2_f32_f16 v35, v0, v10, v35
	;;#ASMEND
	;;#ASMSTART
	v_dot2_f32_f16 v35, v1, v11, v35
	;;#ASMEND
	;;#ASMSTART
	v_dot2_f32_f16 v35, v2, v12, v35
	;;#ASMEND
	;;#ASMSTART
	v_dot2_f32_f16 v35, v3, v13, v35
	;;#ASMEND
	s_waitcnt lgkmcnt(0)
	;;#ASMSTART
	v_dot2_f32_f16 v9, v63, v4, v9
	;;#ASMEND
	;;#ASMSTART
	v_dot2_f32_f16 v9, v64, v5, v9
	;;#ASMEND
	;;#ASMSTART
	v_dot2_f32_f16 v9, v65, v6, v9
	;;#ASMEND
	;;#ASMSTART
	v_dot2_f32_f16 v9, v66, v7, v9
	;;#ASMEND
	;;#ASMSTART
	v_dot2_f32_f16 v36, v63, v10, v36
	;;#ASMEND
	;;#ASMSTART
	v_dot2_f32_f16 v36, v64, v11, v36
	;;#ASMEND
	;;#ASMSTART
	v_dot2_f32_f16 v36, v65, v12, v36
	;;#ASMEND
	;;#ASMSTART
	v_dot2_f32_f16 v36, v66, v13, v36
	;;#ASMEND
	ds_load_b128 v[0:3], v45 offset:16
	ds_load_b128 v[4:7], v46 offset:144
	ds_load_b128 v[10:13], v46 offset:400
	ds_load_b128 v[63:66], v45 offset:4624
	s_waitcnt lgkmcnt(2)
	;;#ASMSTART
	v_dot2_f32_f16 v8, v0, v4, v8
	;;#ASMEND
	;;#ASMSTART
	v_dot2_f32_f16 v8, v1, v5, v8
	;;#ASMEND
	;;#ASMSTART
	v_dot2_f32_f16 v8, v2, v6, v8
	;;#ASMEND
	;;#ASMSTART
	v_dot2_f32_f16 v8, v3, v7, v8
	;;#ASMEND
	s_waitcnt lgkmcnt(1)
	;;#ASMSTART
	v_dot2_f32_f16 v35, v0, v10, v35
	;;#ASMEND
	;;#ASMSTART
	v_dot2_f32_f16 v35, v1, v11, v35
	;;#ASMEND
	;;#ASMSTART
	v_dot2_f32_f16 v35, v2, v12, v35
	;;#ASMEND
	;;#ASMSTART
	v_dot2_f32_f16 v35, v3, v13, v35
	;;#ASMEND
	s_waitcnt lgkmcnt(0)
	;;#ASMSTART
	v_dot2_f32_f16 v9, v63, v4, v9
	;;#ASMEND
	;;#ASMSTART
	v_dot2_f32_f16 v9, v64, v5, v9
	;;#ASMEND
	;;#ASMSTART
	v_dot2_f32_f16 v9, v65, v6, v9
	;;#ASMEND
	;;#ASMSTART
	v_dot2_f32_f16 v9, v66, v7, v9
	;;#ASMEND
	;;#ASMSTART
	v_dot2_f32_f16 v36, v63, v10, v36
	;;#ASMEND
	;;#ASMSTART
	v_dot2_f32_f16 v36, v64, v11, v36
	;;#ASMEND
	;;#ASMSTART
	v_dot2_f32_f16 v36, v65, v12, v36
	;;#ASMEND
	;;#ASMSTART
	v_dot2_f32_f16 v36, v66, v13, v36
	;;#ASMEND
	ds_load_b128 v[0:3], v45 offset:32
	;; [unrolled: 55-line block ×7, first 2 shown]
	ds_load_b128 v[4:7], v46 offset:240
	ds_load_b128 v[10:13], v46 offset:496
	;; [unrolled: 1-line block ×3, first 2 shown]
	s_waitcnt lgkmcnt(2)
	;;#ASMSTART
	v_dot2_f32_f16 v8, v0, v4, v8
	;;#ASMEND
	;;#ASMSTART
	v_dot2_f32_f16 v8, v1, v5, v8
	;;#ASMEND
	;; [unrolled: 3-line block ×4, first 2 shown]
	s_waitcnt lgkmcnt(1)
	;;#ASMSTART
	v_dot2_f32_f16 v35, v0, v10, v35
	;;#ASMEND
	;;#ASMSTART
	v_dot2_f32_f16 v35, v1, v11, v35
	;;#ASMEND
	;; [unrolled: 3-line block ×4, first 2 shown]
	s_waitcnt lgkmcnt(0)
	;;#ASMSTART
	v_dot2_f32_f16 v9, v63, v4, v9
	;;#ASMEND
	v_cmp_ngt_f32_e64 s19, 0x3f200000, |v8|
	;;#ASMSTART
	v_dot2_f32_f16 v9, v64, v5, v9
	;;#ASMEND
	;;#ASMSTART
	v_dot2_f32_f16 v9, v65, v6, v9
	;;#ASMEND
	;; [unrolled: 3-line block ×7, first 2 shown]
                                        ; implicit-def: $vgpr2
	s_and_saveexec_b32 s20, s19
	s_delay_alu instid0(SALU_CYCLE_1)
	s_xor_b32 s19, exec_lo, s20
	s_cbranch_execz .LBB78_11
; %bb.10:                               ;   in Loop: Header=BB78_9 Depth=1
	v_add_f32_e64 v0, |v8|, |v8|
	s_delay_alu instid0(VALU_DEP_1) | instskip(SKIP_1) | instid1(VALU_DEP_2)
	v_mul_f32_e32 v1, 0x3fb8aa3b, v0
	v_cmp_ngt_f32_e32 vcc_lo, 0xc2ce8ed0, v0
	v_rndne_f32_e32 v2, v1
	v_fma_f32 v3, 0x3fb8aa3b, v0, -v1
	s_delay_alu instid0(VALU_DEP_2) | instskip(NEXT) | instid1(VALU_DEP_2)
	v_sub_f32_e32 v1, v1, v2
	v_fmac_f32_e32 v3, 0x32a5705f, v0
	v_cvt_i32_f32_e32 v2, v2
	s_delay_alu instid0(VALU_DEP_2) | instskip(NEXT) | instid1(VALU_DEP_1)
	v_add_f32_e32 v1, v1, v3
	v_exp_f32_e32 v1, v1
	s_waitcnt_depctr 0xfff
	v_ldexp_f32 v1, v1, v2
	s_delay_alu instid0(VALU_DEP_1) | instskip(SKIP_1) | instid1(VALU_DEP_2)
	v_cndmask_b32_e32 v1, 0, v1, vcc_lo
	v_cmp_nlt_f32_e32 vcc_lo, 0x42b17218, v0
	v_cndmask_b32_e32 v0, 0x7f800000, v1, vcc_lo
	s_delay_alu instid0(VALU_DEP_1) | instskip(NEXT) | instid1(VALU_DEP_1)
	v_add_f32_e32 v0, 1.0, v0
	v_rcp_f32_e32 v0, v0
	s_waitcnt_depctr 0xfff
	v_fma_f32 v2, v0, -2.0, 1.0
.LBB78_11:                              ;   in Loop: Header=BB78_9 Depth=1
	s_and_not1_saveexec_b32 s19, s19
; %bb.12:                               ;   in Loop: Header=BB78_9 Depth=1
	v_mul_f32_e32 v0, v8, v8
	s_delay_alu instid0(VALU_DEP_1) | instskip(NEXT) | instid1(VALU_DEP_1)
	v_fmaak_f32 v1, s18, v0, 0x3ca908c9
	v_fmaak_f32 v1, v0, v1, 0xbd5c1c4e
	s_delay_alu instid0(VALU_DEP_1) | instskip(NEXT) | instid1(VALU_DEP_1)
	v_fmaak_f32 v1, v0, v1, 0x3e088382
	v_fmaak_f32 v1, v0, v1, 0xbeaaaa99
	s_delay_alu instid0(VALU_DEP_1) | instskip(NEXT) | instid1(VALU_DEP_1)
	v_mul_f32_e64 v1, |v8|, v1
	v_fma_f32 v2, v0, v1, |v8|
; %bb.13:                               ;   in Loop: Header=BB78_9 Depth=1
	s_or_b32 exec_lo, exec_lo, s19
	v_add_nc_u32_e32 v0, s3, v18
	v_cmp_ngt_f32_e64 s19, 0x3f200000, |v9|
                                        ; implicit-def: $vgpr3
	s_delay_alu instid0(VALU_DEP_2) | instskip(NEXT) | instid1(VALU_DEP_1)
	v_ashrrev_i32_e32 v1, 31, v0
	v_lshlrev_b64 v[0:1], 1, v[0:1]
	s_delay_alu instid0(VALU_DEP_1) | instskip(NEXT) | instid1(VALU_DEP_2)
	v_add_co_u32 v0, vcc_lo, s34, v0
	v_add_co_ci_u32_e32 v1, vcc_lo, s35, v1, vcc_lo
	flat_load_u16 v74, v[0:1]
	s_and_saveexec_b32 s20, s19
	s_delay_alu instid0(SALU_CYCLE_1)
	s_xor_b32 s19, exec_lo, s20
	s_cbranch_execz .LBB78_15
; %bb.14:                               ;   in Loop: Header=BB78_9 Depth=1
	v_add_f32_e64 v3, |v9|, |v9|
	s_delay_alu instid0(VALU_DEP_1) | instskip(SKIP_1) | instid1(VALU_DEP_2)
	v_mul_f32_e32 v4, 0x3fb8aa3b, v3
	v_cmp_ngt_f32_e32 vcc_lo, 0xc2ce8ed0, v3
	v_rndne_f32_e32 v5, v4
	v_fma_f32 v6, 0x3fb8aa3b, v3, -v4
	s_delay_alu instid0(VALU_DEP_2) | instskip(NEXT) | instid1(VALU_DEP_2)
	v_sub_f32_e32 v4, v4, v5
	v_fmac_f32_e32 v6, 0x32a5705f, v3
	v_cvt_i32_f32_e32 v5, v5
	s_delay_alu instid0(VALU_DEP_2) | instskip(NEXT) | instid1(VALU_DEP_1)
	v_add_f32_e32 v4, v4, v6
	v_exp_f32_e32 v4, v4
	s_waitcnt_depctr 0xfff
	v_ldexp_f32 v4, v4, v5
	s_delay_alu instid0(VALU_DEP_1) | instskip(SKIP_1) | instid1(VALU_DEP_2)
	v_cndmask_b32_e32 v4, 0, v4, vcc_lo
	v_cmp_nlt_f32_e32 vcc_lo, 0x42b17218, v3
	v_cndmask_b32_e32 v3, 0x7f800000, v4, vcc_lo
	s_delay_alu instid0(VALU_DEP_1) | instskip(NEXT) | instid1(VALU_DEP_1)
	v_add_f32_e32 v3, 1.0, v3
	v_rcp_f32_e32 v3, v3
	s_waitcnt_depctr 0xfff
	v_fma_f32 v3, v3, -2.0, 1.0
.LBB78_15:                              ;   in Loop: Header=BB78_9 Depth=1
	s_and_not1_saveexec_b32 s19, s19
; %bb.16:                               ;   in Loop: Header=BB78_9 Depth=1
	v_mul_f32_e32 v3, v9, v9
	s_delay_alu instid0(VALU_DEP_1) | instskip(NEXT) | instid1(VALU_DEP_1)
	v_fmaak_f32 v4, s18, v3, 0x3ca908c9
	v_fmaak_f32 v4, v3, v4, 0xbd5c1c4e
	s_delay_alu instid0(VALU_DEP_1) | instskip(NEXT) | instid1(VALU_DEP_1)
	v_fmaak_f32 v4, v3, v4, 0x3e088382
	v_fmaak_f32 v4, v3, v4, 0xbeaaaa99
	s_delay_alu instid0(VALU_DEP_1) | instskip(NEXT) | instid1(VALU_DEP_1)
	v_mul_f32_e64 v4, |v9|, v4
	v_fma_f32 v3, v3, v4, |v9|
; %bb.17:                               ;   in Loop: Header=BB78_9 Depth=1
	s_or_b32 exec_lo, exec_lo, s19
	flat_load_u16 v76, v[0:1] offset:64
	v_bfi_b32 v0, 0x7fffffff, v2, v8
	v_bfi_b32 v1, 0x7fffffff, v3, v9
	v_xor_b32_e32 v67, 16, v39
	v_xor_b32_e32 v63, 8, v39
	;; [unrolled: 1-line block ×3, first 2 shown]
	s_waitcnt vmcnt(1) lgkmcnt(1)
	v_fma_mix_f32 v69, v0, s8, v74 op_sel_hi:[0,0,1]
	v_xor_b32_e32 v65, 2, v39
	v_cmp_gt_i32_e32 vcc_lo, 32, v67
	v_xor_b32_e32 v66, 1, v39
	v_cmp_ngt_f32_e64 s19, 0x3f200000, |v35|
	v_add_f32_e32 v0, 0x40051340, v69
                                        ; implicit-def: $vgpr80
	s_waitcnt vmcnt(0) lgkmcnt(0)
	v_fma_mix_f32 v70, v1, s8, v76 op_sel_hi:[0,0,1]
	v_cndmask_b32_e32 v1, v39, v67, vcc_lo
	v_cmp_gt_i32_e32 vcc_lo, 32, v63
	s_delay_alu instid0(VALU_DEP_2) | instskip(NEXT) | instid1(VALU_DEP_1)
	v_dual_add_f32 v2, 0x40051340, v70 :: v_dual_lshlrev_b32 v77, 2, v1
	v_max3_f32 v0, v61, v0, v2
	ds_bpermute_b32 v1, v77, v0
	v_cndmask_b32_e32 v2, v39, v63, vcc_lo
	v_cmp_gt_i32_e32 vcc_lo, 32, v64
	s_waitcnt lgkmcnt(0)
	s_delay_alu instid0(VALU_DEP_2) | instskip(SKIP_2) | instid1(VALU_DEP_2)
	v_dual_max_f32 v1, v1, v1 :: v_dual_lshlrev_b32 v78, 2, v2
	v_cndmask_b32_e32 v2, v39, v64, vcc_lo
	v_cmp_gt_i32_e32 vcc_lo, 32, v65
	v_dual_max_f32 v0, v0, v1 :: v_dual_lshlrev_b32 v79, 2, v2
	v_cndmask_b32_e32 v2, v39, v65, vcc_lo
	v_cmp_gt_i32_e32 vcc_lo, 32, v66
	ds_bpermute_b32 v1, v78, v0
	s_waitcnt lgkmcnt(0)
	v_dual_max_f32 v1, v1, v1 :: v_dual_lshlrev_b32 v68, 2, v2
	s_delay_alu instid0(VALU_DEP_1) | instskip(SKIP_3) | instid1(VALU_DEP_1)
	v_max_f32_e32 v0, v0, v1
	ds_bpermute_b32 v1, v79, v0
	s_waitcnt lgkmcnt(0)
	v_max_f32_e32 v1, v1, v1
	v_max_f32_e32 v0, v0, v1
	ds_bpermute_b32 v1, v68, v0
	s_waitcnt lgkmcnt(0)
	v_dual_max_f32 v1, v1, v1 :: v_dual_cndmask_b32 v2, v39, v66
	s_delay_alu instid0(VALU_DEP_1) | instskip(SKIP_2) | instid1(SALU_CYCLE_1)
	v_dual_max_f32 v71, v0, v1 :: v_dual_lshlrev_b32 v72, 2, v2
	ds_bpermute_b32 v73, v72, v71
	s_and_saveexec_b32 s20, s19
	s_xor_b32 s19, exec_lo, s20
	s_cbranch_execz .LBB78_19
; %bb.18:                               ;   in Loop: Header=BB78_9 Depth=1
	v_add_f32_e64 v0, |v35|, |v35|
	s_delay_alu instid0(VALU_DEP_1) | instskip(SKIP_1) | instid1(VALU_DEP_2)
	v_mul_f32_e32 v1, 0x3fb8aa3b, v0
	v_cmp_ngt_f32_e32 vcc_lo, 0xc2ce8ed0, v0
	v_rndne_f32_e32 v2, v1
	v_fma_f32 v3, 0x3fb8aa3b, v0, -v1
	s_delay_alu instid0(VALU_DEP_2) | instskip(NEXT) | instid1(VALU_DEP_2)
	v_sub_f32_e32 v1, v1, v2
	v_fmac_f32_e32 v3, 0x32a5705f, v0
	v_cvt_i32_f32_e32 v2, v2
	s_delay_alu instid0(VALU_DEP_2) | instskip(NEXT) | instid1(VALU_DEP_1)
	v_add_f32_e32 v1, v1, v3
	v_exp_f32_e32 v1, v1
	s_waitcnt_depctr 0xfff
	v_ldexp_f32 v1, v1, v2
	s_delay_alu instid0(VALU_DEP_1) | instskip(SKIP_1) | instid1(VALU_DEP_2)
	v_cndmask_b32_e32 v1, 0, v1, vcc_lo
	v_cmp_nlt_f32_e32 vcc_lo, 0x42b17218, v0
	v_cndmask_b32_e32 v0, 0x7f800000, v1, vcc_lo
	s_delay_alu instid0(VALU_DEP_1) | instskip(NEXT) | instid1(VALU_DEP_1)
	v_add_f32_e32 v0, 1.0, v0
	v_rcp_f32_e32 v0, v0
	s_waitcnt_depctr 0xfff
	v_fma_f32 v80, v0, -2.0, 1.0
.LBB78_19:                              ;   in Loop: Header=BB78_9 Depth=1
	s_and_not1_saveexec_b32 s19, s19
; %bb.20:                               ;   in Loop: Header=BB78_9 Depth=1
	v_mul_f32_e32 v0, v35, v35
	s_delay_alu instid0(VALU_DEP_1) | instskip(NEXT) | instid1(VALU_DEP_1)
	v_fmaak_f32 v1, s18, v0, 0x3ca908c9
	v_fmaak_f32 v1, v0, v1, 0xbd5c1c4e
	s_delay_alu instid0(VALU_DEP_1) | instskip(NEXT) | instid1(VALU_DEP_1)
	v_fmaak_f32 v1, v0, v1, 0x3e088382
	v_fmaak_f32 v1, v0, v1, 0xbeaaaa99
	s_delay_alu instid0(VALU_DEP_1) | instskip(NEXT) | instid1(VALU_DEP_1)
	v_mul_f32_e64 v1, |v35|, v1
	v_fma_f32 v80, v0, v1, |v35|
; %bb.21:                               ;   in Loop: Header=BB78_9 Depth=1
	s_or_b32 exec_lo, exec_lo, s19
	v_cmp_ngt_f32_e64 s19, 0x3f200000, |v36|
                                        ; implicit-def: $vgpr81
	s_delay_alu instid0(VALU_DEP_1) | instskip(NEXT) | instid1(SALU_CYCLE_1)
	s_and_saveexec_b32 s20, s19
	s_xor_b32 s19, exec_lo, s20
	s_cbranch_execz .LBB78_23
; %bb.22:                               ;   in Loop: Header=BB78_9 Depth=1
	v_add_f32_e64 v0, |v36|, |v36|
	s_delay_alu instid0(VALU_DEP_1) | instskip(SKIP_1) | instid1(VALU_DEP_2)
	v_mul_f32_e32 v1, 0x3fb8aa3b, v0
	v_cmp_ngt_f32_e32 vcc_lo, 0xc2ce8ed0, v0
	v_rndne_f32_e32 v2, v1
	v_fma_f32 v3, 0x3fb8aa3b, v0, -v1
	s_delay_alu instid0(VALU_DEP_2) | instskip(NEXT) | instid1(VALU_DEP_2)
	v_sub_f32_e32 v1, v1, v2
	v_fmac_f32_e32 v3, 0x32a5705f, v0
	v_cvt_i32_f32_e32 v2, v2
	s_delay_alu instid0(VALU_DEP_2) | instskip(NEXT) | instid1(VALU_DEP_1)
	v_add_f32_e32 v1, v1, v3
	v_exp_f32_e32 v1, v1
	s_waitcnt_depctr 0xfff
	v_ldexp_f32 v1, v1, v2
	s_delay_alu instid0(VALU_DEP_1) | instskip(SKIP_1) | instid1(VALU_DEP_2)
	v_cndmask_b32_e32 v1, 0, v1, vcc_lo
	v_cmp_nlt_f32_e32 vcc_lo, 0x42b17218, v0
	v_cndmask_b32_e32 v0, 0x7f800000, v1, vcc_lo
	s_delay_alu instid0(VALU_DEP_1) | instskip(NEXT) | instid1(VALU_DEP_1)
	v_add_f32_e32 v0, 1.0, v0
	v_rcp_f32_e32 v0, v0
	s_waitcnt_depctr 0xfff
	v_fma_f32 v81, v0, -2.0, 1.0
.LBB78_23:                              ;   in Loop: Header=BB78_9 Depth=1
	s_and_not1_saveexec_b32 s19, s19
; %bb.24:                               ;   in Loop: Header=BB78_9 Depth=1
	v_mul_f32_e32 v0, v36, v36
	s_delay_alu instid0(VALU_DEP_1) | instskip(NEXT) | instid1(VALU_DEP_1)
	v_fmaak_f32 v1, s18, v0, 0x3ca908c9
	v_fmaak_f32 v1, v0, v1, 0xbd5c1c4e
	s_delay_alu instid0(VALU_DEP_1) | instskip(NEXT) | instid1(VALU_DEP_1)
	v_fmaak_f32 v1, v0, v1, 0x3e088382
	v_fmaak_f32 v1, v0, v1, 0xbeaaaa99
	s_delay_alu instid0(VALU_DEP_1) | instskip(NEXT) | instid1(VALU_DEP_1)
	v_mul_f32_e64 v1, |v36|, v1
	v_fma_f32 v81, v0, v1, |v36|
; %bb.25:                               ;   in Loop: Header=BB78_9 Depth=1
	s_or_b32 exec_lo, exec_lo, s19
	s_mul_hi_i32 s21, s3, s10
	s_mul_i32 s20, s3, s10
	s_waitcnt lgkmcnt(0)
	s_lshl_b64 s[20:21], s[20:21], 2
	s_barrier
	s_add_u32 s19, s11, s20
	s_addc_u32 s20, s17, s21
	v_add_co_u32 v0, vcc_lo, s19, v27
	v_add_co_ci_u32_e32 v1, vcc_lo, s20, v28, vcc_lo
	v_add_co_u32 v2, vcc_lo, s19, v29
	v_add_co_ci_u32_e32 v3, vcc_lo, s20, v30, vcc_lo
	s_delay_alu instid0(VALU_DEP_4) | instskip(NEXT) | instid1(VALU_DEP_4)
	v_add_co_u32 v0, vcc_lo, v0, v54
	v_add_co_ci_u32_e32 v1, vcc_lo, 0, v1, vcc_lo
	s_delay_alu instid0(VALU_DEP_4) | instskip(NEXT) | instid1(VALU_DEP_4)
	v_add_co_u32 v4, vcc_lo, v2, v54
	v_add_co_ci_u32_e32 v5, vcc_lo, 0, v3, vcc_lo
	v_add_co_u32 v2, vcc_lo, s19, v31
	v_add_co_ci_u32_e32 v3, vcc_lo, s20, v32, vcc_lo
	;; [unrolled: 2-line block ×3, first 2 shown]
	s_delay_alu instid0(VALU_DEP_4) | instskip(NEXT) | instid1(VALU_DEP_4)
	v_add_co_u32 v8, vcc_lo, v2, v54
	v_add_co_ci_u32_e32 v9, vcc_lo, 0, v3, vcc_lo
	s_delay_alu instid0(VALU_DEP_4) | instskip(NEXT) | instid1(VALU_DEP_4)
	v_add_co_u32 v12, vcc_lo, v6, v54
	v_add_co_ci_u32_e32 v13, vcc_lo, 0, v7, vcc_lo
	buffer_gl0_inv
	s_clause 0x3
	global_load_b128 v[0:3], v[0:1], off
	global_load_b128 v[4:7], v[4:5], off
	global_load_b128 v[8:11], v[8:9], off
	global_load_b128 v[12:15], v[12:13], off
	v_cvt_f32_f16_e32 v75, v74
	v_cvt_f32_f16_e32 v74, v76
	v_bfi_b32 v35, 0x7fffffff, v80, v35
	v_bfi_b32 v36, 0x7fffffff, v81, v36
	v_max_f32_e32 v76, v73, v73
	s_or_b32 s19, s3, 32
	s_delay_alu instid0(VALU_DEP_2) | instskip(SKIP_2) | instid1(VALU_DEP_1)
	v_dual_fmac_f32 v75, s8, v35 :: v_dual_fmac_f32 v74, s8, v36
	s_mul_hi_i32 s21, s19, s10
	s_mul_i32 s20, s19, s10
	v_dual_add_f32 v35, 0x40051340, v75 :: v_dual_add_f32 v36, 0x40051340, v74
	s_lshl_b64 s[20:21], s[20:21], 2
	s_delay_alu instid0(SALU_CYCLE_1) | instskip(SKIP_1) | instid1(VALU_DEP_1)
	s_add_u32 s19, s11, s20
	s_addc_u32 s20, s17, s21
	v_max3_f32 v35, v62, v35, v36
	ds_bpermute_b32 v36, v77, v35
	s_waitcnt lgkmcnt(0)
	v_dual_max_f32 v77, v71, v71 :: v_dual_max_f32 v36, v36, v36
	s_delay_alu instid0(VALU_DEP_1) | instskip(SKIP_4) | instid1(VALU_DEP_1)
	v_max_f32_e32 v35, v35, v36
	ds_bpermute_b32 v36, v78, v35
	v_add_nc_u32_e32 v78, v48, v38
	s_waitcnt lgkmcnt(0)
	v_max_f32_e32 v36, v36, v36
	v_max_f32_e32 v35, v35, v36
	ds_bpermute_b32 v36, v79, v35
	s_waitcnt lgkmcnt(0)
	v_max_f32_e32 v36, v36, v36
	s_delay_alu instid0(VALU_DEP_1) | instskip(SKIP_3) | instid1(VALU_DEP_1)
	v_max_f32_e32 v35, v35, v36
	ds_bpermute_b32 v36, v68, v35
	s_waitcnt lgkmcnt(0)
	v_max_f32_e32 v36, v36, v36
	v_max_f32_e32 v36, v35, v36
	v_max_f32_e32 v35, v77, v76
	v_add_nc_u32_e32 v73, 0x800, v52
	v_add_co_u32 v76, vcc_lo, s19, v27
	ds_bpermute_b32 v72, v72, v36
	v_sub_f32_e32 v70, v70, v35
	v_add_co_ci_u32_e32 v77, vcc_lo, s20, v28, vcc_lo
	v_add_co_u32 v79, vcc_lo, s19, v29
	s_delay_alu instid0(VALU_DEP_3) | instskip(SKIP_2) | instid1(VALU_DEP_3)
	v_mul_f32_e32 v83, 0x3fb8aa3b, v70
	v_add_co_ci_u32_e32 v80, vcc_lo, s20, v30, vcc_lo
	v_add_co_u32 v81, vcc_lo, s19, v31
	v_rndne_f32_e32 v87, v83
	v_add_nc_u32_e32 v71, 0x1000, v52
	v_add_co_ci_u32_e32 v82, vcc_lo, s20, v32, vcc_lo
	v_add_co_u32 v85, vcc_lo, s19, v33
	v_add_co_ci_u32_e32 v86, vcc_lo, s20, v34, vcc_lo
	v_add_co_u32 v159, vcc_lo, v76, v54
	s_waitcnt lgkmcnt(0)
	v_max_f32_e32 v72, v72, v72
	v_add_co_ci_u32_e32 v160, vcc_lo, 0, v77, vcc_lo
	v_cmp_ngt_f32_e32 vcc_lo, 0xc2ce8ed0, v70
	s_delay_alu instid0(VALU_DEP_3) | instskip(SKIP_1) | instid1(VALU_DEP_2)
	v_max_f32_e32 v36, v36, v72
	v_fma_f32 v72, 0x3fb8aa3b, v70, -v83
	v_sub_f32_e32 v90, v74, v36
	s_delay_alu instid0(VALU_DEP_2) | instskip(SKIP_2) | instid1(VALU_DEP_3)
	v_dual_fmac_f32 v72, 0x32a5705f, v70 :: v_dual_sub_f32 v69, v69, v35
	v_sub_f32_e32 v74, v83, v87
	v_cvt_i32_f32_e32 v87, v87
	v_dual_mul_f32 v91, 0x3fb8aa3b, v90 :: v_dual_mul_f32 v84, 0x3fb8aa3b, v69
	s_delay_alu instid0(VALU_DEP_3) | instskip(NEXT) | instid1(VALU_DEP_2)
	v_add_f32_e32 v72, v74, v72
	v_fma_f32 v93, 0x3fb8aa3b, v90, -v91
	v_rndne_f32_e32 v94, v91
	s_delay_alu instid0(VALU_DEP_4) | instskip(SKIP_2) | instid1(VALU_DEP_2)
	v_fma_f32 v88, 0x3fb8aa3b, v69, -v84
	v_rndne_f32_e32 v89, v84
	v_exp_f32_e32 v72, v72
	v_dual_fmac_f32 v93, 0x32a5705f, v90 :: v_dual_fmac_f32 v88, 0x32a5705f, v69
	s_delay_alu instid0(VALU_DEP_2) | instskip(SKIP_1) | instid1(VALU_DEP_2)
	v_sub_f32_e32 v84, v84, v89
	v_cvt_i32_f32_e32 v89, v89
	v_add_f32_e32 v84, v84, v88
	s_waitcnt_depctr 0xfff
	v_ldexp_f32 v72, v72, v87
	v_sub_f32_e32 v88, v91, v94
	v_add_nc_u32_e32 v68, 0x1800, v52
	v_exp_f32_e32 v84, v84
	s_delay_alu instid0(VALU_DEP_3) | instskip(SKIP_4) | instid1(VALU_DEP_2)
	v_cndmask_b32_e32 v72, 0, v72, vcc_lo
	v_cmp_ngt_f32_e32 vcc_lo, 0xc2ce8ed0, v69
	s_waitcnt_depctr 0xfff
	v_ldexp_f32 v77, v84, v89
	v_cvt_i32_f32_e32 v84, v94
	v_cndmask_b32_e32 v77, 0, v77, vcc_lo
	v_sub_f32_e32 v75, v75, v36
	v_cmp_nlt_f32_e32 vcc_lo, 0x42b17218, v70
	s_delay_alu instid0(VALU_DEP_2) | instskip(SKIP_2) | instid1(VALU_DEP_3)
	v_mul_f32_e32 v83, 0x3fb8aa3b, v75
	v_cndmask_b32_e32 v72, 0x7f800000, v72, vcc_lo
	v_cmp_ngt_f32_e32 vcc_lo, 0xc2ce8ed0, v75
	v_fma_f32 v74, 0x3fb8aa3b, v75, -v83
	v_rndne_f32_e32 v92, v83
	s_delay_alu instid0(VALU_DEP_1) | instskip(NEXT) | instid1(VALU_DEP_1)
	v_dual_fmac_f32 v74, 0x32a5705f, v75 :: v_dual_sub_f32 v83, v83, v92
	v_dual_add_f32 v74, v83, v74 :: v_dual_add_f32 v83, v88, v93
	s_delay_alu instid0(VALU_DEP_1) | instskip(NEXT) | instid1(VALU_DEP_1)
	v_exp_f32_e32 v74, v74
	v_exp_f32_e32 v76, v83
	v_cvt_i32_f32_e32 v83, v92
	s_waitcnt_depctr 0xfff
	v_ldexp_f32 v74, v74, v83
	v_ldexp_f32 v76, v76, v84
	s_delay_alu instid0(VALU_DEP_2) | instskip(SKIP_1) | instid1(VALU_DEP_3)
	v_cndmask_b32_e32 v70, 0, v74, vcc_lo
	v_cmp_ngt_f32_e32 vcc_lo, 0xc2ce8ed0, v90
	v_cndmask_b32_e32 v76, 0, v76, vcc_lo
	v_cmp_nlt_f32_e32 vcc_lo, 0x42b17218, v69
	v_cndmask_b32_e32 v74, 0x7f800000, v77, vcc_lo
	v_cmp_nlt_f32_e32 vcc_lo, 0x42b17218, v75
	v_cvt_f16_f32_e32 v75, v72
	v_cndmask_b32_e32 v69, 0x7f800000, v70, vcc_lo
	v_cmp_nlt_f32_e32 vcc_lo, 0x42b17218, v90
	s_delay_alu instid0(VALU_DEP_2) | instskip(SKIP_4) | instid1(VALU_DEP_4)
	v_cvt_f16_f32_e32 v77, v69
	v_cndmask_b32_e32 v70, 0x7f800000, v76, vcc_lo
	v_add_co_u32 v163, vcc_lo, v79, v54
	v_cvt_f16_f32_e32 v76, v74
	v_add_co_ci_u32_e32 v164, vcc_lo, 0, v80, vcc_lo
	v_cvt_f16_f32_e32 v79, v70
	v_add_co_u32 v167, vcc_lo, v81, v54
	v_add_co_ci_u32_e32 v168, vcc_lo, 0, v82, vcc_lo
	v_pack_b32_f16 v76, v76, v77
	s_delay_alu instid0(VALU_DEP_4)
	v_pack_b32_f16 v75, v75, v79
	v_add_co_u32 v171, vcc_lo, v85, v54
	v_add_co_ci_u32_e32 v172, vcc_lo, 0, v86, vcc_lo
	ds_store_2addr_b32 v78, v76, v75 offset1:32
	s_waitcnt vmcnt(3)
	ds_store_b128 v47, v[0:3]
	s_waitcnt vmcnt(2)
	ds_store_b128 v49, v[4:7]
	;; [unrolled: 2-line block ×4, first 2 shown]
	s_waitcnt lgkmcnt(0)
	s_barrier
	buffer_gl0_inv
	ds_load_2addr_b64 v[2:5], v52 offset1:32
	ds_load_b128 v[6:9], v48
	ds_load_b128 v[10:13], v48 offset:16
	ds_load_b128 v[75:78], v48 offset:32
	;; [unrolled: 1-line block ×3, first 2 shown]
	ds_load_2addr_b64 v[83:86], v52 offset0:64 offset1:96
	ds_load_2addr_b64 v[87:90], v52 offset0:128 offset1:160
	;; [unrolled: 1-line block ×3, first 2 shown]
	ds_load_2addr_b64 v[95:98], v73 offset1:32
	ds_load_2addr_b64 v[99:102], v73 offset0:64 offset1:96
	ds_load_2addr_b64 v[103:106], v73 offset0:128 offset1:160
	;; [unrolled: 1-line block ×3, first 2 shown]
	ds_load_2addr_b64 v[111:114], v71 offset1:32
	ds_load_2addr_b64 v[115:118], v71 offset0:64 offset1:96
	ds_load_2addr_b64 v[119:122], v71 offset0:128 offset1:160
	ds_load_b128 v[123:126], v48 offset:64
	ds_load_b128 v[127:130], v48 offset:80
	ds_load_2addr_b64 v[131:134], v71 offset0:192 offset1:224
	ds_load_2addr_b64 v[135:138], v68 offset1:32
	ds_load_2addr_b64 v[139:142], v68 offset0:64 offset1:96
	ds_load_2addr_b64 v[143:146], v68 offset0:128 offset1:160
	ds_load_b128 v[147:150], v48 offset:96
	ds_load_b128 v[151:154], v48 offset:112
	ds_load_2addr_b64 v[155:158], v68 offset0:192 offset1:224
	s_waitcnt lgkmcnt(0)
	s_barrier
	buffer_gl0_inv
	s_clause 0x3
	global_load_b128 v[159:162], v[159:160], off
	global_load_b128 v[163:166], v[163:164], off
	;; [unrolled: 1-line block ×4, first 2 shown]
	v_dual_sub_f32 v0, v62, v36 :: v_dual_sub_f32 v1, v61, v35
	s_waitcnt vmcnt(3)
	ds_store_b128 v47, v[159:162]
	s_waitcnt vmcnt(2)
	ds_store_b128 v49, v[163:166]
	;; [unrolled: 2-line block ×4, first 2 shown]
	v_dual_mul_f32 v14, 0x3fb8aa3b, v0 :: v_dual_mul_f32 v15, 0x3fb8aa3b, v1
	v_cmp_ngt_f32_e32 vcc_lo, 0xc2ce8ed0, v0
	s_waitcnt lgkmcnt(0)
	s_barrier
	s_delay_alu instid0(VALU_DEP_2)
	v_fma_f32 v61, 0x3fb8aa3b, v0, -v14
	v_rndne_f32_e32 v62, v14
	v_fma_f32 v175, 0x3fb8aa3b, v1, -v15
	v_rndne_f32_e32 v176, v15
	buffer_gl0_inv
	v_dual_fmac_f32 v61, 0x32a5705f, v0 :: v_dual_sub_f32 v14, v14, v62
	v_fmac_f32_e32 v175, 0x32a5705f, v1
	s_delay_alu instid0(VALU_DEP_2) | instskip(SKIP_1) | instid1(VALU_DEP_2)
	v_dual_sub_f32 v15, v15, v176 :: v_dual_add_f32 v14, v14, v61
	v_cvt_i32_f32_e32 v61, v62
	v_add_f32_e32 v15, v15, v175
	v_cvt_i32_f32_e32 v62, v176
	s_delay_alu instid0(VALU_DEP_4) | instskip(NEXT) | instid1(VALU_DEP_2)
	v_exp_f32_e32 v14, v14
	v_exp_f32_e32 v15, v15
	s_waitcnt_depctr 0xfff
	v_ldexp_f32 v14, v14, v61
	v_pk_mul_f16 v61, v2, v6 op_sel_hi:[1,0]
	v_ldexp_f32 v15, v15, v62
	v_pk_mul_f16 v2, v2, v6 op_sel:[0,1]
	v_pk_mul_f16 v62, v3, v6 op_sel_hi:[1,0]
	v_cndmask_b32_e32 v14, 0, v14, vcc_lo
	v_cmp_ngt_f32_e32 vcc_lo, 0xc2ce8ed0, v1
	v_cndmask_b32_e32 v15, 0, v15, vcc_lo
	v_cmp_nlt_f32_e32 vcc_lo, 0x42b17218, v0
	s_delay_alu instid0(VALU_DEP_4) | instskip(SKIP_1) | instid1(VALU_DEP_2)
	v_cndmask_b32_e32 v0, 0x7f800000, v14, vcc_lo
	v_cmp_nlt_f32_e32 vcc_lo, 0x42b17218, v1
	v_cvt_f16_f32_e32 v14, v0
	v_cndmask_b32_e32 v1, 0x7f800000, v15, vcc_lo
	s_delay_alu instid0(VALU_DEP_2) | instskip(NEXT) | instid1(VALU_DEP_2)
	v_pk_mul_f16 v55, v14, v55 op_sel_hi:[0,1]
	v_cvt_f16_f32_e32 v15, v1
	v_pk_fma_f16 v2, v58, v14, v2 op_sel_hi:[1,0,1]
	s_delay_alu instid0(VALU_DEP_3) | instskip(NEXT) | instid1(VALU_DEP_3)
	v_pk_fma_f16 v3, v3, v6, v55 op_sel:[0,1,0]
	v_pk_fma_f16 v6, v15, v59, v61 op_sel_hi:[0,1,1]
	v_pk_fma_f16 v14, v15, v60, v62 op_sel_hi:[0,1,1]
	s_delay_alu instid0(VALU_DEP_4) | instskip(NEXT) | instid1(VALU_DEP_4)
	v_pk_fma_f16 v2, v4, v7, v2 op_sel:[0,1,0]
	v_pk_fma_f16 v3, v5, v7, v3 op_sel:[0,1,0]
	s_delay_alu instid0(VALU_DEP_4) | instskip(NEXT) | instid1(VALU_DEP_4)
	v_pk_fma_f16 v6, v4, v7, v6 op_sel_hi:[1,0,1]
	v_pk_fma_f16 v4, v5, v7, v14 op_sel_hi:[1,0,1]
	s_delay_alu instid0(VALU_DEP_4) | instskip(NEXT) | instid1(VALU_DEP_4)
	v_pk_fma_f16 v2, v83, v8, v2 op_sel:[0,1,0]
	v_pk_fma_f16 v3, v84, v8, v3 op_sel:[0,1,0]
	s_delay_alu instid0(VALU_DEP_4) | instskip(NEXT) | instid1(VALU_DEP_4)
	;; [unrolled: 6-line block ×27, first 2 shown]
	v_pk_fma_f16 v5, v141, v150, v5 op_sel_hi:[1,0,1]
	v_pk_fma_f16 v11, v142, v150, v4 op_sel_hi:[1,0,1]
	s_delay_alu instid0(VALU_DEP_4) | instskip(NEXT) | instid1(VALU_DEP_4)
	v_pk_fma_f16 v10, v143, v151, v10 op_sel:[0,1,0]
	v_pk_fma_f16 v12, v144, v151, v3 op_sel:[0,1,0]
	s_delay_alu instid0(VALU_DEP_4)
	v_pk_fma_f16 v13, v143, v151, v5 op_sel_hi:[1,0,1]
	ds_load_2addr_b64 v[2:5], v52 offset1:32
	ds_load_b128 v[6:9], v48 offset:128
	v_pk_fma_f16 v11, v144, v151, v11 op_sel_hi:[1,0,1]
	v_pk_fma_f16 v14, v145, v152, v10 op_sel:[0,1,0]
	v_pk_fma_f16 v12, v146, v152, v12 op_sel:[0,1,0]
	v_pk_fma_f16 v13, v145, v152, v13 op_sel_hi:[1,0,1]
	s_delay_alu instid0(VALU_DEP_4) | instskip(NEXT) | instid1(VALU_DEP_4)
	v_pk_fma_f16 v15, v146, v152, v11 op_sel_hi:[1,0,1]
	v_pk_fma_f16 v14, v155, v153, v14 op_sel:[0,1,0]
	s_delay_alu instid0(VALU_DEP_4) | instskip(NEXT) | instid1(VALU_DEP_4)
	v_pk_fma_f16 v55, v156, v153, v12 op_sel:[0,1,0]
	v_pk_fma_f16 v58, v155, v153, v13 op_sel_hi:[1,0,1]
	ds_load_2addr_b64 v[10:13], v52 offset0:64 offset1:96
	v_pk_fma_f16 v15, v156, v153, v15 op_sel_hi:[1,0,1]
	v_pk_fma_f16 v14, v157, v154, v14 op_sel:[0,1,0]
	v_pk_fma_f16 v55, v158, v154, v55 op_sel:[0,1,0]
	v_pk_fma_f16 v62, v157, v154, v58 op_sel_hi:[1,0,1]
	ds_load_b128 v[58:61], v48 offset:144
	ds_load_2addr_b64 v[75:78], v52 offset0:128 offset1:160
	v_pk_fma_f16 v15, v158, v154, v15 op_sel_hi:[1,0,1]
	ds_load_2addr_b64 v[79:82], v73 offset1:32
	ds_load_2addr_b64 v[83:86], v73 offset0:128 offset1:160
	ds_load_2addr_b64 v[87:90], v68 offset0:192 offset1:224
	s_waitcnt lgkmcnt(6)
	v_pk_fma_f16 v62, v2, v6, v62 op_sel_hi:[1,0,1]
	v_pk_fma_f16 v2, v2, v6, v14 op_sel:[0,1,0]
	v_pk_fma_f16 v14, v3, v6, v15 op_sel_hi:[1,0,1]
	v_pk_fma_f16 v3, v3, v6, v55 op_sel:[0,1,0]
	s_delay_alu instid0(VALU_DEP_4) | instskip(NEXT) | instid1(VALU_DEP_4)
	v_pk_fma_f16 v6, v4, v7, v62 op_sel_hi:[1,0,1]
	v_pk_fma_f16 v15, v4, v7, v2 op_sel:[0,1,0]
	s_delay_alu instid0(VALU_DEP_4) | instskip(NEXT) | instid1(VALU_DEP_4)
	v_pk_fma_f16 v14, v5, v7, v14 op_sel_hi:[1,0,1]
	v_pk_fma_f16 v7, v5, v7, v3 op_sel:[0,1,0]
	ds_load_2addr_b64 v[2:5], v52 offset0:192 offset1:224
	s_waitcnt lgkmcnt(6)
	v_pk_fma_f16 v6, v10, v8, v6 op_sel_hi:[1,0,1]
	v_pk_fma_f16 v10, v10, v8, v15 op_sel:[0,1,0]
	v_pk_fma_f16 v14, v11, v8, v14 op_sel_hi:[1,0,1]
	v_pk_fma_f16 v7, v11, v8, v7 op_sel:[0,1,0]
	s_delay_alu instid0(VALU_DEP_4) | instskip(NEXT) | instid1(VALU_DEP_4)
	v_pk_fma_f16 v6, v12, v9, v6 op_sel_hi:[1,0,1]
	v_pk_fma_f16 v10, v12, v9, v10 op_sel:[0,1,0]
	s_delay_alu instid0(VALU_DEP_4) | instskip(NEXT) | instid1(VALU_DEP_4)
	v_pk_fma_f16 v11, v13, v9, v14 op_sel_hi:[1,0,1]
	v_pk_fma_f16 v12, v13, v9, v7 op_sel:[0,1,0]
	s_waitcnt lgkmcnt(4)
	v_pk_fma_f16 v13, v75, v58, v6 op_sel_hi:[1,0,1]
	ds_load_b128 v[6:9], v48 offset:160
	v_pk_fma_f16 v14, v75, v58, v10 op_sel:[0,1,0]
	v_pk_fma_f16 v15, v76, v58, v11 op_sel_hi:[1,0,1]
	v_pk_fma_f16 v55, v76, v58, v12 op_sel:[0,1,0]
	v_pk_fma_f16 v58, v77, v59, v13 op_sel_hi:[1,0,1]
	ds_load_2addr_b64 v[10:13], v73 offset0:64 offset1:96
	v_pk_fma_f16 v14, v77, v59, v14 op_sel:[0,1,0]
	v_pk_fma_f16 v15, v78, v59, v15 op_sel_hi:[1,0,1]
	v_pk_fma_f16 v55, v78, v59, v55 op_sel:[0,1,0]
	ds_load_b128 v[75:78], v48 offset:176
	s_waitcnt lgkmcnt(3)
	v_pk_fma_f16 v58, v2, v60, v58 op_sel_hi:[1,0,1]
	v_pk_fma_f16 v2, v2, v60, v14 op_sel:[0,1,0]
	v_pk_fma_f16 v14, v3, v60, v15 op_sel_hi:[1,0,1]
	v_pk_fma_f16 v3, v3, v60, v55 op_sel:[0,1,0]
	s_delay_alu instid0(VALU_DEP_4) | instskip(NEXT) | instid1(VALU_DEP_4)
	v_pk_fma_f16 v15, v4, v61, v58 op_sel_hi:[1,0,1]
	v_pk_fma_f16 v2, v4, v61, v2 op_sel:[0,1,0]
	s_delay_alu instid0(VALU_DEP_4) | instskip(NEXT) | instid1(VALU_DEP_4)
	v_pk_fma_f16 v4, v5, v61, v14 op_sel_hi:[1,0,1]
	v_pk_fma_f16 v3, v5, v61, v3 op_sel:[0,1,0]
	ds_load_2addr_b64 v[58:61], v71 offset1:32
	s_waitcnt lgkmcnt(3)
	v_pk_fma_f16 v5, v79, v6, v15 op_sel_hi:[1,0,1]
	v_pk_fma_f16 v2, v79, v6, v2 op_sel:[0,1,0]
	v_pk_fma_f16 v4, v80, v6, v4 op_sel_hi:[1,0,1]
	v_pk_fma_f16 v3, v80, v6, v3 op_sel:[0,1,0]
	s_delay_alu instid0(VALU_DEP_4) | instskip(NEXT) | instid1(VALU_DEP_4)
	v_pk_fma_f16 v5, v81, v7, v5 op_sel_hi:[1,0,1]
	v_pk_fma_f16 v6, v81, v7, v2 op_sel:[0,1,0]
	s_delay_alu instid0(VALU_DEP_4) | instskip(NEXT) | instid1(VALU_DEP_4)
	v_pk_fma_f16 v14, v82, v7, v4 op_sel_hi:[1,0,1]
	v_pk_fma_f16 v7, v82, v7, v3 op_sel:[0,1,0]
	ds_load_2addr_b64 v[79:82], v71 offset0:128 offset1:160
	s_waitcnt lgkmcnt(3)
	v_pk_fma_f16 v15, v10, v8, v5 op_sel_hi:[1,0,1]
	ds_load_2addr_b64 v[2:5], v73 offset0:192 offset1:224
	v_pk_fma_f16 v6, v10, v8, v6 op_sel:[0,1,0]
	v_pk_fma_f16 v10, v11, v8, v14 op_sel_hi:[1,0,1]
	v_pk_fma_f16 v7, v11, v8, v7 op_sel:[0,1,0]
	v_pk_fma_f16 v8, v12, v9, v15 op_sel_hi:[1,0,1]
	s_delay_alu instid0(VALU_DEP_4) | instskip(NEXT) | instid1(VALU_DEP_4)
	v_pk_fma_f16 v11, v12, v9, v6 op_sel:[0,1,0]
	v_pk_fma_f16 v10, v13, v9, v10 op_sel_hi:[1,0,1]
	s_delay_alu instid0(VALU_DEP_4)
	v_pk_fma_f16 v12, v13, v9, v7 op_sel:[0,1,0]
	s_waitcnt lgkmcnt(3)
	v_pk_fma_f16 v13, v83, v75, v8 op_sel_hi:[1,0,1]
	ds_load_b128 v[6:9], v48 offset:192
	v_pk_fma_f16 v14, v83, v75, v11 op_sel:[0,1,0]
	v_pk_fma_f16 v15, v84, v75, v10 op_sel_hi:[1,0,1]
	v_pk_fma_f16 v55, v84, v75, v12 op_sel:[0,1,0]
	v_pk_fma_f16 v62, v85, v76, v13 op_sel_hi:[1,0,1]
	ds_load_2addr_b64 v[10:13], v71 offset0:64 offset1:96
	v_pk_fma_f16 v14, v85, v76, v14 op_sel:[0,1,0]
	v_pk_fma_f16 v15, v86, v76, v15 op_sel_hi:[1,0,1]
	v_pk_fma_f16 v55, v86, v76, v55 op_sel:[0,1,0]
	ds_load_b128 v[83:86], v48 offset:208
	s_waitcnt lgkmcnt(3)
	v_pk_fma_f16 v62, v2, v77, v62 op_sel_hi:[1,0,1]
	v_pk_fma_f16 v2, v2, v77, v14 op_sel:[0,1,0]
	v_pk_fma_f16 v14, v3, v77, v15 op_sel_hi:[1,0,1]
	v_pk_fma_f16 v3, v3, v77, v55 op_sel:[0,1,0]
	s_delay_alu instid0(VALU_DEP_4) | instskip(NEXT) | instid1(VALU_DEP_4)
	v_pk_fma_f16 v15, v4, v78, v62 op_sel_hi:[1,0,1]
	v_pk_fma_f16 v2, v4, v78, v2 op_sel:[0,1,0]
	s_delay_alu instid0(VALU_DEP_4) | instskip(NEXT) | instid1(VALU_DEP_4)
	v_pk_fma_f16 v14, v5, v78, v14 op_sel_hi:[1,0,1]
	v_pk_fma_f16 v3, v5, v78, v3 op_sel:[0,1,0]
	v_add_f32_e32 v4, v74, v72
	s_waitcnt lgkmcnt(2)
	v_pk_fma_f16 v5, v58, v6, v15 op_sel_hi:[1,0,1]
	v_pk_fma_f16 v2, v58, v6, v2 op_sel:[0,1,0]
	v_pk_fma_f16 v14, v59, v6, v14 op_sel_hi:[1,0,1]
	v_pk_fma_f16 v3, v59, v6, v3 op_sel:[0,1,0]
	ds_load_2addr_b64 v[71:74], v71 offset0:192 offset1:224
	v_pk_fma_f16 v5, v60, v7, v5 op_sel_hi:[1,0,1]
	v_pk_fma_f16 v2, v60, v7, v2 op_sel:[0,1,0]
	v_pk_fma_f16 v6, v61, v7, v14 op_sel_hi:[1,0,1]
	v_pk_fma_f16 v3, v61, v7, v3 op_sel:[0,1,0]
	ds_load_2addr_b64 v[58:61], v68 offset1:32
	s_waitcnt lgkmcnt(3)
	v_pk_fma_f16 v5, v10, v8, v5 op_sel_hi:[1,0,1]
	v_pk_fma_f16 v2, v10, v8, v2 op_sel:[0,1,0]
	v_pk_fma_f16 v10, v11, v8, v6 op_sel_hi:[1,0,1]
	v_pk_fma_f16 v3, v11, v8, v3 op_sel:[0,1,0]
	ds_load_2addr_b64 v[75:78], v68 offset0:128 offset1:160
	v_pk_fma_f16 v11, v12, v9, v5 op_sel_hi:[1,0,1]
	v_pk_fma_f16 v2, v12, v9, v2 op_sel:[0,1,0]
	v_pk_fma_f16 v14, v13, v9, v10 op_sel_hi:[1,0,1]
	v_pk_fma_f16 v3, v13, v9, v3 op_sel:[0,1,0]
	ds_load_2addr_b64 v[5:8], v68 offset0:64 offset1:96
	s_waitcnt lgkmcnt(4)
	v_pk_fma_f16 v13, v79, v83, v11 op_sel_hi:[1,0,1]
	ds_load_b128 v[9:12], v48 offset:224
	v_pk_fma_f16 v2, v79, v83, v2 op_sel:[0,1,0]
	v_pk_fma_f16 v14, v80, v83, v14 op_sel_hi:[1,0,1]
	v_pk_fma_f16 v3, v80, v83, v3 op_sel:[0,1,0]
	v_pk_fma_f16 v13, v81, v84, v13 op_sel_hi:[1,0,1]
	v_fmac_f32_e32 v4, v57, v1
	v_pk_fma_f16 v2, v81, v84, v2 op_sel:[0,1,0]
	v_pk_fma_f16 v14, v82, v84, v14 op_sel_hi:[1,0,1]
	v_pk_fma_f16 v3, v82, v84, v3 op_sel:[0,1,0]
	ds_load_b128 v[79:82], v48 offset:240
	s_waitcnt lgkmcnt(5)
	v_pk_fma_f16 v13, v71, v85, v13 op_sel_hi:[1,0,1]
	v_pk_fma_f16 v2, v71, v85, v2 op_sel:[0,1,0]
	v_pk_fma_f16 v14, v72, v85, v14 op_sel_hi:[1,0,1]
	v_pk_fma_f16 v3, v72, v85, v3 op_sel:[0,1,0]
	s_waitcnt lgkmcnt(0)
	v_pk_fma_f16 v13, v73, v86, v13 op_sel_hi:[1,0,1]
	v_pk_fma_f16 v2, v73, v86, v2 op_sel:[0,1,0]
	v_pk_fma_f16 v14, v74, v86, v14 op_sel_hi:[1,0,1]
	v_pk_fma_f16 v3, v74, v86, v3 op_sel:[0,1,0]
	s_barrier
	v_pk_fma_f16 v13, v58, v9, v13 op_sel_hi:[1,0,1]
	v_pk_fma_f16 v2, v58, v9, v2 op_sel:[0,1,0]
	v_pk_fma_f16 v14, v59, v9, v14 op_sel_hi:[1,0,1]
	v_pk_fma_f16 v3, v59, v9, v3 op_sel:[0,1,0]
	buffer_gl0_inv
	v_pk_fma_f16 v9, v60, v10, v13 op_sel_hi:[1,0,1]
	v_pk_fma_f16 v2, v60, v10, v2 op_sel:[0,1,0]
	v_pk_fma_f16 v13, v61, v10, v14 op_sel_hi:[1,0,1]
	v_pk_fma_f16 v3, v61, v10, v3 op_sel:[0,1,0]
	s_load_b32 s19, s[4:5], 0x4
	v_pk_fma_f16 v9, v5, v11, v9 op_sel_hi:[1,0,1]
	v_pk_fma_f16 v2, v5, v11, v2 op_sel:[0,1,0]
	v_pk_fma_f16 v5, v6, v11, v13 op_sel_hi:[1,0,1]
	v_pk_fma_f16 v3, v6, v11, v3 op_sel:[0,1,0]
	s_delay_alu instid0(VALU_DEP_4) | instskip(NEXT) | instid1(VALU_DEP_4)
	v_pk_fma_f16 v6, v7, v12, v9 op_sel_hi:[1,0,1]
	v_pk_fma_f16 v2, v7, v12, v2 op_sel:[0,1,0]
	s_delay_alu instid0(VALU_DEP_4) | instskip(NEXT) | instid1(VALU_DEP_4)
	;; [unrolled: 3-line block ×4, first 2 shown]
	v_pk_fma_f16 v6, v76, v79, v5 op_sel_hi:[1,0,1]
	v_pk_fma_f16 v3, v76, v79, v3 op_sel:[0,1,0]
	v_add_f32_e32 v5, v69, v70
	v_pk_fma_f16 v1, v77, v80, v1 op_sel_hi:[1,0,1]
	v_pk_fma_f16 v2, v77, v80, v2 op_sel:[0,1,0]
	v_pk_fma_f16 v6, v78, v80, v6 op_sel_hi:[1,0,1]
	v_pk_fma_f16 v3, v78, v80, v3 op_sel:[0,1,0]
	v_fmac_f32_e32 v5, v56, v0
	v_pk_fma_f16 v0, v87, v81, v1 op_sel_hi:[1,0,1]
	v_pk_fma_f16 v1, v87, v81, v2 op_sel:[0,1,0]
	v_pk_fma_f16 v2, v88, v81, v6 op_sel_hi:[1,0,1]
	v_pk_fma_f16 v3, v88, v81, v3 op_sel:[0,1,0]
	s_waitcnt lgkmcnt(0)
	s_lshl_b32 s19, s19, 6
	v_pk_fma_f16 v59, v89, v82, v0 op_sel_hi:[1,0,1]
	v_pk_fma_f16 v58, v89, v82, v1 op_sel:[0,1,0]
	v_pk_fma_f16 v60, v90, v82, v2 op_sel_hi:[1,0,1]
	v_pk_fma_f16 v55, v90, v82, v3 op_sel:[0,1,0]
	s_add_i32 s3, s19, s3
	s_delay_alu instid0(SALU_CYCLE_1)
	s_cmp_ge_i32 s3, s2
	s_cbranch_scc1 .LBB78_27
; %bb.26:                               ;   in Loop: Header=BB78_9 Depth=1
	v_dual_mov_b32 v61, v35 :: v_dual_mov_b32 v62, v36
	v_dual_mov_b32 v57, v4 :: v_dual_mov_b32 v56, v5
	s_branch .LBB78_9
.LBB78_27:
	v_mov_b32_e32 v0, v39
.LBB78_28:
	v_cmp_lt_i32_e32 vcc_lo, v67, v40
	s_cmp_lg_u64 s[24:25], 0
	s_cselect_b32 s2, -1, 0
	s_cmp_eq_u32 s14, 0
	v_cndmask_b32_e32 v1, v0, v67, vcc_lo
	v_cmp_lt_i32_e32 vcc_lo, v63, v40
	s_cselect_b32 s3, -1, 0
	s_delay_alu instid0(SALU_CYCLE_1) | instskip(NEXT) | instid1(VALU_DEP_2)
	s_and_b32 s2, s3, s2
	v_lshlrev_b32_e32 v1, 2, v1
	v_cndmask_b32_e32 v3, v0, v63, vcc_lo
	v_cmp_lt_i32_e32 vcc_lo, v64, v40
	ds_bpermute_b32 v2, v1, v4
	s_waitcnt lgkmcnt(0)
	v_dual_add_f32 v2, v4, v2 :: v_dual_lshlrev_b32 v3, 2, v3
	ds_bpermute_b32 v1, v1, v5
	ds_bpermute_b32 v4, v3, v2
	s_waitcnt lgkmcnt(0)
	v_dual_add_f32 v2, v2, v4 :: v_dual_add_f32 v1, v5, v1
	v_cndmask_b32_e32 v5, v0, v64, vcc_lo
	v_cmp_lt_i32_e32 vcc_lo, v65, v40
	ds_bpermute_b32 v3, v3, v1
	v_lshlrev_b32_e32 v5, 2, v5
	s_waitcnt lgkmcnt(0)
	v_add_f32_e32 v1, v1, v3
	ds_bpermute_b32 v3, v5, v2
	ds_bpermute_b32 v4, v5, v1
	v_cndmask_b32_e32 v5, v0, v65, vcc_lo
	v_cmp_lt_i32_e32 vcc_lo, v66, v40
	s_delay_alu instid0(VALU_DEP_2) | instskip(SKIP_1) | instid1(VALU_DEP_1)
	v_dual_cndmask_b32 v0, v0, v66 :: v_dual_lshlrev_b32 v5, 2, v5
	s_and_b32 vcc_lo, exec_lo, s2
	v_lshlrev_b32_e32 v0, 2, v0
	s_waitcnt lgkmcnt(0)
	v_dual_add_f32 v2, v2, v3 :: v_dual_add_f32 v1, v1, v4
	ds_bpermute_b32 v3, v5, v2
	ds_bpermute_b32 v4, v5, v1
	s_waitcnt lgkmcnt(0)
	v_dual_add_f32 v2, v2, v3 :: v_dual_add_f32 v1, v1, v4
	ds_bpermute_b32 v3, v0, v2
	ds_bpermute_b32 v4, v0, v1
	s_waitcnt lgkmcnt(0)
	v_dual_add_f32 v0, v2, v3 :: v_dual_add_f32 v1, v1, v4
	s_cbranch_vccz .LBB78_31
; %bb.29:
	v_add_nc_u32_e32 v2, s15, v37
	s_delay_alu instid0(VALU_DEP_1) | instskip(NEXT) | instid1(VALU_DEP_1)
	v_ashrrev_i32_e32 v3, 31, v2
	v_lshlrev_b64 v[2:3], 2, v[2:3]
	s_delay_alu instid0(VALU_DEP_1) | instskip(NEXT) | instid1(VALU_DEP_2)
	v_add_co_u32 v2, vcc_lo, s24, v2
	v_add_co_ci_u32_e32 v3, vcc_lo, s25, v3, vcc_lo
	global_load_b64 v[2:3], v[2:3], off
	v_max_f32_e32 v4, v35, v35
	s_waitcnt vmcnt(0)
	v_dual_max_f32 v6, v36, v36 :: v_dual_max_f32 v5, v2, v2
	s_delay_alu instid0(VALU_DEP_1) | instskip(NEXT) | instid1(VALU_DEP_1)
	v_dual_max_f32 v7, v3, v3 :: v_dual_max_f32 v4, v4, v5
	v_dual_max_f32 v5, v6, v7 :: v_dual_sub_f32 v6, v35, v4
	s_delay_alu instid0(VALU_DEP_1) | instskip(SKIP_2) | instid1(VALU_DEP_4)
	v_sub_f32_e32 v7, v36, v5
	v_dual_sub_f32 v3, v3, v5 :: v_dual_sub_f32 v2, v2, v4
	v_mov_b32_e32 v36, v5
	v_cmp_ngt_f32_e32 vcc_lo, 0xc2ce8ed0, v6
	s_delay_alu instid0(VALU_DEP_4) | instskip(NEXT) | instid1(VALU_DEP_4)
	v_mul_f32_e32 v10, 0x3fb8aa3b, v7
	v_mul_f32_e32 v11, 0x3fb8aa3b, v3
	;; [unrolled: 1-line block ×3, first 2 shown]
	v_mov_b32_e32 v35, v4
	s_delay_alu instid0(VALU_DEP_4) | instskip(NEXT) | instid1(VALU_DEP_4)
	v_fma_f32 v18, 0x3fb8aa3b, v7, -v10
	v_fma_f32 v20, 0x3fb8aa3b, v3, -v11
	s_delay_alu instid0(VALU_DEP_4)
	v_rndne_f32_e32 v15, v9
	v_mul_f32_e32 v8, 0x3fb8aa3b, v6
	v_fma_f32 v14, 0x3fb8aa3b, v2, -v9
	v_rndne_f32_e32 v21, v11
	v_fmac_f32_e32 v20, 0x32a5705f, v3
	v_sub_f32_e32 v9, v9, v15
	v_fma_f32 v12, 0x3fb8aa3b, v6, -v8
	v_rndne_f32_e32 v13, v8
	v_dual_sub_f32 v11, v11, v21 :: v_dual_fmac_f32 v14, 0x32a5705f, v2
	v_rndne_f32_e32 v19, v10
	s_delay_alu instid0(VALU_DEP_2) | instskip(NEXT) | instid1(VALU_DEP_3)
	v_dual_fmac_f32 v12, 0x32a5705f, v6 :: v_dual_add_f32 v11, v11, v20
	v_dual_sub_f32 v8, v8, v13 :: v_dual_add_f32 v9, v9, v14
	s_delay_alu instid0(VALU_DEP_3) | instskip(SKIP_1) | instid1(VALU_DEP_4)
	v_sub_f32_e32 v10, v10, v19
	v_cvt_i32_f32_e32 v14, v19
	v_exp_f32_e32 v11, v11
	s_delay_alu instid0(VALU_DEP_3)
	v_add_f32_e32 v8, v8, v12
	v_exp_f32_e32 v9, v9
	v_cvt_i32_f32_e32 v12, v13
	v_cvt_i32_f32_e32 v13, v15
	;; [unrolled: 1-line block ×3, first 2 shown]
	v_exp_f32_e32 v8, v8
	s_delay_alu instid0(TRANS32_DEP_3) | instid1(VALU_DEP_1)
	v_ldexp_f32 v11, v11, v15
	s_waitcnt_depctr 0xfff
	v_ldexp_f32 v9, v9, v13
	v_ldexp_f32 v8, v8, v12
	s_delay_alu instid0(VALU_DEP_1) | instskip(SKIP_1) | instid1(VALU_DEP_4)
	v_cndmask_b32_e32 v8, 0, v8, vcc_lo
	v_cmp_ngt_f32_e32 vcc_lo, 0xc2ce8ed0, v2
	v_dual_fmac_f32 v18, 0x32a5705f, v7 :: v_dual_cndmask_b32 v9, 0, v9
	s_delay_alu instid0(VALU_DEP_1) | instskip(SKIP_1) | instid1(VALU_DEP_2)
	v_add_f32_e32 v10, v10, v18
	v_cmp_ngt_f32_e32 vcc_lo, 0xc2ce8ed0, v7
	v_exp_f32_e32 v10, v10
	s_waitcnt_depctr 0xfff
	v_ldexp_f32 v10, v10, v14
	s_delay_alu instid0(VALU_DEP_1)
	v_cndmask_b32_e32 v10, 0, v10, vcc_lo
	v_cmp_ngt_f32_e32 vcc_lo, 0xc2ce8ed0, v3
	v_cndmask_b32_e32 v11, 0, v11, vcc_lo
	v_cmp_nlt_f32_e32 vcc_lo, 0x42b17218, v6
	v_cndmask_b32_e32 v6, 0x7f800000, v8, vcc_lo
	v_cmp_nlt_f32_e32 vcc_lo, 0x42b17218, v2
	s_delay_alu instid0(VALU_DEP_2) | instskip(SKIP_2) | instid1(VALU_DEP_3)
	v_cvt_f16_f32_e32 v8, v6
	v_cndmask_b32_e32 v2, 0x7f800000, v9, vcc_lo
	v_cmp_nlt_f32_e32 vcc_lo, 0x42b17218, v7
	v_pk_mul_f16 v59, v8, v59 op_sel_hi:[0,1]
	s_delay_alu instid0(VALU_DEP_3) | instskip(SKIP_3) | instid1(VALU_DEP_4)
	v_fmac_f32_e32 v2, v0, v6
	v_cndmask_b32_e32 v7, 0x7f800000, v10, vcc_lo
	v_cmp_nlt_f32_e32 vcc_lo, 0x42b17218, v3
	v_pk_mul_f16 v60, v8, v60 op_sel_hi:[0,1]
	v_mov_b32_e32 v0, v2
	s_delay_alu instid0(VALU_DEP_4) | instskip(SKIP_1) | instid1(VALU_DEP_2)
	v_cvt_f16_f32_e32 v4, v7
	v_cndmask_b32_e32 v3, 0x7f800000, v11, vcc_lo
	v_pk_mul_f16 v58, v4, v58 op_sel_hi:[0,1]
	s_delay_alu instid0(VALU_DEP_2) | instskip(SKIP_1) | instid1(VALU_DEP_2)
	v_fmac_f32_e32 v3, v1, v7
	v_pk_mul_f16 v55, v4, v55 op_sel_hi:[0,1]
	v_mov_b32_e32 v1, v3
	s_mov_b32 s2, exec_lo
	v_cmpx_gt_i32_e64 s6, v16
	s_cbranch_execnz .LBB78_32
.LBB78_30:
	s_nop 0
	s_sendmsg sendmsg(MSG_DEALLOC_VGPRS)
	s_endpgm
.LBB78_31:
	s_delay_alu instid0(VALU_DEP_1)
	v_dual_mov_b32 v3, v1 :: v_dual_mov_b32 v2, v0
	s_mov_b32 s2, exec_lo
	v_cmpx_gt_i32_e64 s6, v16
	s_cbranch_execz .LBB78_30
.LBB78_32:
	s_load_b32 s1, s[0:1], 0xd4
	v_mov_b32_e32 v6, 1.0
	s_waitcnt lgkmcnt(0)
	s_cmp_lg_u32 s1, 1
	s_cselect_b32 s3, -1, 0
	s_cmp_eq_u32 s1, 1
	s_cselect_b32 s2, -1, 0
	s_and_b32 vcc_lo, exec_lo, s3
	s_cbranch_vccnz .LBB78_34
; %bb.33:
	v_div_scale_f32 v4, null, v0, v0, 1.0
	s_delay_alu instid0(VALU_DEP_1) | instskip(SKIP_2) | instid1(VALU_DEP_1)
	v_rcp_f32_e32 v5, v4
	s_waitcnt_depctr 0xfff
	v_fma_f32 v6, -v4, v5, 1.0
	v_fmac_f32_e32 v5, v6, v5
	v_div_scale_f32 v6, vcc_lo, 1.0, v0, 1.0
	s_delay_alu instid0(VALU_DEP_1) | instskip(NEXT) | instid1(VALU_DEP_1)
	v_mul_f32_e32 v7, v6, v5
	v_fma_f32 v8, -v4, v7, v6
	s_delay_alu instid0(VALU_DEP_1) | instskip(NEXT) | instid1(VALU_DEP_1)
	v_fmac_f32_e32 v7, v8, v5
	v_fma_f32 v4, -v4, v7, v6
	s_delay_alu instid0(VALU_DEP_1) | instskip(NEXT) | instid1(VALU_DEP_1)
	v_div_fmas_f32 v4, v4, v5, v7
	v_div_fixup_f32 v6, v4, v0, 1.0
.LBB78_34:
	v_mad_u64_u32 v[4:5], null, s12, s6, v[16:17]
	v_cvt_f32_f16_e32 v9, v59
	v_mov_b32_e32 v8, 0
	v_cvt_f32_f16_e32 v10, v60
	v_cmp_eq_u32_e32 vcc_lo, 0, v17
	v_mul_lo_u32 v0, v4, s7
	s_delay_alu instid0(VALU_DEP_1) | instskip(NEXT) | instid1(VALU_DEP_1)
	v_add3_u32 v0, s15, v37, v0
	v_mad_u64_u32 v[4:5], null, s1, v0, s[14:15]
	v_lshrrev_b32_e32 v5, 16, v60
	v_lshrrev_b32_e32 v0, 16, v59
	s_delay_alu instid0(VALU_DEP_2) | instskip(NEXT) | instid1(VALU_DEP_4)
	v_cvt_f32_f16_e32 v5, v5
	v_lshl_add_u32 v7, v4, 7, v38
	s_delay_alu instid0(VALU_DEP_3) | instskip(NEXT) | instid1(VALU_DEP_2)
	v_cvt_f32_f16_e32 v0, v0
	v_lshlrev_b64 v[11:12], 2, v[7:8]
	v_mul_f32_e32 v7, v6, v9
	v_mul_f32_e32 v9, v6, v10
	;; [unrolled: 1-line block ×4, first 2 shown]
	v_add_co_u32 v5, s0, s28, v11
	s_delay_alu instid0(VALU_DEP_1)
	v_add_co_ci_u32_e64 v6, s0, s29, v12, s0
	s_and_b32 s0, vcc_lo, s3
	global_store_b128 v[5:6], v[7:10], off
	s_and_saveexec_b32 s3, s0
	s_cbranch_execz .LBB78_36
; %bb.35:
	v_ashrrev_i32_e32 v5, 31, v4
	v_dual_mov_b32 v7, v35 :: v_dual_mov_b32 v8, v2
	s_delay_alu instid0(VALU_DEP_2) | instskip(NEXT) | instid1(VALU_DEP_1)
	v_lshlrev_b64 v[5:6], 3, v[4:5]
	v_add_co_u32 v5, vcc_lo, s30, v5
	s_delay_alu instid0(VALU_DEP_2)
	v_add_co_ci_u32_e32 v6, vcc_lo, s31, v6, vcc_lo
	global_store_b64 v[5:6], v[7:8], off
.LBB78_36:
	s_or_b32 exec_lo, exec_lo, s3
	v_mov_b32_e32 v2, 1.0
	s_and_not1_b32 vcc_lo, exec_lo, s2
	s_cbranch_vccnz .LBB78_38
; %bb.37:
	v_div_scale_f32 v0, null, v1, v1, 1.0
	s_delay_alu instid0(VALU_DEP_1) | instskip(SKIP_2) | instid1(VALU_DEP_1)
	v_rcp_f32_e32 v2, v0
	s_waitcnt_depctr 0xfff
	v_fma_f32 v5, -v0, v2, 1.0
	v_fmac_f32_e32 v2, v5, v2
	v_div_scale_f32 v5, vcc_lo, 1.0, v1, 1.0
	s_delay_alu instid0(VALU_DEP_1) | instskip(NEXT) | instid1(VALU_DEP_1)
	v_mul_f32_e32 v6, v5, v2
	v_fma_f32 v7, -v0, v6, v5
	s_delay_alu instid0(VALU_DEP_1) | instskip(NEXT) | instid1(VALU_DEP_1)
	v_fmac_f32_e32 v6, v7, v2
	v_fma_f32 v0, -v0, v6, v5
	s_delay_alu instid0(VALU_DEP_1) | instskip(NEXT) | instid1(VALU_DEP_1)
	v_div_fmas_f32 v0, v0, v2, v6
	v_div_fixup_f32 v2, v0, v1, 1.0
.LBB78_38:
	v_dual_mov_b32 v5, 0 :: v_dual_add_nc_u32 v0, s1, v4
	v_lshrrev_b32_e32 v1, 16, v58
	v_lshrrev_b32_e32 v6, 16, v55
	v_cvt_f32_f16_e32 v7, v58
	s_delay_alu instid0(VALU_DEP_4) | instskip(SKIP_3) | instid1(VALU_DEP_4)
	v_lshl_add_u32 v4, v0, 7, v38
	v_cvt_f32_f16_e32 v10, v55
	v_cvt_f32_f16_e32 v1, v1
	;; [unrolled: 1-line block ×3, first 2 shown]
	v_lshlrev_b64 v[8:9], 2, v[4:5]
	v_mul_f32_e32 v4, v2, v7
	s_delay_alu instid0(VALU_DEP_4)
	v_mul_f32_e32 v5, v2, v1
	v_mul_f32_e32 v6, v2, v10
	;; [unrolled: 1-line block ×3, first 2 shown]
	v_add_co_u32 v1, vcc_lo, s28, v8
	v_add_co_ci_u32_e32 v2, vcc_lo, s29, v9, vcc_lo
	global_store_b128 v[1:2], v[4:7], off
	s_and_b32 exec_lo, exec_lo, s0
	s_cbranch_execz .LBB78_30
; %bb.39:
	v_ashrrev_i32_e32 v1, 31, v0
	v_mov_b32_e32 v2, v36
	s_delay_alu instid0(VALU_DEP_2) | instskip(NEXT) | instid1(VALU_DEP_1)
	v_lshlrev_b64 v[0:1], 3, v[0:1]
	v_add_co_u32 v0, vcc_lo, s30, v0
	s_delay_alu instid0(VALU_DEP_2)
	v_add_co_ci_u32_e32 v1, vcc_lo, s31, v1, vcc_lo
	global_store_b64 v[0:1], v[2:3], off
	s_nop 0
	s_sendmsg sendmsg(MSG_DEALLOC_VGPRS)
	s_endpgm
	.section	.rodata,"a",@progbits
	.p2align	6, 0x0
	.amdhsa_kernel _ZL15flash_attn_tileILi128ELi128ELi2ELi4ELb1EEvPKcS1_S1_S1_S1_PKiPfP15HIP_vector_typeIfLj2EEffffjfiS5_IjLj3EEiiiiiiiiiiiliiliiiiil
		.amdhsa_group_segment_fixed_size 12288
		.amdhsa_private_segment_fixed_size 0
		.amdhsa_kernarg_size 464
		.amdhsa_user_sgpr_count 13
		.amdhsa_user_sgpr_dispatch_ptr 0
		.amdhsa_user_sgpr_queue_ptr 0
		.amdhsa_user_sgpr_kernarg_segment_ptr 1
		.amdhsa_user_sgpr_dispatch_id 0
		.amdhsa_user_sgpr_private_segment_size 0
		.amdhsa_wavefront_size32 1
		.amdhsa_uses_dynamic_stack 0
		.amdhsa_enable_private_segment 0
		.amdhsa_system_sgpr_workgroup_id_x 1
		.amdhsa_system_sgpr_workgroup_id_y 1
		.amdhsa_system_sgpr_workgroup_id_z 1
		.amdhsa_system_sgpr_workgroup_info 0
		.amdhsa_system_vgpr_workitem_id 1
		.amdhsa_next_free_vgpr 177
		.amdhsa_next_free_sgpr 40
		.amdhsa_reserve_vcc 1
		.amdhsa_float_round_mode_32 0
		.amdhsa_float_round_mode_16_64 0
		.amdhsa_float_denorm_mode_32 3
		.amdhsa_float_denorm_mode_16_64 3
		.amdhsa_dx10_clamp 1
		.amdhsa_ieee_mode 1
		.amdhsa_fp16_overflow 0
		.amdhsa_workgroup_processor_mode 1
		.amdhsa_memory_ordered 1
		.amdhsa_forward_progress 0
		.amdhsa_shared_vgpr_count 0
		.amdhsa_exception_fp_ieee_invalid_op 0
		.amdhsa_exception_fp_denorm_src 0
		.amdhsa_exception_fp_ieee_div_zero 0
		.amdhsa_exception_fp_ieee_overflow 0
		.amdhsa_exception_fp_ieee_underflow 0
		.amdhsa_exception_fp_ieee_inexact 0
		.amdhsa_exception_int_div_zero 0
	.end_amdhsa_kernel
	.section	.text._ZL15flash_attn_tileILi128ELi128ELi2ELi4ELb1EEvPKcS1_S1_S1_S1_PKiPfP15HIP_vector_typeIfLj2EEffffjfiS5_IjLj3EEiiiiiiiiiiiliiliiiiil,"axG",@progbits,_ZL15flash_attn_tileILi128ELi128ELi2ELi4ELb1EEvPKcS1_S1_S1_S1_PKiPfP15HIP_vector_typeIfLj2EEffffjfiS5_IjLj3EEiiiiiiiiiiiliiliiiiil,comdat
.Lfunc_end78:
	.size	_ZL15flash_attn_tileILi128ELi128ELi2ELi4ELb1EEvPKcS1_S1_S1_S1_PKiPfP15HIP_vector_typeIfLj2EEffffjfiS5_IjLj3EEiiiiiiiiiiiliiliiiiil, .Lfunc_end78-_ZL15flash_attn_tileILi128ELi128ELi2ELi4ELb1EEvPKcS1_S1_S1_S1_PKiPfP15HIP_vector_typeIfLj2EEffffjfiS5_IjLj3EEiiiiiiiiiiiliiliiiiil
                                        ; -- End function
	.section	.AMDGPU.csdata,"",@progbits
; Kernel info:
; codeLenInByte = 15004
; NumSgprs: 42
; NumVgprs: 177
; ScratchSize: 0
; MemoryBound: 0
; FloatMode: 240
; IeeeMode: 1
; LDSByteSize: 12288 bytes/workgroup (compile time only)
; SGPRBlocks: 5
; VGPRBlocks: 22
; NumSGPRsForWavesPerEU: 42
; NumVGPRsForWavesPerEU: 177
; Occupancy: 8
; WaveLimiterHint : 1
; COMPUTE_PGM_RSRC2:SCRATCH_EN: 0
; COMPUTE_PGM_RSRC2:USER_SGPR: 13
; COMPUTE_PGM_RSRC2:TRAP_HANDLER: 0
; COMPUTE_PGM_RSRC2:TGID_X_EN: 1
; COMPUTE_PGM_RSRC2:TGID_Y_EN: 1
; COMPUTE_PGM_RSRC2:TGID_Z_EN: 1
; COMPUTE_PGM_RSRC2:TIDIG_COMP_CNT: 1
	.section	.text._ZL15flash_attn_tileILi128ELi128ELi1ELi4ELb1EEvPKcS1_S1_S1_S1_PKiPfP15HIP_vector_typeIfLj2EEffffjfiS5_IjLj3EEiiiiiiiiiiiliiliiiiil,"axG",@progbits,_ZL15flash_attn_tileILi128ELi128ELi1ELi4ELb1EEvPKcS1_S1_S1_S1_PKiPfP15HIP_vector_typeIfLj2EEffffjfiS5_IjLj3EEiiiiiiiiiiiliiliiiiil,comdat
	.globl	_ZL15flash_attn_tileILi128ELi128ELi1ELi4ELb1EEvPKcS1_S1_S1_S1_PKiPfP15HIP_vector_typeIfLj2EEffffjfiS5_IjLj3EEiiiiiiiiiiiliiliiiiil ; -- Begin function _ZL15flash_attn_tileILi128ELi128ELi1ELi4ELb1EEvPKcS1_S1_S1_S1_PKiPfP15HIP_vector_typeIfLj2EEffffjfiS5_IjLj3EEiiiiiiiiiiiliiliiiiil
	.p2align	8
	.type	_ZL15flash_attn_tileILi128ELi128ELi1ELi4ELb1EEvPKcS1_S1_S1_S1_PKiPfP15HIP_vector_typeIfLj2EEffffjfiS5_IjLj3EEiiiiiiiiiiiliiliiiiil,@function
_ZL15flash_attn_tileILi128ELi128ELi1ELi4ELb1EEvPKcS1_S1_S1_S1_PKiPfP15HIP_vector_typeIfLj2EEffffjfiS5_IjLj3EEiiiiiiiiiiiliiliiiiil: ; @_ZL15flash_attn_tileILi128ELi128ELi1ELi4ELb1EEvPKcS1_S1_S1_S1_PKiPfP15HIP_vector_typeIfLj2EEffffjfiS5_IjLj3EEiiiiiiiiiiiliiliiiiil
; %bb.0:
	s_clause 0x1
	s_load_b128 s[4:7], s[0:1], 0x5c
	s_load_b64 s[2:3], s[0:1], 0x80
	s_mov_b64 s[34:35], 0
	s_waitcnt lgkmcnt(0)
	s_ashr_i32 s8, s7, 31
	s_delay_alu instid0(SALU_CYCLE_1) | instskip(NEXT) | instid1(SALU_CYCLE_1)
	s_lshr_b32 s8, s8, 30
	s_add_i32 s8, s7, s8
	s_delay_alu instid0(SALU_CYCLE_1) | instskip(NEXT) | instid1(SALU_CYCLE_1)
	s_ashr_i32 s8, s8, 2
	v_cvt_f32_u32_e32 v1, s8
	s_sub_i32 s10, 0, s8
	s_delay_alu instid0(VALU_DEP_1) | instskip(SKIP_2) | instid1(VALU_DEP_1)
	v_rcp_iflag_f32_e32 v1, v1
	s_waitcnt_depctr 0xfff
	v_mul_f32_e32 v1, 0x4f7ffffe, v1
	v_cvt_u32_f32_e32 v1, v1
	s_delay_alu instid0(VALU_DEP_1) | instskip(NEXT) | instid1(VALU_DEP_1)
	v_readfirstlane_b32 s9, v1
	s_mul_i32 s10, s10, s9
	s_delay_alu instid0(SALU_CYCLE_1) | instskip(NEXT) | instid1(SALU_CYCLE_1)
	s_mul_hi_u32 s10, s9, s10
	s_add_i32 s9, s9, s10
	s_delay_alu instid0(SALU_CYCLE_1) | instskip(NEXT) | instid1(SALU_CYCLE_1)
	s_mul_hi_u32 s9, s15, s9
	s_mul_i32 s10, s9, s8
	s_add_i32 s11, s9, 1
	s_sub_i32 s10, s15, s10
	s_delay_alu instid0(SALU_CYCLE_1)
	s_sub_i32 s12, s10, s8
	s_cmp_ge_u32 s10, s8
	s_cselect_b32 s9, s11, s9
	s_cselect_b32 s10, s12, s10
	s_add_i32 s11, s9, 1
	s_cmp_ge_u32 s10, s8
	s_cselect_b32 s12, s11, s9
	s_abs_i32 s8, s3
	s_abs_i32 s16, s7
	v_cvt_f32_u32_e32 v1, s8
	s_sub_i32 s10, 0, s8
	s_lshl_b32 s11, s15, 2
	s_mul_i32 s15, s12, s7
	s_xor_b32 s3, s7, s3
	v_rcp_iflag_f32_e32 v1, v1
	s_sub_i32 s15, s11, s15
	s_ashr_i32 s3, s3, 31
	s_waitcnt_depctr 0xfff
	v_mul_f32_e32 v1, 0x4f7ffffe, v1
	s_delay_alu instid0(VALU_DEP_1) | instskip(NEXT) | instid1(VALU_DEP_1)
	v_cvt_u32_f32_e32 v1, v1
	v_readfirstlane_b32 s9, v1
	s_delay_alu instid0(VALU_DEP_1) | instskip(NEXT) | instid1(SALU_CYCLE_1)
	s_mul_i32 s10, s10, s9
	s_mul_hi_u32 s10, s9, s10
	s_delay_alu instid0(SALU_CYCLE_1) | instskip(NEXT) | instid1(SALU_CYCLE_1)
	s_add_i32 s9, s9, s10
	s_mul_hi_u32 s9, s16, s9
	s_delay_alu instid0(SALU_CYCLE_1) | instskip(SKIP_2) | instid1(SALU_CYCLE_1)
	s_mul_i32 s10, s9, s8
	s_add_i32 s11, s9, 1
	s_sub_i32 s10, s16, s10
	s_sub_i32 s16, s10, s8
	s_cmp_ge_u32 s10, s8
	s_cselect_b32 s9, s11, s9
	s_cselect_b32 s10, s16, s10
	s_add_i32 s11, s9, 1
	s_cmp_ge_u32 s10, s8
	s_clause 0x1
	s_load_b512 s[16:31], s[0:1], 0x0
	s_load_b64 s[36:37], s[0:1], 0xb8
	s_cselect_b32 s8, s11, s9
	s_delay_alu instid0(SALU_CYCLE_1) | instskip(NEXT) | instid1(SALU_CYCLE_1)
	s_xor_b32 s8, s8, s3
	s_sub_i32 s38, s8, s3
	s_delay_alu instid0(SALU_CYCLE_1) | instskip(NEXT) | instid1(SALU_CYCLE_1)
	s_abs_i32 s33, s38
	v_cvt_f32_u32_e32 v1, s33
	s_delay_alu instid0(VALU_DEP_1) | instskip(SKIP_4) | instid1(VALU_DEP_1)
	v_rcp_iflag_f32_e32 v1, v1
	s_waitcnt lgkmcnt(0)
	s_cmp_eq_u64 s[22:23], 0
	s_waitcnt_depctr 0xfff
	v_mul_f32_e32 v1, 0x4f7ffffe, v1
	v_cvt_u32_f32_e32 v1, v1
	s_delay_alu instid0(VALU_DEP_1)
	v_readfirstlane_b32 s39, v1
	s_cbranch_scc1 .LBB79_2
; %bb.1:
	s_abs_i32 s3, s36
	s_abs_i32 s10, s12
	v_cvt_f32_u32_e32 v1, s3
	s_sub_i32 s9, 0, s3
	s_delay_alu instid0(VALU_DEP_1) | instskip(SKIP_2) | instid1(VALU_DEP_1)
	v_rcp_iflag_f32_e32 v1, v1
	s_waitcnt_depctr 0xfff
	v_mul_f32_e32 v1, 0x4f7ffffe, v1
	v_cvt_u32_f32_e32 v1, v1
	s_delay_alu instid0(VALU_DEP_1) | instskip(NEXT) | instid1(VALU_DEP_1)
	v_readfirstlane_b32 s8, v1
	s_mul_i32 s9, s9, s8
	s_delay_alu instid0(SALU_CYCLE_1) | instskip(NEXT) | instid1(SALU_CYCLE_1)
	s_mul_hi_u32 s9, s8, s9
	s_add_i32 s11, s8, s9
	s_load_b64 s[8:9], s[0:1], 0xc8
	s_mul_hi_u32 s11, s10, s11
	s_delay_alu instid0(SALU_CYCLE_1) | instskip(NEXT) | instid1(SALU_CYCLE_1)
	s_mul_i32 s11, s11, s3
	s_sub_i32 s10, s10, s11
	s_ashr_i32 s11, s12, 31
	s_sub_i32 s34, s10, s3
	s_cmp_ge_u32 s10, s3
	s_cselect_b32 s10, s34, s10
	s_delay_alu instid0(SALU_CYCLE_1) | instskip(SKIP_2) | instid1(SALU_CYCLE_1)
	s_sub_i32 s34, s10, s3
	s_cmp_ge_u32 s10, s3
	s_cselect_b32 s3, s34, s10
	s_xor_b32 s3, s3, s11
	s_delay_alu instid0(SALU_CYCLE_1)
	s_sub_i32 s3, s3, s11
	s_waitcnt lgkmcnt(0)
	s_mul_i32 s9, s3, s9
	s_mul_hi_u32 s10, s3, s8
	s_ashr_i32 s11, s3, 31
	s_add_i32 s9, s10, s9
	s_mul_i32 s11, s11, s8
	s_mul_i32 s3, s3, s8
	s_add_i32 s9, s9, s11
	s_add_u32 s34, s22, s3
	s_addc_u32 s35, s23, s9
.LBB79_2:
	v_bfe_u32 v1, v0, 10, 10
	s_load_b128 s[8:11], s[0:1], 0x70
	v_and_b32_e32 v16, 0x3ff, v0
	s_delay_alu instid0(VALU_DEP_2) | instskip(SKIP_1) | instid1(VALU_DEP_2)
	v_lshrrev_b32_e32 v2, 2, v1
	v_and_b32_e32 v36, 3, v1
	v_add_nc_u32_e32 v17, s13, v2
	s_delay_alu instid0(VALU_DEP_1) | instskip(SKIP_3) | instid1(VALU_DEP_1)
	v_mul_hi_u32 v2, s4, v17
	s_waitcnt lgkmcnt(0)
	s_mul_i32 s3, s12, s10
	s_mul_i32 s4, s15, s9
	v_add_nc_u32_e32 v2, v17, v2
	s_delay_alu instid0(VALU_DEP_1)
	v_lshrrev_b32_e32 v2, s5, v2
	s_ashr_i32 s5, s3, 31
	s_add_u32 s3, s16, s3
	s_addc_u32 s5, s17, s5
	s_ashr_i32 s10, s4, 31
	v_mul_lo_u32 v2, v2, s6
	s_add_u32 s3, s3, s4
	s_addc_u32 s4, s5, s10
	s_ashr_i32 s5, s9, 31
	s_ashr_i32 s10, s8, 31
	v_alignbit_b32 v5, s5, s9, 2
	v_alignbit_b32 v7, s10, s8, 2
	s_lshr_b32 s5, s5, 2
	v_sub_nc_u32_e32 v2, v17, v2
	s_delay_alu instid0(VALU_DEP_3) | instskip(NEXT) | instid1(VALU_DEP_2)
	v_mad_u64_u32 v[3:4], null, v5, v36, 0
	v_mad_u64_u32 v[5:6], null, v7, v2, 0
	s_delay_alu instid0(VALU_DEP_1) | instskip(SKIP_2) | instid1(VALU_DEP_1)
	v_mad_u64_u32 v[7:8], null, s5, v36, v[4:5]
	s_lshr_b32 s5, s10, 2
	s_cmp_eq_u64 s[26:27], 0
	v_mov_b32_e32 v4, v7
	s_delay_alu instid0(VALU_DEP_3) | instskip(SKIP_1) | instid1(VALU_DEP_3)
	v_mad_u64_u32 v[8:9], null, s5, v2, v[6:7]
	v_lshlrev_b32_e32 v9, 1, v16
	v_lshlrev_b64 v[3:4], 2, v[3:4]
	s_delay_alu instid0(VALU_DEP_3) | instskip(NEXT) | instid1(VALU_DEP_2)
	v_mov_b32_e32 v6, v8
	v_add_co_u32 v0, vcc_lo, s3, v3
	s_delay_alu instid0(VALU_DEP_3) | instskip(NEXT) | instid1(VALU_DEP_3)
	v_add_co_ci_u32_e32 v3, vcc_lo, s4, v4, vcc_lo
	v_lshlrev_b64 v[5:6], 2, v[5:6]
	v_lshlrev_b32_e32 v4, 4, v16
	s_load_b32 s3, s[0:1], 0x40
	s_delay_alu instid0(VALU_DEP_2) | instskip(NEXT) | instid1(VALU_DEP_3)
	v_add_co_u32 v0, vcc_lo, v0, v5
	v_add_co_ci_u32_e32 v5, vcc_lo, v3, v6, vcc_lo
	s_delay_alu instid0(VALU_DEP_2) | instskip(NEXT) | instid1(VALU_DEP_2)
	v_add_co_u32 v3, vcc_lo, v0, v4
	v_add_co_ci_u32_e32 v4, vcc_lo, 0, v5, vcc_lo
	v_lshlrev_b32_e32 v0, 6, v1
	global_load_b128 v[3:6], v[3:4], off
	v_add_lshl_u32 v0, v0, v9, 2
	s_waitcnt vmcnt(0) lgkmcnt(0)
	v_fma_mixlo_f16 v8, v5, s3, 0
	v_fma_mixlo_f16 v7, v3, s3, 0
	s_delay_alu instid0(VALU_DEP_2) | instskip(NEXT) | instid1(VALU_DEP_2)
	v_fma_mixhi_f16 v8, v6, s3, 0
	v_fma_mixhi_f16 v7, v4, s3, 0
	ds_store_b64 v0, v[7:8] offset:9216
	s_waitcnt lgkmcnt(0)
	s_barrier
	buffer_gl0_inv
	s_cbranch_scc1 .LBB79_4
; %bb.3:
	s_load_b32 s2, s[0:1], 0xd0
	s_mov_b32 s3, 0
	s_waitcnt lgkmcnt(0)
	s_mul_i32 s2, s2, s12
	s_delay_alu instid0(SALU_CYCLE_1) | instskip(NEXT) | instid1(SALU_CYCLE_1)
	s_add_i32 s2, s2, s13
	s_lshl_b64 s[2:3], s[2:3], 2
	s_delay_alu instid0(SALU_CYCLE_1)
	s_add_u32 s2, s26, s2
	s_addc_u32 s3, s27, s3
	s_load_b32 s2, s[2:3], 0x0
.LBB79_4:
	v_mbcnt_lo_u32_b32 v38, -1, 0
	s_lshl_b32 s3, s14, 6
	s_waitcnt lgkmcnt(0)
	s_cmp_lt_i32 s3, s2
	s_cbranch_scc1 .LBB79_6
; %bb.5:
	v_mbcnt_lo_u32_b32 v3, -1, 0
	v_mov_b32_e32 v0, 32
	s_mov_b32 s4, 0
	s_mov_b32 s5, 0xfeffffff
	s_delay_alu instid0(VALU_DEP_2)
	v_xor_b32_e32 v58, 16, v3
	v_xor_b32_e32 v59, 8, v3
	;; [unrolled: 1-line block ×5, first 2 shown]
	s_branch .LBB79_7
.LBB79_6:
	s_mov_b32 s4, -1
                                        ; implicit-def: $sgpr5
                                        ; implicit-def: $vgpr3
                                        ; implicit-def: $vgpr0
                                        ; implicit-def: $vgpr58
                                        ; implicit-def: $vgpr59
                                        ; implicit-def: $vgpr60
                                        ; implicit-def: $vgpr61
                                        ; implicit-def: $vgpr62
.LBB79_7:
	s_delay_alu instid0(SALU_CYCLE_1) | instskip(SKIP_2) | instid1(VALU_DEP_3)
	v_cndmask_b32_e64 v4, 0, 1, s4
	v_dual_mov_b32 v56, s4 :: v_dual_lshlrev_b32 v37, 2, v16
	v_dual_mov_b32 v35, s5 :: v_dual_mov_b32 v54, s4
	v_cmp_ne_u32_e32 vcc_lo, 1, v4
	v_mov_b32_e32 v4, s4
	s_cbranch_vccnz .LBB79_20
; %bb.8:
	s_clause 0x1
	s_load_b128 s[8:11], s[0:1], 0x98
	s_load_b64 s[4:5], s[0:1], 0x8c
	s_sub_i32 s13, 0, s33
	s_abs_i32 s22, s15
	s_mul_i32 s13, s13, s39
	s_ashr_i32 s27, s37, 1
	s_mul_hi_u32 s13, s39, s13
	s_ashr_i32 s37, s12, 31
	s_add_i32 s39, s39, s13
	s_ashr_i32 s23, s15, 31
	s_mul_hi_u32 s36, s22, s39
	s_ashr_i32 s26, s38, 31
	s_load_b64 s[16:17], s[0:1], 0xa8
	s_mul_i32 s38, s36, s33
	v_lshrrev_b32_e32 v0, 3, v16
	v_dual_mov_b32 v54, 0 :: v_dual_and_b32 v15, 28, v37
	v_lshrrev_b32_e32 v6, 4, v16
	v_mov_b32_e32 v57, 0xfeffffff
	s_delay_alu instid0(VALU_DEP_4)
	v_lshl_add_u32 v0, v1, 2, v0
	s_waitcnt lgkmcnt(0)
	s_mul_i32 s39, s37, s8
	s_ashr_i32 s13, s4, 2
	s_mul_i32 s4, s12, s9
	s_mul_hi_u32 s9, s12, s8
	s_mul_i32 s8, s12, s8
	s_add_i32 s4, s9, s4
	s_ashr_i32 s10, s10, 2
	s_add_i32 s4, s4, s39
	s_add_u32 s8, s18, s8
	s_addc_u32 s4, s19, s4
	s_sub_i32 s18, s22, s38
	s_xor_b32 s9, s23, s26
	s_add_i32 s19, s36, 1
	s_sub_i32 s22, s18, s33
	s_cmp_ge_u32 s18, s33
	s_mul_i32 s17, s12, s17
	s_cselect_b32 s19, s19, s36
	s_cselect_b32 s18, s22, s18
	s_add_i32 s22, s19, 1
	s_cmp_ge_u32 s18, s33
	s_mul_i32 s37, s37, s16
	s_cselect_b32 s18, s22, s19
	s_mul_hi_u32 s19, s12, s16
	s_xor_b32 s18, s18, s9
	v_mul_lo_u32 v3, s13, v0
	s_sub_i32 s18, s18, s9
	s_mul_i32 s16, s12, s16
	s_mul_i32 s5, s18, s5
	;; [unrolled: 1-line block ×3, first 2 shown]
	s_ashr_i32 s9, s5, 31
	s_add_u32 s8, s8, s5
	s_addc_u32 s9, s4, s9
	s_add_i32 s4, s19, s17
	v_lshlrev_b32_e32 v4, 2, v15
	s_add_i32 s4, s4, s37
	s_add_u32 s5, s20, s16
	s_addc_u32 s4, s21, s4
	s_ashr_i32 s16, s18, 31
	s_add_u32 s11, s5, s18
	s_addc_u32 s16, s4, s16
	s_lshl_b32 s4, s13, 4
	v_lshl_add_u32 v12, v1, 1, v6
	v_dual_mov_b32 v56, 0 :: v_dual_add_nc_u32 v5, s4, v3
	v_mad_u32_u24 v39, 0x90, v0, v4
	v_and_b32_e32 v29, 60, v37
	s_delay_alu instid0(VALU_DEP_4) | instskip(NEXT) | instid1(VALU_DEP_4)
	v_mul_lo_u32 v0, s10, v12
	v_add_nc_u32_e32 v7, s4, v5
	s_load_b32 s17, s[0:1], 0x54
	v_ashrrev_i32_e32 v4, 31, v3
	v_lshlrev_b32_e32 v13, 2, v29
	v_ashrrev_i32_e32 v6, 31, v5
	v_add_nc_u32_e32 v9, s4, v7
	s_lshl_b32 s4, s10, 3
	v_ashrrev_i32_e32 v8, 31, v7
	v_add_nc_u32_e32 v11, s4, v0
	v_lshl_or_b32 v46, v12, 8, v13
	v_ashrrev_i32_e32 v10, 31, v9
	v_lshl_add_u32 v43, v1, 8, 0x2400
	v_lshl_add_u32 v45, v1, 7, 0x2800
	v_add_nc_u32_e32 v13, s4, v11
	v_ashrrev_i32_e32 v1, 31, v0
	v_ashrrev_i32_e32 v12, 31, v11
	v_mad_u64_u32 v[18:19], null, v2, s27, v[16:17]
	s_delay_alu instid0(VALU_DEP_4)
	v_add_nc_u32_e32 v33, s4, v13
	v_ashrrev_i32_e32 v14, 31, v13
	v_lshlrev_b64 v[19:20], 2, v[3:4]
	v_lshlrev_b64 v[21:22], 2, v[5:6]
	;; [unrolled: 1-line block ×3, first 2 shown]
	v_ashrrev_i32_e32 v34, 31, v33
	v_lshlrev_b64 v[25:26], 2, v[9:10]
	v_lshlrev_b64 v[27:28], 2, v[0:1]
	v_lshlrev_b32_e32 v53, 2, v29
	v_lshlrev_b64 v[29:30], 2, v[11:12]
	v_lshlrev_b64 v[31:32], 2, v[13:14]
	;; [unrolled: 1-line block ×3, first 2 shown]
	v_dual_mov_b32 v55, 0 :: v_dual_add_nc_u32 v40, 0x900, v39
	v_add_nc_u32_e32 v41, 0x1200, v39
	v_add_nc_u32_e32 v42, 0x1b00, v39
	v_mul_u32_u24_e32 v44, 0x90, v16
	v_lshl_add_u32 v47, v16, 1, v45
	v_add_nc_u32_e32 v48, 0x800, v46
	v_add_nc_u32_e32 v49, 0x1000, v46
	;; [unrolled: 1-line block ×3, first 2 shown]
	v_lshlrev_b32_e32 v51, 3, v16
	v_lshlrev_b32_e32 v52, 2, v15
	s_add_u32 s4, s0, 0xd0
	s_addc_u32 s5, s1, 0
	s_mov_b32 s18, 0xbbbac73d
.LBB79_9:                               ; =>This Inner Loop Header: Depth=1
	s_mul_hi_i32 s21, s3, s13
	s_mul_i32 s20, s3, s13
	v_dual_mov_b32 v35, 0 :: v_dual_mov_b32 v58, 0
	s_lshl_b64 s[20:21], s[20:21], 2
	s_delay_alu instid0(SALU_CYCLE_1)
	s_add_u32 s19, s8, s20
	s_addc_u32 s20, s9, s21
	v_add_co_u32 v0, vcc_lo, s19, v19
	v_add_co_ci_u32_e32 v1, vcc_lo, s20, v20, vcc_lo
	v_add_co_u32 v2, vcc_lo, s19, v21
	v_add_co_ci_u32_e32 v3, vcc_lo, s20, v22, vcc_lo
	s_delay_alu instid0(VALU_DEP_4) | instskip(NEXT) | instid1(VALU_DEP_4)
	v_add_co_u32 v59, vcc_lo, v0, v52
	v_add_co_ci_u32_e32 v60, vcc_lo, 0, v1, vcc_lo
	s_delay_alu instid0(VALU_DEP_4) | instskip(NEXT) | instid1(VALU_DEP_4)
	v_add_co_u32 v61, vcc_lo, v2, v52
	v_add_co_ci_u32_e32 v62, vcc_lo, 0, v3, vcc_lo
	v_add_co_u32 v0, vcc_lo, s19, v23
	v_add_co_ci_u32_e32 v1, vcc_lo, s20, v24, vcc_lo
	;; [unrolled: 2-line block ×3, first 2 shown]
	s_delay_alu instid0(VALU_DEP_4) | instskip(NEXT) | instid1(VALU_DEP_4)
	v_add_co_u32 v63, vcc_lo, v0, v52
	v_add_co_ci_u32_e32 v64, vcc_lo, 0, v1, vcc_lo
	s_delay_alu instid0(VALU_DEP_4) | instskip(NEXT) | instid1(VALU_DEP_4)
	v_add_co_u32 v65, vcc_lo, v2, v52
	v_add_co_ci_u32_e32 v66, vcc_lo, 0, v3, vcc_lo
	s_clause 0x3
	global_load_b128 v[0:3], v[59:60], off
	global_load_b128 v[4:7], v[61:62], off
	;; [unrolled: 1-line block ×4, first 2 shown]
	s_waitcnt vmcnt(3)
	ds_store_b128 v39, v[0:3]
	s_waitcnt vmcnt(2)
	ds_store_b128 v40, v[4:7]
	;; [unrolled: 2-line block ×4, first 2 shown]
	s_waitcnt lgkmcnt(0)
	s_barrier
	buffer_gl0_inv
	ds_load_b128 v[0:3], v44
	ds_load_b128 v[4:7], v43
	ds_load_b128 v[8:11], v44 offset:4608
	s_waitcnt lgkmcnt(1)
	;;#ASMSTART
	v_dot2_f32_f16 v35, v0, v4, v35
	;;#ASMEND
	;;#ASMSTART
	v_dot2_f32_f16 v35, v1, v5, v35
	;;#ASMEND
	;;#ASMSTART
	v_dot2_f32_f16 v35, v2, v6, v35
	;;#ASMEND
	;;#ASMSTART
	v_dot2_f32_f16 v35, v3, v7, v35
	;;#ASMEND
	s_waitcnt lgkmcnt(0)
	;;#ASMSTART
	v_dot2_f32_f16 v58, v8, v4, v58
	;;#ASMEND
	;;#ASMSTART
	v_dot2_f32_f16 v58, v9, v5, v58
	;;#ASMEND
	;;#ASMSTART
	v_dot2_f32_f16 v58, v10, v6, v58
	;;#ASMEND
	;;#ASMSTART
	v_dot2_f32_f16 v58, v11, v7, v58
	;;#ASMEND
	ds_load_b128 v[0:3], v44 offset:16
	ds_load_b128 v[4:7], v43 offset:16
	ds_load_b128 v[8:11], v44 offset:4624
	s_waitcnt lgkmcnt(1)
	;;#ASMSTART
	v_dot2_f32_f16 v35, v0, v4, v35
	;;#ASMEND
	;;#ASMSTART
	v_dot2_f32_f16 v35, v1, v5, v35
	;;#ASMEND
	;;#ASMSTART
	v_dot2_f32_f16 v35, v2, v6, v35
	;;#ASMEND
	;;#ASMSTART
	v_dot2_f32_f16 v35, v3, v7, v35
	;;#ASMEND
	s_waitcnt lgkmcnt(0)
	;;#ASMSTART
	v_dot2_f32_f16 v58, v8, v4, v58
	;;#ASMEND
	;;#ASMSTART
	v_dot2_f32_f16 v58, v9, v5, v58
	;;#ASMEND
	;;#ASMSTART
	v_dot2_f32_f16 v58, v10, v6, v58
	;;#ASMEND
	;;#ASMSTART
	v_dot2_f32_f16 v58, v11, v7, v58
	;;#ASMEND
	ds_load_b128 v[0:3], v44 offset:32
	ds_load_b128 v[4:7], v43 offset:32
	;; [unrolled: 29-line block ×7, first 2 shown]
	ds_load_b128 v[8:11], v44 offset:4720
	s_waitcnt lgkmcnt(1)
	;;#ASMSTART
	v_dot2_f32_f16 v35, v0, v4, v35
	;;#ASMEND
	;;#ASMSTART
	v_dot2_f32_f16 v35, v1, v5, v35
	;;#ASMEND
	;; [unrolled: 3-line block ×4, first 2 shown]
	s_waitcnt lgkmcnt(0)
	;;#ASMSTART
	v_dot2_f32_f16 v58, v8, v4, v58
	;;#ASMEND
	;;#ASMSTART
	v_dot2_f32_f16 v58, v9, v5, v58
	;;#ASMEND
	;; [unrolled: 3-line block ×4, first 2 shown]
	s_barrier
	buffer_gl0_inv
	s_clause 0x3
	global_load_b128 v[0:3], v[59:60], off offset:128
	global_load_b128 v[4:7], v[61:62], off offset:128
	;; [unrolled: 1-line block ×4, first 2 shown]
                                        ; implicit-def: $vgpr59
	s_waitcnt vmcnt(3)
	ds_store_b128 v39, v[0:3]
	s_waitcnt vmcnt(2)
	ds_store_b128 v40, v[4:7]
	;; [unrolled: 2-line block ×4, first 2 shown]
	s_waitcnt lgkmcnt(0)
	s_barrier
	buffer_gl0_inv
	ds_load_b128 v[0:3], v44
	ds_load_b128 v[4:7], v43 offset:128
	ds_load_b128 v[8:11], v44 offset:4608
	s_waitcnt lgkmcnt(1)
	;;#ASMSTART
	v_dot2_f32_f16 v35, v0, v4, v35
	;;#ASMEND
	;;#ASMSTART
	v_dot2_f32_f16 v35, v1, v5, v35
	;;#ASMEND
	;;#ASMSTART
	v_dot2_f32_f16 v35, v2, v6, v35
	;;#ASMEND
	;;#ASMSTART
	v_dot2_f32_f16 v35, v3, v7, v35
	;;#ASMEND
	s_waitcnt lgkmcnt(0)
	;;#ASMSTART
	v_dot2_f32_f16 v58, v8, v4, v58
	;;#ASMEND
	;;#ASMSTART
	v_dot2_f32_f16 v58, v9, v5, v58
	;;#ASMEND
	;;#ASMSTART
	v_dot2_f32_f16 v58, v10, v6, v58
	;;#ASMEND
	;;#ASMSTART
	v_dot2_f32_f16 v58, v11, v7, v58
	;;#ASMEND
	ds_load_b128 v[0:3], v44 offset:16
	ds_load_b128 v[4:7], v43 offset:144
	ds_load_b128 v[8:11], v44 offset:4624
	s_waitcnt lgkmcnt(1)
	;;#ASMSTART
	v_dot2_f32_f16 v35, v0, v4, v35
	;;#ASMEND
	;;#ASMSTART
	v_dot2_f32_f16 v35, v1, v5, v35
	;;#ASMEND
	;;#ASMSTART
	v_dot2_f32_f16 v35, v2, v6, v35
	;;#ASMEND
	;;#ASMSTART
	v_dot2_f32_f16 v35, v3, v7, v35
	;;#ASMEND
	s_waitcnt lgkmcnt(0)
	;;#ASMSTART
	v_dot2_f32_f16 v58, v8, v4, v58
	;;#ASMEND
	;;#ASMSTART
	v_dot2_f32_f16 v58, v9, v5, v58
	;;#ASMEND
	;;#ASMSTART
	v_dot2_f32_f16 v58, v10, v6, v58
	;;#ASMEND
	;;#ASMSTART
	v_dot2_f32_f16 v58, v11, v7, v58
	;;#ASMEND
	ds_load_b128 v[0:3], v44 offset:32
	;; [unrolled: 29-line block ×7, first 2 shown]
	ds_load_b128 v[4:7], v43 offset:240
	ds_load_b128 v[8:11], v44 offset:4720
	s_waitcnt lgkmcnt(1)
	;;#ASMSTART
	v_dot2_f32_f16 v35, v0, v4, v35
	;;#ASMEND
	;;#ASMSTART
	v_dot2_f32_f16 v35, v1, v5, v35
	;;#ASMEND
	;; [unrolled: 3-line block ×4, first 2 shown]
	v_cmp_ngt_f32_e64 s19, 0x3f200000, |v35|
	s_waitcnt lgkmcnt(0)
	;;#ASMSTART
	v_dot2_f32_f16 v58, v8, v4, v58
	;;#ASMEND
	;;#ASMSTART
	v_dot2_f32_f16 v58, v9, v5, v58
	;;#ASMEND
	;; [unrolled: 3-line block ×4, first 2 shown]
	s_and_saveexec_b32 s20, s19
	s_delay_alu instid0(SALU_CYCLE_1)
	s_xor_b32 s19, exec_lo, s20
	s_cbranch_execz .LBB79_11
; %bb.10:                               ;   in Loop: Header=BB79_9 Depth=1
	v_add_f32_e64 v0, |v35|, |v35|
	s_delay_alu instid0(VALU_DEP_1) | instskip(SKIP_1) | instid1(VALU_DEP_2)
	v_mul_f32_e32 v1, 0x3fb8aa3b, v0
	v_cmp_ngt_f32_e32 vcc_lo, 0xc2ce8ed0, v0
	v_rndne_f32_e32 v2, v1
	v_fma_f32 v3, 0x3fb8aa3b, v0, -v1
	s_delay_alu instid0(VALU_DEP_2) | instskip(NEXT) | instid1(VALU_DEP_2)
	v_sub_f32_e32 v1, v1, v2
	v_fmac_f32_e32 v3, 0x32a5705f, v0
	v_cvt_i32_f32_e32 v2, v2
	s_delay_alu instid0(VALU_DEP_2) | instskip(NEXT) | instid1(VALU_DEP_1)
	v_add_f32_e32 v1, v1, v3
	v_exp_f32_e32 v1, v1
	s_waitcnt_depctr 0xfff
	v_ldexp_f32 v1, v1, v2
	s_delay_alu instid0(VALU_DEP_1) | instskip(SKIP_1) | instid1(VALU_DEP_2)
	v_cndmask_b32_e32 v1, 0, v1, vcc_lo
	v_cmp_nlt_f32_e32 vcc_lo, 0x42b17218, v0
	v_cndmask_b32_e32 v0, 0x7f800000, v1, vcc_lo
	s_delay_alu instid0(VALU_DEP_1) | instskip(NEXT) | instid1(VALU_DEP_1)
	v_add_f32_e32 v0, 1.0, v0
	v_rcp_f32_e32 v0, v0
	s_waitcnt_depctr 0xfff
	v_fma_f32 v59, v0, -2.0, 1.0
.LBB79_11:                              ;   in Loop: Header=BB79_9 Depth=1
	s_and_not1_saveexec_b32 s19, s19
; %bb.12:                               ;   in Loop: Header=BB79_9 Depth=1
	v_mul_f32_e32 v0, v35, v35
	s_delay_alu instid0(VALU_DEP_1) | instskip(NEXT) | instid1(VALU_DEP_1)
	v_fmaak_f32 v1, s18, v0, 0x3ca908c9
	v_fmaak_f32 v1, v0, v1, 0xbd5c1c4e
	s_delay_alu instid0(VALU_DEP_1) | instskip(NEXT) | instid1(VALU_DEP_1)
	v_fmaak_f32 v1, v0, v1, 0x3e088382
	v_fmaak_f32 v1, v0, v1, 0xbeaaaa99
	s_delay_alu instid0(VALU_DEP_1) | instskip(NEXT) | instid1(VALU_DEP_1)
	v_mul_f32_e64 v1, |v35|, v1
	v_fma_f32 v59, v0, v1, |v35|
; %bb.13:                               ;   in Loop: Header=BB79_9 Depth=1
	s_or_b32 exec_lo, exec_lo, s19
	v_add_nc_u32_e32 v0, s3, v18
	v_cmp_ngt_f32_e64 s19, 0x3f200000, |v58|
                                        ; implicit-def: $vgpr61
	s_delay_alu instid0(VALU_DEP_2) | instskip(NEXT) | instid1(VALU_DEP_1)
	v_ashrrev_i32_e32 v1, 31, v0
	v_lshlrev_b64 v[0:1], 1, v[0:1]
	s_delay_alu instid0(VALU_DEP_1) | instskip(NEXT) | instid1(VALU_DEP_2)
	v_add_co_u32 v0, vcc_lo, s34, v0
	v_add_co_ci_u32_e32 v1, vcc_lo, s35, v1, vcc_lo
	flat_load_u16 v60, v[0:1]
	s_and_saveexec_b32 s20, s19
	s_delay_alu instid0(SALU_CYCLE_1)
	s_xor_b32 s19, exec_lo, s20
	s_cbranch_execz .LBB79_15
; %bb.14:                               ;   in Loop: Header=BB79_9 Depth=1
	v_add_f32_e64 v2, |v58|, |v58|
	s_delay_alu instid0(VALU_DEP_1) | instskip(SKIP_1) | instid1(VALU_DEP_2)
	v_mul_f32_e32 v3, 0x3fb8aa3b, v2
	v_cmp_ngt_f32_e32 vcc_lo, 0xc2ce8ed0, v2
	v_rndne_f32_e32 v4, v3
	v_fma_f32 v5, 0x3fb8aa3b, v2, -v3
	s_delay_alu instid0(VALU_DEP_2) | instskip(NEXT) | instid1(VALU_DEP_2)
	v_sub_f32_e32 v3, v3, v4
	v_fmac_f32_e32 v5, 0x32a5705f, v2
	v_cvt_i32_f32_e32 v4, v4
	s_delay_alu instid0(VALU_DEP_2) | instskip(NEXT) | instid1(VALU_DEP_1)
	v_add_f32_e32 v3, v3, v5
	v_exp_f32_e32 v3, v3
	s_waitcnt_depctr 0xfff
	v_ldexp_f32 v3, v3, v4
	s_delay_alu instid0(VALU_DEP_1) | instskip(SKIP_1) | instid1(VALU_DEP_2)
	v_cndmask_b32_e32 v3, 0, v3, vcc_lo
	v_cmp_nlt_f32_e32 vcc_lo, 0x42b17218, v2
	v_cndmask_b32_e32 v2, 0x7f800000, v3, vcc_lo
	s_delay_alu instid0(VALU_DEP_1) | instskip(NEXT) | instid1(VALU_DEP_1)
	v_add_f32_e32 v2, 1.0, v2
	v_rcp_f32_e32 v2, v2
	s_waitcnt_depctr 0xfff
	v_fma_f32 v61, v2, -2.0, 1.0
.LBB79_15:                              ;   in Loop: Header=BB79_9 Depth=1
	s_and_not1_saveexec_b32 s19, s19
; %bb.16:                               ;   in Loop: Header=BB79_9 Depth=1
	v_mul_f32_e32 v2, v58, v58
	s_delay_alu instid0(VALU_DEP_1) | instskip(NEXT) | instid1(VALU_DEP_1)
	v_fmaak_f32 v3, s18, v2, 0x3ca908c9
	v_fmaak_f32 v3, v2, v3, 0xbd5c1c4e
	s_delay_alu instid0(VALU_DEP_1) | instskip(NEXT) | instid1(VALU_DEP_1)
	v_fmaak_f32 v3, v2, v3, 0x3e088382
	v_fmaak_f32 v3, v2, v3, 0xbeaaaa99
	s_delay_alu instid0(VALU_DEP_1) | instskip(NEXT) | instid1(VALU_DEP_1)
	v_mul_f32_e64 v3, |v58|, v3
	v_fma_f32 v61, v2, v3, |v58|
; %bb.17:                               ;   in Loop: Header=BB79_9 Depth=1
	s_or_b32 exec_lo, exec_lo, s19
	flat_load_u16 v62, v[0:1] offset:64
	s_mul_hi_i32 s21, s3, s10
	s_mul_i32 s20, s3, s10
	s_waitcnt vmcnt(0) lgkmcnt(0)
	s_lshl_b64 s[20:21], s[20:21], 2
	s_barrier
	s_add_u32 s19, s11, s20
	s_addc_u32 s20, s16, s21
	v_add_co_u32 v0, vcc_lo, s19, v27
	v_add_co_ci_u32_e32 v1, vcc_lo, s20, v28, vcc_lo
	v_add_co_u32 v2, vcc_lo, s19, v29
	v_add_co_ci_u32_e32 v3, vcc_lo, s20, v30, vcc_lo
	;; [unrolled: 2-line block ×8, first 2 shown]
	buffer_gl0_inv
	s_clause 0x3
	global_load_b128 v[0:3], v[0:1], off
	global_load_b128 v[4:7], v[4:5], off
	;; [unrolled: 1-line block ×4, first 2 shown]
	v_bfi_b32 v35, 0x7fffffff, v59, v35
	v_bfi_b32 v59, 0x7fffffff, v61, v58
	v_xor_b32_e32 v58, 16, v38
	s_or_b32 s19, s3, 32
	s_delay_alu instid0(VALU_DEP_3) | instskip(SKIP_1) | instid1(VALU_DEP_2)
	v_fma_mix_f32 v65, v35, s17, v60 op_sel_hi:[0,0,1]
	s_mul_hi_i32 s21, s19, s10
	v_cmp_gt_i32_e32 vcc_lo, 32, v58
	s_mul_i32 s20, s19, s10
	s_delay_alu instid0(SALU_CYCLE_1) | instskip(SKIP_3) | instid1(VALU_DEP_1)
	s_lshl_b64 s[20:21], s[20:21], 2
	v_cndmask_b32_e32 v35, v38, v58, vcc_lo
	s_add_u32 s19, s11, s20
	s_addc_u32 s20, s16, s21
	v_lshlrev_b32_e32 v35, 2, v35
	v_fma_mix_f32 v66, v59, s17, v62 op_sel_hi:[0,0,1]
	s_delay_alu instid0(VALU_DEP_1) | instskip(NEXT) | instid1(VALU_DEP_1)
	v_dual_add_f32 v59, 0x40051340, v65 :: v_dual_add_f32 v60, 0x40051340, v66
	v_max3_f32 v60, v57, v59, v60
	v_xor_b32_e32 v59, 8, v38
	ds_bpermute_b32 v35, v35, v60
	v_cmp_gt_i32_e32 vcc_lo, 32, v59
	v_cndmask_b32_e32 v61, v38, v59, vcc_lo
	s_waitcnt lgkmcnt(0)
	v_max_f32_e32 v35, v35, v35
	s_delay_alu instid0(VALU_DEP_1) | instskip(SKIP_1) | instid1(VALU_DEP_1)
	v_max_f32_e32 v35, v60, v35
	v_xor_b32_e32 v60, 4, v38
	v_cmp_gt_i32_e32 vcc_lo, 32, v60
	v_cndmask_b32_e32 v62, v38, v60, vcc_lo
	s_delay_alu instid0(VALU_DEP_1) | instskip(SKIP_4) | instid1(VALU_DEP_1)
	v_lshlrev_b32_e32 v62, 2, v62
	v_lshlrev_b32_e32 v61, 2, v61
	ds_bpermute_b32 v61, v61, v35
	s_waitcnt lgkmcnt(0)
	v_max_f32_e32 v61, v61, v61
	v_max_f32_e32 v35, v35, v61
	v_xor_b32_e32 v61, 2, v38
	ds_bpermute_b32 v62, v62, v35
	v_cmp_gt_i32_e32 vcc_lo, 32, v61
	v_cndmask_b32_e32 v63, v38, v61, vcc_lo
	s_waitcnt lgkmcnt(0)
	s_delay_alu instid0(VALU_DEP_1) | instskip(NEXT) | instid1(VALU_DEP_1)
	v_dual_max_f32 v62, v62, v62 :: v_dual_lshlrev_b32 v63, 2, v63
	v_max_f32_e32 v35, v35, v62
	v_xor_b32_e32 v62, 1, v38
	ds_bpermute_b32 v63, v63, v35
	v_cmp_gt_i32_e32 vcc_lo, 32, v62
	v_cndmask_b32_e32 v64, v38, v62, vcc_lo
	v_add_co_u32 v74, vcc_lo, s19, v27
	v_add_co_ci_u32_e32 v75, vcc_lo, s20, v28, vcc_lo
	s_waitcnt lgkmcnt(0)
	s_delay_alu instid0(VALU_DEP_3) | instskip(NEXT) | instid1(VALU_DEP_1)
	v_dual_max_f32 v63, v63, v63 :: v_dual_lshlrev_b32 v64, 2, v64
	v_max_f32_e32 v35, v35, v63
	ds_bpermute_b32 v63, v64, v35
	v_add_nc_u32_e32 v64, 0x800, v51
	s_waitcnt lgkmcnt(0)
	v_max_f32_e32 v63, v63, v63
	s_delay_alu instid0(VALU_DEP_1) | instskip(NEXT) | instid1(VALU_DEP_1)
	v_max_f32_e32 v35, v35, v63
	v_sub_f32_e32 v57, v57, v35
	s_delay_alu instid0(VALU_DEP_1) | instskip(NEXT) | instid1(VALU_DEP_1)
	v_mul_f32_e32 v148, 0x3fb8aa3b, v57
	v_fma_f32 v149, 0x3fb8aa3b, v57, -v148
	v_rndne_f32_e32 v150, v148
	s_delay_alu instid0(VALU_DEP_1) | instskip(SKIP_2) | instid1(VALU_DEP_3)
	v_dual_fmac_f32 v149, 0x32a5705f, v57 :: v_dual_sub_f32 v148, v148, v150
	v_add_nc_u32_e32 v63, 0x1000, v51
	v_sub_f32_e32 v66, v66, v35
	v_add_f32_e32 v148, v148, v149
	v_cvt_i32_f32_e32 v149, v150
	s_delay_alu instid0(VALU_DEP_3) | instskip(NEXT) | instid1(VALU_DEP_3)
	v_mul_f32_e32 v69, 0x3fb8aa3b, v66
	v_exp_f32_e32 v148, v148
	s_delay_alu instid0(VALU_DEP_1) | instskip(SKIP_1) | instid1(VALU_DEP_1)
	v_fma_f32 v72, 0x3fb8aa3b, v66, -v69
	v_rndne_f32_e32 v73, v69
	v_dual_sub_f32 v69, v69, v73 :: v_dual_fmac_f32 v72, 0x32a5705f, v66
	s_waitcnt_depctr 0xfff
	v_ldexp_f32 v148, v148, v149
	v_sub_f32_e32 v67, v65, v35
	v_cvt_i32_f32_e32 v73, v73
	s_delay_alu instid0(VALU_DEP_2) | instskip(NEXT) | instid1(VALU_DEP_1)
	v_dual_add_f32 v69, v69, v72 :: v_dual_mul_f32 v68, 0x3fb8aa3b, v67
	v_exp_f32_e32 v69, v69
	s_delay_alu instid0(VALU_DEP_1) | instskip(SKIP_1) | instid1(VALU_DEP_2)
	v_fma_f32 v70, 0x3fb8aa3b, v67, -v68
	v_rndne_f32_e32 v71, v68
	v_fmac_f32_e32 v70, 0x32a5705f, v67
	s_delay_alu instid0(VALU_DEP_2)
	v_sub_f32_e32 v68, v68, v71
	v_cvt_i32_f32_e32 v71, v71
	s_waitcnt_depctr 0xfff
	v_ldexp_f32 v69, v69, v73
	v_add_f32_e32 v68, v68, v70
	v_add_co_u32 v70, vcc_lo, s19, v29
	v_add_co_ci_u32_e32 v72, vcc_lo, s20, v30, vcc_lo
	s_delay_alu instid0(VALU_DEP_3)
	v_exp_f32_e32 v68, v68
	v_add_co_u32 v76, vcc_lo, s19, v31
	v_add_co_ci_u32_e32 v77, vcc_lo, s20, v32, vcc_lo
	v_add_co_u32 v78, vcc_lo, s19, v33
	v_add_co_ci_u32_e32 v79, vcc_lo, s20, v34, vcc_lo
	;; [unrolled: 2-line block ×3, first 2 shown]
	s_delay_alu instid0(TRANS32_DEP_1) | instskip(SKIP_1) | instid1(VALU_DEP_2)
	v_ldexp_f32 v68, v68, v71
	v_cmp_ngt_f32_e32 vcc_lo, 0xc2ce8ed0, v67
	v_cndmask_b32_e32 v68, 0, v68, vcc_lo
	v_cmp_ngt_f32_e32 vcc_lo, 0xc2ce8ed0, v66
	v_cndmask_b32_e32 v69, 0, v69, vcc_lo
	v_add_co_u32 v134, vcc_lo, v70, v53
	v_add_co_ci_u32_e32 v135, vcc_lo, 0, v72, vcc_lo
	v_cmp_nlt_f32_e32 vcc_lo, 0x42b17218, v67
	v_cndmask_b32_e32 v146, 0x7f800000, v68, vcc_lo
	v_cmp_nlt_f32_e32 vcc_lo, 0x42b17218, v66
	s_delay_alu instid0(VALU_DEP_2)
	v_cvt_f16_f32_e64 v66, v146
	v_cndmask_b32_e32 v147, 0x7f800000, v69, vcc_lo
	v_add_co_u32 v138, vcc_lo, v76, v53
	v_add_co_ci_u32_e32 v139, vcc_lo, 0, v77, vcc_lo
	v_add_co_u32 v142, vcc_lo, v78, v53
	v_add_co_ci_u32_e32 v143, vcc_lo, 0, v79, vcc_lo
	v_cmp_ngt_f32_e32 vcc_lo, 0xc2ce8ed0, v57
	v_cvt_f16_f32_e64 v67, v147
	ds_store_b16 v47, v66
	ds_store_b16 v47, v67 offset:64
	s_waitcnt vmcnt(3)
	ds_store_b128 v46, v[0:3]
	s_waitcnt vmcnt(2)
	ds_store_b128 v48, v[4:7]
	;; [unrolled: 2-line block ×4, first 2 shown]
	v_cndmask_b32_e32 v148, 0, v148, vcc_lo
	v_cmp_nlt_f32_e32 vcc_lo, 0x42b17218, v57
	s_waitcnt lgkmcnt(0)
	s_barrier
	buffer_gl0_inv
	v_cndmask_b32_e32 v57, 0x7f800000, v148, vcc_lo
	v_add_nc_u32_e32 v65, 0x1800, v51
	ds_load_2addr_b64 v[0:3], v51 offset1:32
	ds_load_2addr_b64 v[4:7], v51 offset0:64 offset1:96
	ds_load_2addr_b64 v[8:11], v51 offset0:128 offset1:160
	ds_load_b128 v[12:15], v45
	ds_load_b128 v[66:69], v45 offset:16
	ds_load_b128 v[70:73], v45 offset:32
	;; [unrolled: 1-line block ×3, first 2 shown]
	ds_load_2addr_b64 v[78:81], v51 offset0:192 offset1:224
	ds_load_2addr_b64 v[82:85], v64 offset1:32
	ds_load_2addr_b64 v[86:89], v64 offset0:64 offset1:96
	ds_load_2addr_b64 v[90:93], v64 offset0:128 offset1:160
	ds_load_2addr_b64 v[94:97], v64 offset0:192 offset1:224
	ds_load_2addr_b64 v[98:101], v63 offset1:32
	ds_load_2addr_b64 v[102:105], v63 offset0:64 offset1:96
	ds_load_2addr_b64 v[106:109], v63 offset0:128 offset1:160
	;; [unrolled: 4-line block ×3, first 2 shown]
	ds_load_2addr_b64 v[126:129], v65 offset0:192 offset1:224
	s_waitcnt lgkmcnt(0)
	s_barrier
	buffer_gl0_inv
	s_clause 0x3
	global_load_b128 v[130:133], v[130:131], off
	global_load_b128 v[134:137], v[134:135], off
	global_load_b128 v[138:141], v[138:139], off
	global_load_b128 v[142:145], v[142:143], off
	v_cvt_f16_f32_e64 v148, v57
	v_pk_mul_f16 v0, v0, v12 op_sel_hi:[1,0]
	v_pk_mul_f16 v1, v1, v12 op_sel_hi:[1,0]
	s_waitcnt vmcnt(3)
	ds_store_b128 v46, v[130:133]
	s_waitcnt vmcnt(2)
	ds_store_b128 v48, v[134:137]
	;; [unrolled: 2-line block ×4, first 2 shown]
	v_pk_fma_f16 v0, v54, v148, v0 op_sel_hi:[1,0,1]
	v_pk_fma_f16 v1, v56, v148, v1 op_sel_hi:[1,0,1]
	s_waitcnt lgkmcnt(0)
	s_barrier
	buffer_gl0_inv
	v_pk_fma_f16 v0, v2, v12, v0 op_sel:[0,1,0]
	v_pk_fma_f16 v1, v3, v12, v1 op_sel:[0,1,0]
	s_delay_alu instid0(VALU_DEP_2) | instskip(NEXT) | instid1(VALU_DEP_2)
	v_pk_fma_f16 v0, v4, v13, v0 op_sel_hi:[1,0,1]
	v_pk_fma_f16 v1, v5, v13, v1 op_sel_hi:[1,0,1]
	s_delay_alu instid0(VALU_DEP_2) | instskip(NEXT) | instid1(VALU_DEP_2)
	v_pk_fma_f16 v0, v6, v13, v0 op_sel:[0,1,0]
	v_pk_fma_f16 v1, v7, v13, v1 op_sel:[0,1,0]
	s_delay_alu instid0(VALU_DEP_2) | instskip(NEXT) | instid1(VALU_DEP_2)
	v_pk_fma_f16 v0, v8, v14, v0 op_sel_hi:[1,0,1]
	v_pk_fma_f16 v1, v9, v14, v1 op_sel_hi:[1,0,1]
	s_delay_alu instid0(VALU_DEP_2) | instskip(NEXT) | instid1(VALU_DEP_2)
	;; [unrolled: 6-line block ×13, first 2 shown]
	v_pk_fma_f16 v0, v120, v75, v0 op_sel:[0,1,0]
	v_pk_fma_f16 v8, v121, v75, v1 op_sel:[0,1,0]
	s_delay_alu instid0(VALU_DEP_2) | instskip(SKIP_4) | instid1(VALU_DEP_2)
	v_pk_fma_f16 v9, v122, v76, v0 op_sel_hi:[1,0,1]
	ds_load_2addr_b64 v[0:3], v51 offset1:32
	ds_load_b128 v[4:7], v45 offset:64
	v_pk_fma_f16 v8, v123, v76, v8 op_sel_hi:[1,0,1]
	v_pk_fma_f16 v9, v124, v76, v9 op_sel:[0,1,0]
	v_pk_fma_f16 v12, v125, v76, v8 op_sel:[0,1,0]
	s_delay_alu instid0(VALU_DEP_2) | instskip(SKIP_3) | instid1(VALU_DEP_2)
	v_pk_fma_f16 v13, v126, v77, v9 op_sel_hi:[1,0,1]
	ds_load_2addr_b64 v[8:11], v51 offset0:64 offset1:96
	v_pk_fma_f16 v12, v127, v77, v12 op_sel_hi:[1,0,1]
	v_pk_fma_f16 v54, v128, v77, v13 op_sel:[0,1,0]
	v_pk_fma_f16 v56, v129, v77, v12 op_sel:[0,1,0]
	ds_load_2addr_b64 v[12:15], v51 offset0:128 offset1:160
	ds_load_b128 v[66:69], v45 offset:80
	s_waitcnt lgkmcnt(3)
	v_pk_fma_f16 v0, v0, v4, v54 op_sel_hi:[1,0,1]
	v_pk_fma_f16 v1, v1, v4, v56 op_sel_hi:[1,0,1]
	s_delay_alu instid0(VALU_DEP_2) | instskip(NEXT) | instid1(VALU_DEP_2)
	v_pk_fma_f16 v54, v2, v4, v0 op_sel:[0,1,0]
	v_pk_fma_f16 v4, v3, v4, v1 op_sel:[0,1,0]
	ds_load_2addr_b64 v[0:3], v51 offset0:192 offset1:224
	s_waitcnt lgkmcnt(3)
	v_pk_fma_f16 v8, v8, v5, v54 op_sel_hi:[1,0,1]
	v_pk_fma_f16 v4, v9, v5, v4 op_sel_hi:[1,0,1]
	s_delay_alu instid0(VALU_DEP_2) | instskip(NEXT) | instid1(VALU_DEP_2)
	v_pk_fma_f16 v54, v10, v5, v8 op_sel:[0,1,0]
	v_pk_fma_f16 v4, v11, v5, v4 op_sel:[0,1,0]
	ds_load_2addr_b64 v[8:11], v64 offset1:32
	s_waitcnt lgkmcnt(3)
	v_pk_fma_f16 v5, v12, v6, v54 op_sel_hi:[1,0,1]
	v_pk_fma_f16 v4, v13, v6, v4 op_sel_hi:[1,0,1]
	s_delay_alu instid0(VALU_DEP_2) | instskip(NEXT) | instid1(VALU_DEP_2)
	v_pk_fma_f16 v5, v14, v6, v5 op_sel:[0,1,0]
	v_pk_fma_f16 v4, v15, v6, v4 op_sel:[0,1,0]
	ds_load_2addr_b64 v[12:15], v64 offset0:64 offset1:96
	s_waitcnt lgkmcnt(2)
	v_pk_fma_f16 v0, v0, v7, v5 op_sel_hi:[1,0,1]
	v_pk_fma_f16 v1, v1, v7, v4 op_sel_hi:[1,0,1]
	s_delay_alu instid0(VALU_DEP_2) | instskip(NEXT) | instid1(VALU_DEP_2)
	v_pk_fma_f16 v4, v2, v7, v0 op_sel:[0,1,0]
	v_pk_fma_f16 v5, v3, v7, v1 op_sel:[0,1,0]
	ds_load_2addr_b64 v[0:3], v64 offset0:128 offset1:160
	s_waitcnt lgkmcnt(2)
	v_pk_fma_f16 v4, v8, v66, v4 op_sel_hi:[1,0,1]
	v_pk_fma_f16 v5, v9, v66, v5 op_sel_hi:[1,0,1]
	s_delay_alu instid0(VALU_DEP_2) | instskip(NEXT) | instid1(VALU_DEP_2)
	v_pk_fma_f16 v4, v10, v66, v4 op_sel:[0,1,0]
	v_pk_fma_f16 v8, v11, v66, v5 op_sel:[0,1,0]
	s_waitcnt lgkmcnt(1)
	s_delay_alu instid0(VALU_DEP_2) | instskip(SKIP_3) | instid1(VALU_DEP_2)
	v_pk_fma_f16 v9, v12, v67, v4 op_sel_hi:[1,0,1]
	ds_load_2addr_b64 v[4:7], v64 offset0:192 offset1:224
	v_pk_fma_f16 v8, v13, v67, v8 op_sel_hi:[1,0,1]
	v_pk_fma_f16 v12, v14, v67, v9 op_sel:[0,1,0]
	v_pk_fma_f16 v54, v15, v67, v8 op_sel:[0,1,0]
	ds_load_2addr_b64 v[8:11], v63 offset1:32
	s_waitcnt lgkmcnt(2)
	v_pk_fma_f16 v0, v0, v68, v12 op_sel_hi:[1,0,1]
	ds_load_b128 v[12:15], v45 offset:96
	v_pk_fma_f16 v1, v1, v68, v54 op_sel_hi:[1,0,1]
	v_pk_fma_f16 v54, v2, v68, v0 op_sel:[0,1,0]
	s_delay_alu instid0(VALU_DEP_2) | instskip(SKIP_4) | instid1(VALU_DEP_2)
	v_pk_fma_f16 v56, v3, v68, v1 op_sel:[0,1,0]
	ds_load_2addr_b64 v[0:3], v63 offset0:64 offset1:96
	s_waitcnt lgkmcnt(3)
	v_pk_fma_f16 v4, v4, v69, v54 op_sel_hi:[1,0,1]
	v_pk_fma_f16 v5, v5, v69, v56 op_sel_hi:[1,0,1]
	v_pk_fma_f16 v54, v6, v69, v4 op_sel:[0,1,0]
	s_delay_alu instid0(VALU_DEP_2)
	v_pk_fma_f16 v56, v7, v69, v5 op_sel:[0,1,0]
	ds_load_2addr_b64 v[4:7], v63 offset0:128 offset1:160
	ds_load_b128 v[66:69], v45 offset:112
	s_waitcnt lgkmcnt(3)
	v_pk_fma_f16 v8, v8, v12, v54 op_sel_hi:[1,0,1]
	v_pk_fma_f16 v9, v9, v12, v56 op_sel_hi:[1,0,1]
	s_delay_alu instid0(VALU_DEP_2) | instskip(NEXT) | instid1(VALU_DEP_2)
	v_pk_fma_f16 v54, v10, v12, v8 op_sel:[0,1,0]
	v_pk_fma_f16 v12, v11, v12, v9 op_sel:[0,1,0]
	ds_load_2addr_b64 v[8:11], v63 offset0:192 offset1:224
	s_waitcnt lgkmcnt(3)
	v_pk_fma_f16 v0, v0, v13, v54 op_sel_hi:[1,0,1]
	v_pk_fma_f16 v1, v1, v13, v12 op_sel_hi:[1,0,1]
	s_delay_alu instid0(VALU_DEP_2) | instskip(NEXT) | instid1(VALU_DEP_2)
	v_pk_fma_f16 v12, v2, v13, v0 op_sel:[0,1,0]
	v_pk_fma_f16 v13, v3, v13, v1 op_sel:[0,1,0]
	ds_load_2addr_b64 v[0:3], v65 offset1:32
	s_waitcnt lgkmcnt(3)
	v_pk_fma_f16 v4, v4, v14, v12 op_sel_hi:[1,0,1]
	v_pk_fma_f16 v5, v5, v14, v13 op_sel_hi:[1,0,1]
	s_delay_alu instid0(VALU_DEP_2) | instskip(NEXT) | instid1(VALU_DEP_2)
	v_pk_fma_f16 v12, v6, v14, v4 op_sel:[0,1,0]
	v_pk_fma_f16 v13, v7, v14, v5 op_sel:[0,1,0]
	ds_load_2addr_b64 v[4:7], v65 offset0:64 offset1:96
	s_waitcnt lgkmcnt(2)
	v_pk_fma_f16 v8, v8, v15, v12 op_sel_hi:[1,0,1]
	v_pk_fma_f16 v9, v9, v15, v13 op_sel_hi:[1,0,1]
	s_delay_alu instid0(VALU_DEP_2) | instskip(NEXT) | instid1(VALU_DEP_2)
	v_pk_fma_f16 v12, v10, v15, v8 op_sel:[0,1,0]
	v_pk_fma_f16 v13, v11, v15, v9 op_sel:[0,1,0]
	ds_load_2addr_b64 v[8:11], v65 offset0:128 offset1:160
	s_waitcnt lgkmcnt(2)
	v_pk_fma_f16 v0, v0, v66, v12 op_sel_hi:[1,0,1]
	v_pk_fma_f16 v1, v1, v66, v13 op_sel_hi:[1,0,1]
	s_delay_alu instid0(VALU_DEP_2) | instskip(NEXT) | instid1(VALU_DEP_2)
	v_pk_fma_f16 v12, v2, v66, v0 op_sel:[0,1,0]
	v_pk_fma_f16 v13, v3, v66, v1 op_sel:[0,1,0]
	s_waitcnt lgkmcnt(1)
	s_delay_alu instid0(VALU_DEP_2) | instskip(NEXT) | instid1(VALU_DEP_2)
	v_pk_fma_f16 v4, v4, v67, v12 op_sel_hi:[1,0,1]
	v_pk_fma_f16 v5, v5, v67, v13 op_sel_hi:[1,0,1]
	s_delay_alu instid0(VALU_DEP_2) | instskip(NEXT) | instid1(VALU_DEP_2)
	v_pk_fma_f16 v4, v6, v67, v4 op_sel:[0,1,0]
	v_pk_fma_f16 v5, v7, v67, v5 op_sel:[0,1,0]
	s_waitcnt lgkmcnt(0)
	s_delay_alu instid0(VALU_DEP_2) | instskip(NEXT) | instid1(VALU_DEP_2)
	v_pk_fma_f16 v4, v8, v68, v4 op_sel_hi:[1,0,1]
	v_pk_fma_f16 v5, v9, v68, v5 op_sel_hi:[1,0,1]
	s_delay_alu instid0(VALU_DEP_2) | instskip(SKIP_1) | instid1(VALU_DEP_3)
	v_pk_fma_f16 v6, v10, v68, v4 op_sel:[0,1,0]
	v_add_f32_e32 v4, v146, v147
	v_pk_fma_f16 v5, v11, v68, v5 op_sel:[0,1,0]
	s_delay_alu instid0(VALU_DEP_2)
	v_fmac_f32_e32 v4, v55, v57
	ds_load_2addr_b64 v[0:3], v65 offset0:192 offset1:224
	s_waitcnt lgkmcnt(0)
	s_barrier
	buffer_gl0_inv
	s_load_b32 s19, s[4:5], 0x4
	v_pk_fma_f16 v0, v0, v69, v6 op_sel_hi:[1,0,1]
	v_pk_fma_f16 v1, v1, v69, v5 op_sel_hi:[1,0,1]
	s_waitcnt lgkmcnt(0)
	s_lshl_b32 s19, s19, 6
	s_delay_alu instid0(VALU_DEP_2) | instskip(NEXT) | instid1(VALU_DEP_2)
	v_pk_fma_f16 v54, v2, v69, v0 op_sel:[0,1,0]
	v_pk_fma_f16 v56, v3, v69, v1 op_sel:[0,1,0]
	s_add_i32 s3, s19, s3
	s_delay_alu instid0(SALU_CYCLE_1)
	s_cmp_lt_i32 s3, s2
	s_cbranch_scc0 .LBB79_19
; %bb.18:                               ;   in Loop: Header=BB79_9 Depth=1
	v_mov_b32_e32 v57, v35
	v_mov_b32_e32 v55, v4
	s_branch .LBB79_9
.LBB79_19:
	v_dual_mov_b32 v0, 32 :: v_dual_mov_b32 v3, v38
.LBB79_20:
	s_delay_alu instid0(VALU_DEP_1)
	v_cmp_lt_i32_e32 vcc_lo, v58, v0
	s_cmp_eq_u64 s[24:25], 0
	s_cselect_b32 s2, -1, 0
	s_cmp_lg_u32 s14, 0
	v_cndmask_b32_e32 v1, v3, v58, vcc_lo
	v_cmp_lt_i32_e32 vcc_lo, v59, v0
	s_cselect_b32 s3, -1, 0
	s_delay_alu instid0(SALU_CYCLE_1) | instskip(NEXT) | instid1(VALU_DEP_2)
	s_or_b32 s2, s3, s2
	v_dual_cndmask_b32 v2, v3, v59 :: v_dual_lshlrev_b32 v1, 2, v1
	v_cmp_lt_i32_e32 vcc_lo, v60, v0
	ds_bpermute_b32 v1, v1, v4
	s_waitcnt lgkmcnt(0)
	v_dual_add_f32 v1, v4, v1 :: v_dual_lshlrev_b32 v2, 2, v2
	ds_bpermute_b32 v2, v2, v1
	v_cndmask_b32_e32 v4, v3, v60, vcc_lo
	v_cmp_lt_i32_e32 vcc_lo, v61, v0
	s_waitcnt lgkmcnt(0)
	s_delay_alu instid0(VALU_DEP_2)
	v_dual_add_f32 v1, v1, v2 :: v_dual_lshlrev_b32 v4, 2, v4
	ds_bpermute_b32 v2, v4, v1
	v_cndmask_b32_e32 v4, v3, v61, vcc_lo
	v_cmp_lt_i32_e32 vcc_lo, v62, v0
	v_cndmask_b32_e32 v0, v3, v62, vcc_lo
	s_and_b32 vcc_lo, exec_lo, s2
	s_waitcnt lgkmcnt(0)
	s_delay_alu instid0(VALU_DEP_1)
	v_dual_add_f32 v1, v1, v2 :: v_dual_lshlrev_b32 v0, 2, v0
	v_lshlrev_b32_e32 v4, 2, v4
	ds_bpermute_b32 v2, v4, v1
	s_waitcnt lgkmcnt(0)
	v_add_f32_e32 v1, v1, v2
	ds_bpermute_b32 v2, v0, v1
	v_add_nc_u32_e32 v0, s15, v36
	s_waitcnt lgkmcnt(0)
	v_add_f32_e32 v36, v1, v2
	s_cbranch_vccnz .LBB79_22
; %bb.21:
	s_delay_alu instid0(VALU_DEP_2) | instskip(NEXT) | instid1(VALU_DEP_1)
	v_ashrrev_i32_e32 v1, 31, v0
	v_lshlrev_b64 v[1:2], 2, v[0:1]
	s_delay_alu instid0(VALU_DEP_1) | instskip(NEXT) | instid1(VALU_DEP_2)
	v_add_co_u32 v1, vcc_lo, s24, v1
	v_add_co_ci_u32_e32 v2, vcc_lo, s25, v2, vcc_lo
	global_load_b32 v1, v[1:2], off
	s_waitcnt vmcnt(0)
	v_dual_max_f32 v2, v35, v35 :: v_dual_max_f32 v3, v1, v1
	s_delay_alu instid0(VALU_DEP_1) | instskip(NEXT) | instid1(VALU_DEP_1)
	v_max_f32_e32 v2, v2, v3
	v_sub_f32_e32 v1, v1, v2
	s_delay_alu instid0(VALU_DEP_1) | instskip(SKIP_2) | instid1(VALU_DEP_3)
	v_mul_f32_e32 v5, 0x3fb8aa3b, v1
	v_sub_f32_e32 v3, v35, v2
	v_mov_b32_e32 v35, v2
	v_rndne_f32_e32 v9, v5
	s_delay_alu instid0(VALU_DEP_3) | instskip(SKIP_1) | instid1(VALU_DEP_3)
	v_mul_f32_e32 v4, 0x3fb8aa3b, v3
	v_fma_f32 v8, 0x3fb8aa3b, v1, -v5
	v_sub_f32_e32 v5, v5, v9
	s_delay_alu instid0(VALU_DEP_3) | instskip(SKIP_1) | instid1(VALU_DEP_4)
	v_fma_f32 v6, 0x3fb8aa3b, v3, -v4
	v_rndne_f32_e32 v7, v4
	v_fmac_f32_e32 v8, 0x32a5705f, v1
	s_delay_alu instid0(VALU_DEP_2) | instskip(NEXT) | instid1(VALU_DEP_4)
	v_sub_f32_e32 v4, v4, v7
	v_fmac_f32_e32 v6, 0x32a5705f, v3
	v_cmp_ngt_f32_e32 vcc_lo, 0xc2ce8ed0, v3
	s_delay_alu instid0(VALU_DEP_2) | instskip(SKIP_1) | instid1(VALU_DEP_2)
	v_dual_add_f32 v5, v5, v8 :: v_dual_add_f32 v4, v4, v6
	v_cvt_i32_f32_e32 v6, v7
	v_exp_f32_e32 v5, v5
	v_cvt_i32_f32_e32 v7, v9
	s_delay_alu instid0(VALU_DEP_3) | instskip(SKIP_3) | instid1(VALU_DEP_1)
	v_exp_f32_e32 v4, v4
	s_waitcnt_depctr 0xfff
	v_ldexp_f32 v5, v5, v7
	v_ldexp_f32 v4, v4, v6
	v_cndmask_b32_e32 v4, 0, v4, vcc_lo
	v_cmp_ngt_f32_e32 vcc_lo, 0xc2ce8ed0, v1
	s_delay_alu instid0(VALU_DEP_4) | instskip(SKIP_1) | instid1(VALU_DEP_4)
	v_cndmask_b32_e32 v5, 0, v5, vcc_lo
	v_cmp_nlt_f32_e32 vcc_lo, 0x42b17218, v3
	v_cndmask_b32_e32 v3, 0x7f800000, v4, vcc_lo
	v_cmp_nlt_f32_e32 vcc_lo, 0x42b17218, v1
	s_delay_alu instid0(VALU_DEP_4) | instskip(NEXT) | instid1(VALU_DEP_1)
	v_cndmask_b32_e32 v1, 0x7f800000, v5, vcc_lo
	v_fmac_f32_e32 v1, v36, v3
	s_delay_alu instid0(VALU_DEP_1) | instskip(SKIP_1) | instid1(VALU_DEP_1)
	v_mov_b32_e32 v36, v1
	v_cvt_f16_f32_e32 v4, v3
	v_pk_mul_f16 v54, v4, v54 op_sel_hi:[0,1]
	v_pk_mul_f16 v56, v4, v56 op_sel_hi:[0,1]
.LBB79_22:
	s_delay_alu instid0(VALU_DEP_1) | instskip(SKIP_2) | instid1(VALU_DEP_2)
	v_div_scale_f32 v4, null, v36, v36, 1.0
	s_load_b32 s0, s[0:1], 0xd4
	v_div_scale_f32 v6, vcc_lo, 1.0, v36, 1.0
	v_rcp_f32_e32 v5, v4
	s_waitcnt_depctr 0xfff
	v_fma_f32 v1, -v4, v5, 1.0
	s_delay_alu instid0(VALU_DEP_1) | instskip(SKIP_4) | instid1(VALU_DEP_1)
	v_fmac_f32_e32 v5, v1, v5
	v_mad_u64_u32 v[1:2], null, s12, s6, v[17:18]
	s_waitcnt lgkmcnt(0)
	s_cmp_lg_u32 s0, 1
	s_cselect_b32 s1, -1, 0
	v_mad_u64_u32 v[2:3], null, v1, s7, v[0:1]
	s_delay_alu instid0(VALU_DEP_1) | instskip(SKIP_1) | instid1(VALU_DEP_1)
	v_mad_u64_u32 v[0:1], null, s0, v2, s[14:15]
	v_dual_mov_b32 v2, 0 :: v_dual_mul_f32 v7, v6, v5
	v_fma_f32 v8, -v4, v7, v6
	s_delay_alu instid0(VALU_DEP_1) | instskip(NEXT) | instid1(VALU_DEP_1)
	v_fmac_f32_e32 v7, v8, v5
	v_fma_f32 v3, -v4, v7, v6
	v_lshrrev_b32_e32 v4, 16, v54
	s_delay_alu instid0(VALU_DEP_2)
	v_div_fmas_f32 v1, v3, v5, v7
	v_lshrrev_b32_e32 v5, 16, v56
	v_cvt_f32_f16_e32 v3, v54
	v_cvt_f32_f16_e32 v7, v56
	;; [unrolled: 1-line block ×3, first 2 shown]
	v_div_fixup_f32 v6, v1, v36, 1.0
	v_lshl_add_u32 v1, v0, 7, v37
	v_cvt_f32_f16_e32 v9, v5
	v_cmp_eq_u32_e32 vcc_lo, 0, v16
	s_delay_alu instid0(VALU_DEP_4) | instskip(NEXT) | instid1(VALU_DEP_4)
	v_cndmask_b32_e64 v8, v6, 1.0, s1
	v_lshlrev_b64 v[5:6], 2, v[1:2]
	s_delay_alu instid0(VALU_DEP_2) | instskip(SKIP_1) | instid1(VALU_DEP_3)
	v_mul_f32_e32 v2, v8, v4
	v_mul_f32_e32 v1, v8, v3
	v_add_co_u32 v5, s0, s28, v5
	v_mul_f32_e32 v3, v8, v7
	v_mul_f32_e32 v4, v8, v9
	v_add_co_ci_u32_e64 v6, s0, s29, v6, s0
	s_and_b32 s0, vcc_lo, s1
	global_store_b128 v[5:6], v[1:4], off
	s_and_saveexec_b32 s1, s0
	s_cbranch_execz .LBB79_24
; %bb.23:
	v_ashrrev_i32_e32 v1, 31, v0
	s_delay_alu instid0(VALU_DEP_1) | instskip(NEXT) | instid1(VALU_DEP_1)
	v_lshlrev_b64 v[0:1], 3, v[0:1]
	v_add_co_u32 v0, vcc_lo, s30, v0
	s_delay_alu instid0(VALU_DEP_2)
	v_add_co_ci_u32_e32 v1, vcc_lo, s31, v1, vcc_lo
	global_store_b64 v[0:1], v[35:36], off
.LBB79_24:
	s_nop 0
	s_sendmsg sendmsg(MSG_DEALLOC_VGPRS)
	s_endpgm
	.section	.rodata,"a",@progbits
	.p2align	6, 0x0
	.amdhsa_kernel _ZL15flash_attn_tileILi128ELi128ELi1ELi4ELb1EEvPKcS1_S1_S1_S1_PKiPfP15HIP_vector_typeIfLj2EEffffjfiS5_IjLj3EEiiiiiiiiiiiliiliiiiil
		.amdhsa_group_segment_fixed_size 10752
		.amdhsa_private_segment_fixed_size 0
		.amdhsa_kernarg_size 464
		.amdhsa_user_sgpr_count 13
		.amdhsa_user_sgpr_dispatch_ptr 0
		.amdhsa_user_sgpr_queue_ptr 0
		.amdhsa_user_sgpr_kernarg_segment_ptr 1
		.amdhsa_user_sgpr_dispatch_id 0
		.amdhsa_user_sgpr_private_segment_size 0
		.amdhsa_wavefront_size32 1
		.amdhsa_uses_dynamic_stack 0
		.amdhsa_enable_private_segment 0
		.amdhsa_system_sgpr_workgroup_id_x 1
		.amdhsa_system_sgpr_workgroup_id_y 1
		.amdhsa_system_sgpr_workgroup_id_z 1
		.amdhsa_system_sgpr_workgroup_info 0
		.amdhsa_system_vgpr_workitem_id 1
		.amdhsa_next_free_vgpr 151
		.amdhsa_next_free_sgpr 40
		.amdhsa_reserve_vcc 1
		.amdhsa_float_round_mode_32 0
		.amdhsa_float_round_mode_16_64 0
		.amdhsa_float_denorm_mode_32 3
		.amdhsa_float_denorm_mode_16_64 3
		.amdhsa_dx10_clamp 1
		.amdhsa_ieee_mode 1
		.amdhsa_fp16_overflow 0
		.amdhsa_workgroup_processor_mode 1
		.amdhsa_memory_ordered 1
		.amdhsa_forward_progress 0
		.amdhsa_shared_vgpr_count 0
		.amdhsa_exception_fp_ieee_invalid_op 0
		.amdhsa_exception_fp_denorm_src 0
		.amdhsa_exception_fp_ieee_div_zero 0
		.amdhsa_exception_fp_ieee_overflow 0
		.amdhsa_exception_fp_ieee_underflow 0
		.amdhsa_exception_fp_ieee_inexact 0
		.amdhsa_exception_int_div_zero 0
	.end_amdhsa_kernel
	.section	.text._ZL15flash_attn_tileILi128ELi128ELi1ELi4ELb1EEvPKcS1_S1_S1_S1_PKiPfP15HIP_vector_typeIfLj2EEffffjfiS5_IjLj3EEiiiiiiiiiiiliiliiiiil,"axG",@progbits,_ZL15flash_attn_tileILi128ELi128ELi1ELi4ELb1EEvPKcS1_S1_S1_S1_PKiPfP15HIP_vector_typeIfLj2EEffffjfiS5_IjLj3EEiiiiiiiiiiiliiliiiiil,comdat
.Lfunc_end79:
	.size	_ZL15flash_attn_tileILi128ELi128ELi1ELi4ELb1EEvPKcS1_S1_S1_S1_PKiPfP15HIP_vector_typeIfLj2EEffffjfiS5_IjLj3EEiiiiiiiiiiiliiliiiiil, .Lfunc_end79-_ZL15flash_attn_tileILi128ELi128ELi1ELi4ELb1EEvPKcS1_S1_S1_S1_PKiPfP15HIP_vector_typeIfLj2EEffffjfiS5_IjLj3EEiiiiiiiiiiiliiliiiiil
                                        ; -- End function
	.section	.AMDGPU.csdata,"",@progbits
; Kernel info:
; codeLenInByte = 9252
; NumSgprs: 42
; NumVgprs: 151
; ScratchSize: 0
; MemoryBound: 0
; FloatMode: 240
; IeeeMode: 1
; LDSByteSize: 10752 bytes/workgroup (compile time only)
; SGPRBlocks: 5
; VGPRBlocks: 18
; NumSGPRsForWavesPerEU: 42
; NumVGPRsForWavesPerEU: 151
; Occupancy: 9
; WaveLimiterHint : 1
; COMPUTE_PGM_RSRC2:SCRATCH_EN: 0
; COMPUTE_PGM_RSRC2:USER_SGPR: 13
; COMPUTE_PGM_RSRC2:TRAP_HANDLER: 0
; COMPUTE_PGM_RSRC2:TGID_X_EN: 1
; COMPUTE_PGM_RSRC2:TGID_Y_EN: 1
; COMPUTE_PGM_RSRC2:TGID_Z_EN: 1
; COMPUTE_PGM_RSRC2:TIDIG_COMP_CNT: 1
	.section	.text._ZL15flash_attn_tileILi128ELi128ELi32ELi2ELb1EEvPKcS1_S1_S1_S1_PKiPfP15HIP_vector_typeIfLj2EEffffjfiS5_IjLj3EEiiiiiiiiiiiliiliiiiil,"axG",@progbits,_ZL15flash_attn_tileILi128ELi128ELi32ELi2ELb1EEvPKcS1_S1_S1_S1_PKiPfP15HIP_vector_typeIfLj2EEffffjfiS5_IjLj3EEiiiiiiiiiiiliiliiiiil,comdat
	.globl	_ZL15flash_attn_tileILi128ELi128ELi32ELi2ELb1EEvPKcS1_S1_S1_S1_PKiPfP15HIP_vector_typeIfLj2EEffffjfiS5_IjLj3EEiiiiiiiiiiiliiliiiiil ; -- Begin function _ZL15flash_attn_tileILi128ELi128ELi32ELi2ELb1EEvPKcS1_S1_S1_S1_PKiPfP15HIP_vector_typeIfLj2EEffffjfiS5_IjLj3EEiiiiiiiiiiiliiliiiiil
	.p2align	8
	.type	_ZL15flash_attn_tileILi128ELi128ELi32ELi2ELb1EEvPKcS1_S1_S1_S1_PKiPfP15HIP_vector_typeIfLj2EEffffjfiS5_IjLj3EEiiiiiiiiiiiliiliiiiil,@function
_ZL15flash_attn_tileILi128ELi128ELi32ELi2ELb1EEvPKcS1_S1_S1_S1_PKiPfP15HIP_vector_typeIfLj2EEffffjfiS5_IjLj3EEiiiiiiiiiiiliiliiiiil: ; @_ZL15flash_attn_tileILi128ELi128ELi32ELi2ELb1EEvPKcS1_S1_S1_S1_PKiPfP15HIP_vector_typeIfLj2EEffffjfiS5_IjLj3EEiiiiiiiiiiiliiliiiiil
; %bb.0:
	s_clause 0x3
	s_load_b128 s[4:7], s[0:1], 0x5c
	s_load_b64 s[34:35], s[0:1], 0x80
	s_load_b512 s[16:31], s[0:1], 0x0
	s_load_b64 s[38:39], s[0:1], 0xb8
	s_mov_b64 s[36:37], 0
	s_waitcnt lgkmcnt(0)
	s_lshr_b32 s2, s7, 31
	s_delay_alu instid0(SALU_CYCLE_1) | instskip(NEXT) | instid1(SALU_CYCLE_1)
	s_add_i32 s2, s7, s2
	s_ashr_i32 s2, s2, 1
	s_delay_alu instid0(SALU_CYCLE_1) | instskip(SKIP_1) | instid1(VALU_DEP_1)
	v_cvt_f32_u32_e32 v1, s2
	s_sub_i32 s8, 0, s2
	v_rcp_iflag_f32_e32 v1, v1
	s_waitcnt_depctr 0xfff
	v_mul_f32_e32 v1, 0x4f7ffffe, v1
	s_delay_alu instid0(VALU_DEP_1) | instskip(NEXT) | instid1(VALU_DEP_1)
	v_cvt_u32_f32_e32 v1, v1
	v_readfirstlane_b32 s3, v1
	s_delay_alu instid0(VALU_DEP_1) | instskip(NEXT) | instid1(SALU_CYCLE_1)
	s_mul_i32 s8, s8, s3
	s_mul_hi_u32 s8, s3, s8
	s_delay_alu instid0(SALU_CYCLE_1) | instskip(NEXT) | instid1(SALU_CYCLE_1)
	s_add_i32 s3, s3, s8
	s_mul_hi_u32 s3, s15, s3
	s_delay_alu instid0(SALU_CYCLE_1) | instskip(SKIP_2) | instid1(SALU_CYCLE_1)
	s_mul_i32 s8, s3, s2
	s_add_i32 s9, s3, 1
	s_sub_i32 s8, s15, s8
	s_sub_i32 s10, s8, s2
	s_cmp_ge_u32 s8, s2
	s_cselect_b32 s3, s9, s3
	s_cselect_b32 s8, s10, s8
	s_add_i32 s9, s3, 1
	s_cmp_ge_u32 s8, s2
	s_cselect_b32 s12, s9, s3
	s_abs_i32 s3, s35
	s_abs_i32 s11, s7
	v_cvt_f32_u32_e32 v1, s3
	s_sub_i32 s8, 0, s3
	s_lshl_b32 s9, s15, 1
	s_mul_i32 s10, s12, s7
	s_delay_alu instid0(VALU_DEP_1) | instskip(SKIP_2) | instid1(VALU_DEP_1)
	v_rcp_iflag_f32_e32 v1, v1
	s_waitcnt_depctr 0xfff
	v_mul_f32_e32 v1, 0x4f7ffffe, v1
	v_cvt_u32_f32_e32 v1, v1
	s_delay_alu instid0(VALU_DEP_1) | instskip(NEXT) | instid1(VALU_DEP_1)
	v_readfirstlane_b32 s2, v1
	s_mul_i32 s8, s8, s2
	s_delay_alu instid0(SALU_CYCLE_1) | instskip(NEXT) | instid1(SALU_CYCLE_1)
	s_mul_hi_u32 s8, s2, s8
	s_add_i32 s8, s2, s8
	s_sub_i32 s2, s9, s10
	s_mul_hi_u32 s8, s11, s8
	s_xor_b32 s9, s7, s35
	s_mul_i32 s10, s8, s3
	s_ashr_i32 s9, s9, 31
	s_sub_i32 s10, s11, s10
	s_add_i32 s11, s8, 1
	s_sub_i32 s15, s10, s3
	s_cmp_ge_u32 s10, s3
	s_cselect_b32 s8, s11, s8
	s_cselect_b32 s10, s15, s10
	s_add_i32 s11, s8, 1
	s_cmp_ge_u32 s10, s3
	s_cselect_b32 s3, s11, s8
	s_delay_alu instid0(SALU_CYCLE_1) | instskip(NEXT) | instid1(SALU_CYCLE_1)
	s_xor_b32 s3, s3, s9
	s_sub_i32 s35, s3, s9
	s_delay_alu instid0(SALU_CYCLE_1) | instskip(SKIP_2) | instid1(VALU_DEP_1)
	s_abs_i32 s33, s35
	s_cmp_eq_u64 s[22:23], 0
	v_cvt_f32_u32_e32 v1, s33
	v_rcp_iflag_f32_e32 v1, v1
	s_waitcnt_depctr 0xfff
	v_mul_f32_e32 v1, 0x4f7ffffe, v1
	s_delay_alu instid0(VALU_DEP_1) | instskip(NEXT) | instid1(VALU_DEP_1)
	v_cvt_u32_f32_e32 v1, v1
	v_readfirstlane_b32 s40, v1
	s_cbranch_scc1 .LBB80_2
; %bb.1:
	s_abs_i32 s3, s38
	s_abs_i32 s10, s12
	v_cvt_f32_u32_e32 v1, s3
	s_sub_i32 s9, 0, s3
	s_delay_alu instid0(VALU_DEP_1) | instskip(SKIP_2) | instid1(VALU_DEP_1)
	v_rcp_iflag_f32_e32 v1, v1
	s_waitcnt_depctr 0xfff
	v_mul_f32_e32 v1, 0x4f7ffffe, v1
	v_cvt_u32_f32_e32 v1, v1
	s_delay_alu instid0(VALU_DEP_1) | instskip(NEXT) | instid1(VALU_DEP_1)
	v_readfirstlane_b32 s8, v1
	s_mul_i32 s9, s9, s8
	s_delay_alu instid0(SALU_CYCLE_1) | instskip(NEXT) | instid1(SALU_CYCLE_1)
	s_mul_hi_u32 s9, s8, s9
	s_add_i32 s11, s8, s9
	s_load_b64 s[8:9], s[0:1], 0xc8
	s_mul_hi_u32 s11, s10, s11
	s_delay_alu instid0(SALU_CYCLE_1) | instskip(NEXT) | instid1(SALU_CYCLE_1)
	s_mul_i32 s11, s11, s3
	s_sub_i32 s10, s10, s11
	s_ashr_i32 s11, s12, 31
	s_sub_i32 s15, s10, s3
	s_cmp_ge_u32 s10, s3
	s_cselect_b32 s10, s15, s10
	s_delay_alu instid0(SALU_CYCLE_1) | instskip(SKIP_2) | instid1(SALU_CYCLE_1)
	s_sub_i32 s15, s10, s3
	s_cmp_ge_u32 s10, s3
	s_cselect_b32 s3, s15, s10
	s_xor_b32 s3, s3, s11
	s_delay_alu instid0(SALU_CYCLE_1)
	s_sub_i32 s3, s3, s11
	s_waitcnt lgkmcnt(0)
	s_mul_i32 s9, s3, s9
	s_mul_hi_u32 s10, s3, s8
	s_ashr_i32 s11, s3, 31
	s_add_i32 s9, s10, s9
	s_mul_i32 s11, s11, s8
	s_mul_i32 s3, s3, s8
	s_add_i32 s9, s9, s11
	s_add_u32 s36, s22, s3
	s_addc_u32 s37, s23, s9
.LBB80_2:
	v_bfe_u32 v8, v0, 10, 10
	s_lshl_b32 s15, s13, 5
	s_load_b128 s[8:11], s[0:1], 0x70
	v_and_b32_e32 v39, 0x3ff, v0
	s_delay_alu instid0(VALU_DEP_2) | instskip(SKIP_1) | instid1(VALU_DEP_3)
	v_lshlrev_b32_e32 v17, 3, v8
	v_lshlrev_b32_e32 v24, 2, v8
	;; [unrolled: 1-line block ×3, first 2 shown]
	s_delay_alu instid0(VALU_DEP_3) | instskip(NEXT) | instid1(VALU_DEP_3)
	v_or_b32_e32 v56, 2, v17
	v_add_nc_u32_e32 v25, s15, v24
	v_or_b32_e32 v57, 3, v17
	v_or_b32_e32 v58, 4, v17
	;; [unrolled: 1-line block ×3, first 2 shown]
	v_lshrrev_b32_e32 v35, 1, v56
	v_mul_hi_u32 v1, v25, s4
	v_lshrrev_b32_e32 v36, 1, v57
	v_lshrrev_b32_e32 v32, 1, v58
	;; [unrolled: 1-line block ×3, first 2 shown]
	v_add_nc_u32_e32 v38, s15, v35
	v_or_b32_e32 v60, 6, v17
	s_waitcnt lgkmcnt(0)
	s_mul_i32 s3, s12, s10
	v_add_nc_u32_e32 v37, s15, v36
	v_add_nc_u32_e32 v0, v25, v1
	v_mul_hi_u32 v1, v38, s4
	s_mul_i32 s10, s2, s9
	s_ashr_i32 s11, s3, 31
	s_add_u32 s3, s16, s3
	v_lshrrev_b32_e32 v0, s5, v0
	s_addc_u32 s11, s17, s11
	s_ashr_i32 s16, s10, 31
	s_add_u32 s3, s3, s10
	v_add_nc_u32_e32 v1, v38, v1
	v_mul_lo_u32 v0, v0, s6
	v_mul_hi_u32 v3, v37, s4
	s_addc_u32 s10, s11, s16
	s_ashr_i32 s11, s8, 31
	v_lshrrev_b32_e32 v1, s5, v1
	v_alignbit_b32 v19, s11, s8, 2
	s_lshr_b32 s8, s11, 2
	v_add_nc_u32_e32 v34, s15, v32
	v_sub_nc_u32_e32 v9, v25, v0
	v_mul_lo_u32 v2, v1, s6
	v_add_nc_u32_e32 v4, v37, v3
	s_ashr_i32 s11, s9, 31
	v_mul_hi_u32 v10, v34, s4
	v_mad_u64_u32 v[0:1], null, v19, v9, 0
	s_delay_alu instid0(VALU_DEP_3)
	v_lshrrev_b32_e32 v7, s5, v4
	s_and_b32 s9, s9, -4
	v_sub_nc_u32_e32 v6, v38, v2
	v_add_nc_u32_e32 v31, s15, v29
	s_add_u32 s9, s3, s9
	v_mul_lo_u32 v7, v7, s6
	s_addc_u32 s11, s10, s11
	v_mad_u64_u32 v[2:3], null, v19, v6, 0
	v_lshrrev_b32_e32 v28, 1, v60
	v_or_b32_e32 v61, 7, v17
	s_cmp_eq_u64 s[26:27], 0
	s_delay_alu instid0(VALU_DEP_4) | instskip(NEXT) | instid1(VALU_DEP_3)
	v_sub_nc_u32_e32 v18, v37, v7
	v_add_nc_u32_e32 v30, s15, v28
	v_mad_u64_u32 v[4:5], null, s8, v9, v[1:2]
	v_lshrrev_b32_e32 v26, 1, v61
	s_delay_alu instid0(VALU_DEP_3) | instskip(NEXT) | instid1(VALU_DEP_2)
	v_mul_hi_u32 v22, v30, s4
	v_add_nc_u32_e32 v27, s15, v26
	s_delay_alu instid0(VALU_DEP_4) | instskip(SKIP_3) | instid1(VALU_DEP_4)
	v_mov_b32_e32 v1, v4
	v_mad_u64_u32 v[4:5], null, s8, v6, v[3:4]
	v_add_nc_u32_e32 v6, v34, v10
	v_mad_u64_u32 v[10:11], null, v19, v18, 0
	v_lshlrev_b64 v[0:1], 2, v[0:1]
	v_mul_hi_u32 v23, v27, s4
	s_delay_alu instid0(VALU_DEP_4) | instskip(SKIP_1) | instid1(VALU_DEP_4)
	v_lshrrev_b32_e32 v15, s5, v6
	v_mov_b32_e32 v3, v4
	v_add_co_u32 v4, vcc_lo, s3, v0
	v_add_co_ci_u32_e32 v5, vcc_lo, s10, v1, vcc_lo
	v_add_co_u32 v7, vcc_lo, s9, v0
	v_add_co_ci_u32_e32 v13, vcc_lo, s11, v1, vcc_lo
	v_mul_lo_u32 v20, v15, s6
	v_mad_u64_u32 v[15:16], null, s8, v18, v[11:12]
	v_add_co_u32 v0, vcc_lo, v4, v12
	v_mul_hi_u32 v16, v31, s4
	v_add_co_ci_u32_e32 v1, vcc_lo, 0, v5, vcc_lo
	v_add_co_u32 v4, vcc_lo, v7, v12
	v_add_co_ci_u32_e32 v5, vcc_lo, 0, v13, vcc_lo
	v_lshlrev_b64 v[13:14], 2, v[2:3]
	v_add_nc_u32_e32 v17, v31, v16
	v_sub_nc_u32_e32 v20, v34, v20
	v_mov_b32_e32 v11, v15
	s_clause 0x1
	global_load_b128 v[0:3], v[0:1], off
	global_load_b128 v[4:7], v[4:5], off
	v_add_co_u32 v18, vcc_lo, s3, v13
	v_add_co_ci_u32_e32 v21, vcc_lo, s10, v14, vcc_lo
	v_lshrrev_b32_e32 v17, s5, v17
	v_mad_u64_u32 v[13:14], null, v19, v20, 0
	s_delay_alu instid0(VALU_DEP_4) | instskip(NEXT) | instid1(VALU_DEP_4)
	v_add_co_u32 v15, vcc_lo, v18, v12
	v_add_co_ci_u32_e32 v16, vcc_lo, 0, v21, vcc_lo
	v_add_nc_u32_e32 v21, v30, v22
	v_mul_lo_u32 v22, v17, s6
	s_delay_alu instid0(VALU_DEP_4) | instskip(SKIP_1) | instid1(VALU_DEP_4)
	v_mad_u64_u32 v[17:18], null, s8, v20, v[14:15]
	v_lshlrev_b64 v[10:11], 2, v[10:11]
	v_lshrrev_b32_e32 v18, s5, v21
	s_delay_alu instid0(VALU_DEP_4) | instskip(SKIP_1) | instid1(VALU_DEP_3)
	v_sub_nc_u32_e32 v33, v31, v22
	v_add_nc_u32_e32 v22, v27, v23
	v_mul_lo_u32 v23, v18, s6
	v_add_co_u32 v20, vcc_lo, s9, v10
	v_add_co_ci_u32_e32 v21, vcc_lo, s11, v11, vcc_lo
	s_delay_alu instid0(VALU_DEP_4) | instskip(SKIP_1) | instid1(VALU_DEP_4)
	v_lshrrev_b32_e32 v22, s5, v22
	v_mov_b32_e32 v14, v17
	v_add_co_u32 v17, vcc_lo, v20, v12
	v_sub_nc_u32_e32 v20, v30, v23
	s_delay_alu instid0(VALU_DEP_4)
	v_mul_lo_u32 v23, v22, s6
	v_mad_u64_u32 v[10:11], null, v19, v33, 0
	v_lshlrev_b64 v[13:14], 2, v[13:14]
	v_add_co_ci_u32_e32 v18, vcc_lo, 0, v21, vcc_lo
	v_mad_u64_u32 v[21:22], null, v19, v20, 0
	v_sub_nc_u32_e32 v42, v27, v23
	s_delay_alu instid0(VALU_DEP_4) | instskip(SKIP_1) | instid1(VALU_DEP_3)
	v_add_co_u32 v40, vcc_lo, s3, v13
	v_add_co_ci_u32_e32 v41, vcc_lo, s10, v14, vcc_lo
	v_mad_u64_u32 v[44:45], null, v19, v42, 0
	v_mad_u64_u32 v[13:14], null, s8, v33, v[11:12]
	s_delay_alu instid0(VALU_DEP_2) | instskip(NEXT) | instid1(VALU_DEP_1)
	v_dual_mov_b32 v14, v22 :: v_dual_mov_b32 v33, v45
	v_mad_u64_u32 v[46:47], null, s8, v20, v[14:15]
	s_delay_alu instid0(VALU_DEP_3) | instskip(SKIP_3) | instid1(VALU_DEP_4)
	v_mov_b32_e32 v11, v13
	v_add_co_u32 v22, vcc_lo, v40, v12
	v_add_co_ci_u32_e32 v23, vcc_lo, 0, v41, vcc_lo
	v_mad_u64_u32 v[47:48], null, s8, v42, v[33:34]
	v_lshlrev_b64 v[10:11], 2, v[10:11]
	s_clause 0x2
	global_load_b128 v[13:16], v[15:16], off
	global_load_b128 v[17:20], v[17:18], off
	global_load_b128 v[40:43], v[22:23], off
	v_dual_mov_b32 v22, v46 :: v_dual_mov_b32 v45, v47
	v_add_co_u32 v23, vcc_lo, s9, v10
	v_add_co_ci_u32_e32 v33, vcc_lo, s11, v11, vcc_lo
	s_delay_alu instid0(VALU_DEP_3) | instskip(NEXT) | instid1(VALU_DEP_3)
	v_lshlrev_b64 v[10:11], 2, v[21:22]
	v_add_co_u32 v21, vcc_lo, v23, v12
	v_lshlrev_b64 v[44:45], 2, v[44:45]
	s_delay_alu instid0(VALU_DEP_4) | instskip(NEXT) | instid1(VALU_DEP_4)
	v_add_co_ci_u32_e32 v22, vcc_lo, 0, v33, vcc_lo
	v_add_co_u32 v10, vcc_lo, s3, v10
	v_add_co_ci_u32_e32 v11, vcc_lo, s10, v11, vcc_lo
	s_delay_alu instid0(VALU_DEP_4) | instskip(SKIP_1) | instid1(VALU_DEP_4)
	v_add_co_u32 v23, vcc_lo, s9, v44
	v_add_co_ci_u32_e32 v33, vcc_lo, s11, v45, vcc_lo
	v_add_co_u32 v10, vcc_lo, v10, v12
	s_delay_alu instid0(VALU_DEP_4) | instskip(NEXT) | instid1(VALU_DEP_4)
	v_add_co_ci_u32_e32 v11, vcc_lo, 0, v11, vcc_lo
	v_add_co_u32 v52, vcc_lo, v23, v12
	s_delay_alu instid0(VALU_DEP_4)
	v_add_co_ci_u32_e32 v53, vcc_lo, 0, v33, vcc_lo
	s_clause 0x2
	global_load_b128 v[44:47], v[21:22], off
	global_load_b128 v[48:51], v[10:11], off
	;; [unrolled: 1-line block ×3, first 2 shown]
	s_load_b32 s3, s[0:1], 0x40
	v_lshlrev_b32_e32 v10, 3, v39
	v_lshlrev_b32_e32 v23, 1, v39
	;; [unrolled: 1-line block ×5, first 2 shown]
	v_lshl_or_b32 v33, v8, 11, v10
	v_lshlrev_b32_e32 v10, 6, v56
	v_lshlrev_b32_e32 v56, 6, v58
	v_lshlrev_b32_e32 v58, 6, v60
	v_add_lshl_u32 v61, v11, v23, 2
	v_add_lshl_u32 v57, v57, v23, 2
	;; [unrolled: 1-line block ×6, first 2 shown]
	s_waitcnt vmcnt(7) lgkmcnt(0)
	v_fma_mixlo_f16 v11, v2, s3, 0
	v_fma_mixlo_f16 v10, v0, s3, 0
	s_waitcnt vmcnt(6)
	v_fma_mixlo_f16 v22, v6, s3, 0
	v_fma_mixlo_f16 v21, v4, s3, 0
	v_fma_mixhi_f16 v11, v3, s3, 0
	v_fma_mixhi_f16 v10, v1, s3, 0
	s_delay_alu instid0(VALU_DEP_4) | instskip(NEXT) | instid1(VALU_DEP_4)
	v_fma_mixhi_f16 v22, v7, s3, 0
	v_fma_mixhi_f16 v21, v5, s3, 0
	ds_store_2addr_b64 v33, v[10:11], v[21:22] offset1:32
	s_waitcnt vmcnt(5)
	v_fma_mixlo_f16 v0, v13, s3, 0
	v_fma_mixlo_f16 v1, v15, s3, 0
	s_waitcnt vmcnt(4)
	v_fma_mixlo_f16 v2, v17, s3, 0
	v_fma_mixlo_f16 v3, v19, s3, 0
	;; [unrolled: 3-line block ×3, first 2 shown]
	v_fma_mixhi_f16 v1, v16, s3, 0
	v_fma_mixhi_f16 v0, v14, s3, 0
	;; [unrolled: 1-line block ×6, first 2 shown]
	s_waitcnt vmcnt(2)
	v_fma_mixlo_f16 v6, v44, s3, 0
	v_fma_mixlo_f16 v7, v46, s3, 0
	s_waitcnt vmcnt(1)
	v_fma_mixlo_f16 v10, v48, s3, 0
	v_fma_mixlo_f16 v11, v50, s3, 0
	;; [unrolled: 3-line block ×3, first 2 shown]
	v_fma_mixhi_f16 v7, v47, s3, 0
	v_fma_mixhi_f16 v6, v45, s3, 0
	;; [unrolled: 1-line block ×6, first 2 shown]
	ds_store_b64 v60, v[0:1]
	ds_store_b64 v61, v[2:3]
	;; [unrolled: 1-line block ×6, first 2 shown]
	s_waitcnt lgkmcnt(0)
	s_barrier
	buffer_gl0_inv
	s_cbranch_scc1 .LBB80_4
; %bb.3:
	s_load_b32 s3, s[0:1], 0xd0
	s_mov_b32 s9, 0
	s_waitcnt lgkmcnt(0)
	s_mul_i32 s3, s3, s12
	s_delay_alu instid0(SALU_CYCLE_1) | instskip(NEXT) | instid1(SALU_CYCLE_1)
	s_add_i32 s8, s3, s13
	s_lshl_b64 s[8:9], s[8:9], 2
	s_delay_alu instid0(SALU_CYCLE_1)
	s_add_u32 s8, s26, s8
	s_addc_u32 s9, s27, s9
	s_load_b32 s34, s[8:9], 0x0
.LBB80_4:
	v_mbcnt_lo_u32_b32 v16, -1, 0
	s_lshl_b32 s3, s14, 6
	s_waitcnt lgkmcnt(0)
	s_cmp_lt_i32 s3, s34
	s_cbranch_scc1 .LBB80_6
; %bb.5:
	v_mbcnt_lo_u32_b32 v10, -1, 0
	v_mov_b32_e32 v17, 32
	s_mov_b32 s8, 0
	s_mov_b32 s9, 0xfeffffff
	s_delay_alu instid0(VALU_DEP_2)
	v_xor_b32_e32 v86, 16, v10
	v_xor_b32_e32 v84, 8, v10
	;; [unrolled: 1-line block ×5, first 2 shown]
	s_branch .LBB80_7
.LBB80_6:
	s_mov_b32 s8, -1
                                        ; implicit-def: $sgpr9
                                        ; implicit-def: $vgpr10
                                        ; implicit-def: $vgpr17
                                        ; implicit-def: $vgpr86
                                        ; implicit-def: $vgpr84
                                        ; implicit-def: $vgpr83
                                        ; implicit-def: $vgpr82
                                        ; implicit-def: $vgpr81
.LBB80_7:
	s_delay_alu instid0(SALU_CYCLE_1) | instskip(SKIP_2) | instid1(VALU_DEP_3)
	v_cndmask_b32_e64 v0, 0, 1, s8
	v_dual_mov_b32 v7, s9 :: v_dual_mov_b32 v88, s8
	v_dual_mov_b32 v6, s9 :: v_dual_lshlrev_b32 v33, 2, v39
	v_cmp_ne_u32_e32 vcc_lo, 1, v0
	v_dual_mov_b32 v63, s8 :: v_dual_mov_b32 v4, s9
	v_dual_mov_b32 v5, s9 :: v_dual_mov_b32 v2, s9
	;; [unrolled: 1-line block ×13, first 2 shown]
	v_mov_b32_e32 v53, s8
	v_mov_b32_e32 v51, s8
	;; [unrolled: 1-line block ×3, first 2 shown]
	s_cbranch_vccnz .LBB80_76
; %bb.8:
	v_dual_mov_b32 v52, 0 :: v_dual_add_nc_u32 v5, 2, v25
	v_lshrrev_b32_e32 v14, 4, v39
	v_dual_mov_b32 v60, 0 :: v_dual_and_b32 v15, 60, v33
	s_delay_alu instid0(VALU_DEP_3)
	v_mul_hi_u32 v7, s4, v5
	s_clause 0x1
	s_load_b128 s[8:11], s[0:1], 0x98
	s_load_b64 s[16:17], s[0:1], 0x8c
	v_add_nc_u32_e32 v4, 1, v25
	v_lshl_add_u32 v14, v8, 1, v14
	v_dual_mov_b32 v64, 0 :: v_dual_lshlrev_b32 v17, 2, v15
	v_dual_mov_b32 v51, 0 :: v_dual_add_nc_u32 v6, 3, v25
	v_dual_mov_b32 v54, 0 :: v_dual_add_nc_u32 v7, v5, v7
	s_sub_i32 s13, 0, s33
	s_delay_alu instid0(VALU_DEP_2) | instskip(SKIP_1) | instid1(VALU_DEP_2)
	v_mul_hi_u32 v11, s4, v6
	s_mul_i32 s13, s13, s40
	v_lshrrev_b32_e32 v7, s5, v7
	s_mul_hi_u32 s13, s40, s13
	s_abs_i32 s26, s2
	s_add_i32 s40, s40, s13
	s_ashr_i32 s38, s39, 1
	v_mul_lo_u32 v7, v7, s6
	v_dual_mov_b32 v56, 0 :: v_dual_add_nc_u32 v11, v6, v11
	s_mul_hi_u32 s39, s26, s40
	s_ashr_i32 s40, s12, 31
	s_waitcnt lgkmcnt(0)
	s_ashr_i32 s13, s16, 2
	s_mul_i32 s9, s12, s9
	s_mul_hi_u32 s16, s12, s8
	v_sub_nc_u32_e32 v5, v5, v7
	v_lshl_or_b32 v7, v14, 8, v17
	v_mov_b32_e32 v17, 32
	v_mul_hi_u32 v2, s4, v4
	s_mul_i32 s42, s40, s8
	s_add_i32 s9, s16, s9
	v_lshrrev_b32_e32 v0, 3, v39
	v_dual_mov_b32 v49, 0 :: v_dual_and_b32 v10, 28, v33
	v_mov_b32_e32 v53, 0
	v_lshrrev_b32_e32 v11, s5, v11
	v_add_nc_u32_e32 v2, v4, v2
	s_mul_i32 s8, s12, s8
	s_ashr_i32 s27, s2, 31
	s_ashr_i32 s35, s35, 31
	s_load_b64 s[22:23], s[0:1], 0xa8
	v_lshrrev_b32_e32 v13, s5, v2
	s_mul_i32 s41, s39, s33
	s_ashr_i32 s10, s10, 2
	s_add_i32 s9, s9, s42
	s_add_u32 s16, s18, s8
	s_load_b32 s8, s[0:1], 0x54
	v_mul_lo_u32 v13, v13, s6
	s_addc_u32 s18, s19, s9
	s_sub_i32 s19, s26, s41
	v_dual_mov_b32 v75, 0xfeffffff :: v_dual_add_nc_u32 v0, v0, v24
	v_dual_mov_b32 v50, 0 :: v_dual_lshlrev_b32 v1, 2, v10
	v_mul_lo_u32 v11, v11, s6
	s_xor_b32 s9, s27, s35
	s_add_i32 s26, s39, 1
	s_sub_i32 s27, s19, s33
	s_cmp_ge_u32 s19, s33
	v_mad_u32_u24 v3, 0x90, v0, v1
	s_cselect_b32 s26, s26, s39
	s_cselect_b32 s19, s27, s19
	v_mul_lo_u32 v0, s13, v0
	v_sub_nc_u32_e32 v13, v4, v13
	v_mul_lo_u32 v4, s10, v14
	s_add_i32 s27, s26, 1
	s_cmp_ge_u32 s19, s33
	v_sub_nc_u32_e32 v6, v6, v11
	s_cselect_b32 s19, s27, s26
	s_waitcnt lgkmcnt(0)
	s_mul_i32 s23, s12, s23
	s_xor_b32 s19, s19, s9
	v_lshl_add_u32 v2, s13, 5, v0
	s_sub_i32 s19, s19, s9
	v_mul_lo_u32 v41, v6, s38
	v_lshl_add_u32 v6, s10, 4, v4
	s_mul_i32 s9, s19, s17
	s_mul_hi_u32 s26, s12, s22
	s_ashr_i32 s17, s9, 31
	s_add_u32 s9, s16, s9
	v_dual_mov_b32 v55, 0 :: v_dual_add_nc_u32 v18, 0x4000, v3
	v_ashrrev_i32_e32 v1, 31, v0
	v_dual_mov_b32 v58, 0 :: v_dual_add_nc_u32 v19, 0x5200, v3
	v_ashrrev_i32_e32 v3, 31, v2
	v_mul_lo_u32 v40, v5, s38
	v_lshl_add_u32 v42, v8, 10, 0x6400
	v_dual_mov_b32 v74, 0 :: v_dual_add_nc_u32 v43, 0x4000, v7
	v_ashrrev_i32_e32 v5, 31, v4
	v_dual_mov_b32 v57, 0 :: v_dual_add_nc_u32 v44, 0x5000, v7
	v_ashrrev_i32_e32 v7, 31, v6
	s_mul_i32 s40, s40, s22
	s_addc_u32 s16, s18, s17
	s_add_i32 s17, s26, s23
	s_mul_i32 s18, s12, s22
	s_add_i32 s17, s17, s40
	s_mul_i32 s19, s19, s11
	v_mul_lo_u32 v22, v9, s38
	v_mul_lo_u32 v23, v13, s38
	s_add_u32 s18, s20, s18
	s_addc_u32 s17, s21, s17
	s_ashr_i32 s20, s19, 31
	v_dual_mov_b32 v62, 0 :: v_dual_lshlrev_b32 v21, 11, v8
	v_lshlrev_b64 v[8:9], 2, v[0:1]
	v_dual_mov_b32 v59, 0 :: v_dual_lshlrev_b32 v46, 2, v10
	v_lshlrev_b64 v[10:11], 2, v[2:3]
	v_dual_mov_b32 v76, 0xfeffffff :: v_dual_add_nc_u32 v47, v42, v12
	v_lshlrev_b64 v[12:13], 2, v[4:5]
	v_dual_mov_b32 v61, 0 :: v_dual_lshlrev_b32 v48, 2, v15
	v_lshlrev_b64 v[14:15], 2, v[6:7]
	s_add_u32 s11, s18, s19
	v_mul_u32_u24_e32 v20, 0x90, v39
	v_lshl_or_b32 v45, v39, 3, 0x4000
	v_dual_mov_b32 v63, 0 :: v_dual_mov_b32 v72, 0xfeffffff
	v_dual_mov_b32 v73, 0xfeffffff :: v_dual_mov_b32 v70, 0xfeffffff
	;; [unrolled: 1-line block ×6, first 2 shown]
	v_mov_b32_e32 v69, 0
	v_mov_b32_e32 v65, 0
	s_addc_u32 s17, s17, s20
	s_add_u32 s4, s0, 0xd0
	s_addc_u32 s5, s1, 0
	s_mov_b32 s18, 0xbbbac73d
.LBB80_9:                               ; =>This Inner Loop Header: Depth=1
	s_mul_hi_i32 s21, s3, s13
	s_mul_i32 s20, s3, s13
	v_dual_mov_b32 v81, 0 :: v_dual_mov_b32 v94, 0
	s_lshl_b64 s[20:21], s[20:21], 2
	v_mov_b32_e32 v92, 0
	s_add_u32 s19, s9, s20
	s_addc_u32 s20, s16, s21
	v_add_co_u32 v0, vcc_lo, s19, v8
	v_add_co_ci_u32_e32 v1, vcc_lo, s20, v9, vcc_lo
	v_add_co_u32 v2, vcc_lo, s19, v10
	v_add_co_ci_u32_e32 v3, vcc_lo, s20, v11, vcc_lo
	s_delay_alu instid0(VALU_DEP_4) | instskip(NEXT) | instid1(VALU_DEP_4)
	v_add_co_u32 v0, vcc_lo, v0, v46
	v_add_co_ci_u32_e32 v1, vcc_lo, 0, v1, vcc_lo
	s_delay_alu instid0(VALU_DEP_4) | instskip(NEXT) | instid1(VALU_DEP_4)
	v_add_co_u32 v2, vcc_lo, v2, v46
	v_add_co_ci_u32_e32 v3, vcc_lo, 0, v3, vcc_lo
	s_clause 0x1
	global_load_b128 v[77:80], v[0:1], off
	global_load_b128 v[82:85], v[2:3], off
	v_mov_b32_e32 v90, 0
	v_dual_mov_b32 v88, 0 :: v_dual_mov_b32 v93, 0
	v_mov_b32_e32 v91, 0
	v_mov_b32_e32 v89, 0
	;; [unrolled: 1-line block ×3, first 2 shown]
	s_waitcnt vmcnt(1)
	ds_store_b128 v18, v[77:80]
	s_waitcnt vmcnt(0)
	ds_store_b128 v19, v[82:85]
	v_mov_b32_e32 v78, 0
	s_waitcnt lgkmcnt(0)
	s_barrier
	buffer_gl0_inv
	ds_load_b128 v[96:99], v20 offset:16384
	ds_load_b128 v[100:103], v21
	ds_load_b128 v[104:107], v21 offset:256
	ds_load_b128 v[108:111], v21 offset:512
	;; [unrolled: 1-line block ×8, first 2 shown]
	v_mov_b32_e32 v85, 0
	v_mov_b32_e32 v79, 0
	v_dual_mov_b32 v77, 0 :: v_dual_mov_b32 v82, 0
	v_mov_b32_e32 v95, 0
	s_waitcnt lgkmcnt(8)
	;;#ASMSTART
	v_dot2_f32_f16 v81, v96, v100, v81
	;;#ASMEND
	;;#ASMSTART
	v_dot2_f32_f16 v81, v97, v101, v81
	;;#ASMEND
	;;#ASMSTART
	v_dot2_f32_f16 v81, v98, v102, v81
	;;#ASMEND
	;;#ASMSTART
	v_dot2_f32_f16 v81, v99, v103, v81
	;;#ASMEND
	s_waitcnt lgkmcnt(7)
	;;#ASMSTART
	v_dot2_f32_f16 v94, v96, v104, v94
	;;#ASMEND
	;;#ASMSTART
	v_dot2_f32_f16 v94, v97, v105, v94
	;;#ASMEND
	;;#ASMSTART
	v_dot2_f32_f16 v94, v98, v106, v94
	;;#ASMEND
	;;#ASMSTART
	v_dot2_f32_f16 v94, v99, v107, v94
	;;#ASMEND
	;; [unrolled: 13-line block ×8, first 2 shown]
	;;#ASMSTART
	v_dot2_f32_f16 v82, v116, v100, v82
	;;#ASMEND
	;;#ASMSTART
	v_dot2_f32_f16 v82, v117, v101, v82
	;;#ASMEND
	;; [unrolled: 3-line block ×7, first 2 shown]
	v_mov_b32_e32 v80, 0
	;;#ASMSTART
	v_dot2_f32_f16 v95, v119, v107, v95
	;;#ASMEND
	;;#ASMSTART
	v_dot2_f32_f16 v93, v116, v108, v93
	;;#ASMEND
	;; [unrolled: 3-line block ×25, first 2 shown]
	ds_load_b128 v[96:99], v20 offset:16400
	ds_load_b128 v[100:103], v21 offset:16
	;; [unrolled: 1-line block ×10, first 2 shown]
	s_waitcnt lgkmcnt(8)
	;;#ASMSTART
	v_dot2_f32_f16 v81, v96, v100, v81
	;;#ASMEND
	;;#ASMSTART
	v_dot2_f32_f16 v81, v97, v101, v81
	;;#ASMEND
	;;#ASMSTART
	v_dot2_f32_f16 v81, v98, v102, v81
	;;#ASMEND
	;;#ASMSTART
	v_dot2_f32_f16 v81, v99, v103, v81
	;;#ASMEND
	s_waitcnt lgkmcnt(7)
	;;#ASMSTART
	v_dot2_f32_f16 v94, v96, v104, v94
	;;#ASMEND
	;;#ASMSTART
	v_dot2_f32_f16 v94, v97, v105, v94
	;;#ASMEND
	;;#ASMSTART
	v_dot2_f32_f16 v94, v98, v106, v94
	;;#ASMEND
	;;#ASMSTART
	v_dot2_f32_f16 v94, v99, v107, v94
	;;#ASMEND
	;; [unrolled: 13-line block ×8, first 2 shown]
	;;#ASMSTART
	v_dot2_f32_f16 v82, v116, v100, v82
	;;#ASMEND
	;;#ASMSTART
	v_dot2_f32_f16 v82, v117, v101, v82
	;;#ASMEND
	;; [unrolled: 3-line block ×32, first 2 shown]
	ds_load_b128 v[96:99], v20 offset:16416
	ds_load_b128 v[100:103], v21 offset:32
	;; [unrolled: 1-line block ×10, first 2 shown]
	s_waitcnt lgkmcnt(8)
	;;#ASMSTART
	v_dot2_f32_f16 v81, v96, v100, v81
	;;#ASMEND
	;;#ASMSTART
	v_dot2_f32_f16 v81, v97, v101, v81
	;;#ASMEND
	;;#ASMSTART
	v_dot2_f32_f16 v81, v98, v102, v81
	;;#ASMEND
	;;#ASMSTART
	v_dot2_f32_f16 v81, v99, v103, v81
	;;#ASMEND
	s_waitcnt lgkmcnt(7)
	;;#ASMSTART
	v_dot2_f32_f16 v94, v96, v104, v94
	;;#ASMEND
	;;#ASMSTART
	v_dot2_f32_f16 v94, v97, v105, v94
	;;#ASMEND
	;;#ASMSTART
	v_dot2_f32_f16 v94, v98, v106, v94
	;;#ASMEND
	;;#ASMSTART
	v_dot2_f32_f16 v94, v99, v107, v94
	;;#ASMEND
	;; [unrolled: 13-line block ×8, first 2 shown]
	;;#ASMSTART
	v_dot2_f32_f16 v82, v116, v100, v82
	;;#ASMEND
	;;#ASMSTART
	v_dot2_f32_f16 v82, v117, v101, v82
	;;#ASMEND
	;; [unrolled: 3-line block ×32, first 2 shown]
	ds_load_b128 v[96:99], v20 offset:16432
	ds_load_b128 v[100:103], v21 offset:48
	;; [unrolled: 1-line block ×10, first 2 shown]
	s_waitcnt lgkmcnt(8)
	;;#ASMSTART
	v_dot2_f32_f16 v81, v96, v100, v81
	;;#ASMEND
	;;#ASMSTART
	v_dot2_f32_f16 v81, v97, v101, v81
	;;#ASMEND
	;;#ASMSTART
	v_dot2_f32_f16 v81, v98, v102, v81
	;;#ASMEND
	;;#ASMSTART
	v_dot2_f32_f16 v81, v99, v103, v81
	;;#ASMEND
	s_waitcnt lgkmcnt(7)
	;;#ASMSTART
	v_dot2_f32_f16 v94, v96, v104, v94
	;;#ASMEND
	;;#ASMSTART
	v_dot2_f32_f16 v94, v97, v105, v94
	;;#ASMEND
	;;#ASMSTART
	v_dot2_f32_f16 v94, v98, v106, v94
	;;#ASMEND
	;;#ASMSTART
	v_dot2_f32_f16 v94, v99, v107, v94
	;;#ASMEND
	;; [unrolled: 13-line block ×8, first 2 shown]
	;;#ASMSTART
	v_dot2_f32_f16 v82, v116, v100, v82
	;;#ASMEND
	;;#ASMSTART
	v_dot2_f32_f16 v82, v117, v101, v82
	;;#ASMEND
	;; [unrolled: 3-line block ×32, first 2 shown]
	ds_load_b128 v[96:99], v20 offset:16448
	ds_load_b128 v[100:103], v21 offset:64
	;; [unrolled: 1-line block ×10, first 2 shown]
	s_waitcnt lgkmcnt(8)
	;;#ASMSTART
	v_dot2_f32_f16 v81, v96, v100, v81
	;;#ASMEND
	;;#ASMSTART
	v_dot2_f32_f16 v81, v97, v101, v81
	;;#ASMEND
	;;#ASMSTART
	v_dot2_f32_f16 v81, v98, v102, v81
	;;#ASMEND
	;;#ASMSTART
	v_dot2_f32_f16 v81, v99, v103, v81
	;;#ASMEND
	s_waitcnt lgkmcnt(7)
	;;#ASMSTART
	v_dot2_f32_f16 v94, v96, v104, v94
	;;#ASMEND
	;;#ASMSTART
	v_dot2_f32_f16 v94, v97, v105, v94
	;;#ASMEND
	;;#ASMSTART
	v_dot2_f32_f16 v94, v98, v106, v94
	;;#ASMEND
	;;#ASMSTART
	v_dot2_f32_f16 v94, v99, v107, v94
	;;#ASMEND
	;; [unrolled: 13-line block ×8, first 2 shown]
	;;#ASMSTART
	v_dot2_f32_f16 v82, v116, v100, v82
	;;#ASMEND
	;;#ASMSTART
	v_dot2_f32_f16 v82, v117, v101, v82
	;;#ASMEND
	;; [unrolled: 3-line block ×32, first 2 shown]
	ds_load_b128 v[96:99], v20 offset:16464
	ds_load_b128 v[100:103], v21 offset:80
	;; [unrolled: 1-line block ×10, first 2 shown]
	s_waitcnt lgkmcnt(8)
	;;#ASMSTART
	v_dot2_f32_f16 v81, v96, v100, v81
	;;#ASMEND
	;;#ASMSTART
	v_dot2_f32_f16 v81, v97, v101, v81
	;;#ASMEND
	;;#ASMSTART
	v_dot2_f32_f16 v81, v98, v102, v81
	;;#ASMEND
	;;#ASMSTART
	v_dot2_f32_f16 v81, v99, v103, v81
	;;#ASMEND
	s_waitcnt lgkmcnt(7)
	;;#ASMSTART
	v_dot2_f32_f16 v94, v96, v104, v94
	;;#ASMEND
	;;#ASMSTART
	v_dot2_f32_f16 v94, v97, v105, v94
	;;#ASMEND
	;;#ASMSTART
	v_dot2_f32_f16 v94, v98, v106, v94
	;;#ASMEND
	;;#ASMSTART
	v_dot2_f32_f16 v94, v99, v107, v94
	;;#ASMEND
	;; [unrolled: 13-line block ×8, first 2 shown]
	;;#ASMSTART
	v_dot2_f32_f16 v82, v116, v100, v82
	;;#ASMEND
	;;#ASMSTART
	v_dot2_f32_f16 v82, v117, v101, v82
	;;#ASMEND
	;; [unrolled: 3-line block ×32, first 2 shown]
	ds_load_b128 v[96:99], v20 offset:16480
	ds_load_b128 v[100:103], v21 offset:96
	;; [unrolled: 1-line block ×10, first 2 shown]
	s_waitcnt lgkmcnt(8)
	;;#ASMSTART
	v_dot2_f32_f16 v81, v96, v100, v81
	;;#ASMEND
	;;#ASMSTART
	v_dot2_f32_f16 v81, v97, v101, v81
	;;#ASMEND
	;;#ASMSTART
	v_dot2_f32_f16 v81, v98, v102, v81
	;;#ASMEND
	;;#ASMSTART
	v_dot2_f32_f16 v81, v99, v103, v81
	;;#ASMEND
	s_waitcnt lgkmcnt(7)
	;;#ASMSTART
	v_dot2_f32_f16 v94, v96, v104, v94
	;;#ASMEND
	;;#ASMSTART
	v_dot2_f32_f16 v94, v97, v105, v94
	;;#ASMEND
	;;#ASMSTART
	v_dot2_f32_f16 v94, v98, v106, v94
	;;#ASMEND
	;;#ASMSTART
	v_dot2_f32_f16 v94, v99, v107, v94
	;;#ASMEND
	;; [unrolled: 13-line block ×8, first 2 shown]
	;;#ASMSTART
	v_dot2_f32_f16 v82, v116, v100, v82
	;;#ASMEND
	;;#ASMSTART
	v_dot2_f32_f16 v82, v117, v101, v82
	;;#ASMEND
	;; [unrolled: 3-line block ×32, first 2 shown]
	ds_load_b128 v[96:99], v20 offset:16496
	ds_load_b128 v[100:103], v21 offset:112
	;; [unrolled: 1-line block ×10, first 2 shown]
	s_waitcnt lgkmcnt(8)
	;;#ASMSTART
	v_dot2_f32_f16 v81, v96, v100, v81
	;;#ASMEND
	;;#ASMSTART
	v_dot2_f32_f16 v81, v97, v101, v81
	;;#ASMEND
	;;#ASMSTART
	v_dot2_f32_f16 v81, v98, v102, v81
	;;#ASMEND
	;;#ASMSTART
	v_dot2_f32_f16 v81, v99, v103, v81
	;;#ASMEND
	s_waitcnt lgkmcnt(7)
	;;#ASMSTART
	v_dot2_f32_f16 v94, v96, v104, v94
	;;#ASMEND
	;;#ASMSTART
	v_dot2_f32_f16 v94, v97, v105, v94
	;;#ASMEND
	;;#ASMSTART
	v_dot2_f32_f16 v94, v98, v106, v94
	;;#ASMEND
	;;#ASMSTART
	v_dot2_f32_f16 v94, v99, v107, v94
	;;#ASMEND
	;; [unrolled: 13-line block ×8, first 2 shown]
	;;#ASMSTART
	v_dot2_f32_f16 v82, v116, v100, v82
	;;#ASMEND
	;;#ASMSTART
	v_dot2_f32_f16 v82, v117, v101, v82
	;;#ASMEND
	;; [unrolled: 3-line block ×32, first 2 shown]
	s_barrier
	buffer_gl0_inv
	s_clause 0x1
	global_load_b128 v[96:99], v[0:1], off offset:128
	global_load_b128 v[0:3], v[2:3], off offset:128
	s_waitcnt vmcnt(1)
	ds_store_b128 v18, v[96:99]
	s_waitcnt vmcnt(0)
	ds_store_b128 v19, v[0:3]
	s_waitcnt lgkmcnt(0)
	s_barrier
	buffer_gl0_inv
	ds_load_b128 v[0:3], v20 offset:16384
	ds_load_b128 v[96:99], v21 offset:128
	;; [unrolled: 1-line block ×10, first 2 shown]
	s_waitcnt lgkmcnt(8)
	;;#ASMSTART
	v_dot2_f32_f16 v81, v0, v96, v81
	;;#ASMEND
	;;#ASMSTART
	v_dot2_f32_f16 v81, v1, v97, v81
	;;#ASMEND
	;;#ASMSTART
	v_dot2_f32_f16 v81, v2, v98, v81
	;;#ASMEND
	;;#ASMSTART
	v_dot2_f32_f16 v81, v3, v99, v81
	;;#ASMEND
	s_waitcnt lgkmcnt(7)
	;;#ASMSTART
	v_dot2_f32_f16 v94, v0, v100, v94
	;;#ASMEND
	;;#ASMSTART
	v_dot2_f32_f16 v94, v1, v101, v94
	;;#ASMEND
	;;#ASMSTART
	v_dot2_f32_f16 v94, v2, v102, v94
	;;#ASMEND
	;;#ASMSTART
	v_dot2_f32_f16 v94, v3, v103, v94
	;;#ASMEND
	;; [unrolled: 13-line block ×8, first 2 shown]
	;;#ASMSTART
	v_dot2_f32_f16 v82, v112, v96, v82
	;;#ASMEND
	;;#ASMSTART
	v_dot2_f32_f16 v82, v113, v97, v82
	;;#ASMEND
	;; [unrolled: 3-line block ×32, first 2 shown]
	ds_load_b128 v[0:3], v20 offset:16400
	ds_load_b128 v[96:99], v21 offset:144
	;; [unrolled: 1-line block ×10, first 2 shown]
	s_waitcnt lgkmcnt(8)
	;;#ASMSTART
	v_dot2_f32_f16 v81, v0, v96, v81
	;;#ASMEND
	;;#ASMSTART
	v_dot2_f32_f16 v81, v1, v97, v81
	;;#ASMEND
	;;#ASMSTART
	v_dot2_f32_f16 v81, v2, v98, v81
	;;#ASMEND
	;;#ASMSTART
	v_dot2_f32_f16 v81, v3, v99, v81
	;;#ASMEND
	s_waitcnt lgkmcnt(7)
	;;#ASMSTART
	v_dot2_f32_f16 v94, v0, v100, v94
	;;#ASMEND
	;;#ASMSTART
	v_dot2_f32_f16 v94, v1, v101, v94
	;;#ASMEND
	;;#ASMSTART
	v_dot2_f32_f16 v94, v2, v102, v94
	;;#ASMEND
	;;#ASMSTART
	v_dot2_f32_f16 v94, v3, v103, v94
	;;#ASMEND
	;; [unrolled: 13-line block ×8, first 2 shown]
	;;#ASMSTART
	v_dot2_f32_f16 v82, v112, v96, v82
	;;#ASMEND
	;;#ASMSTART
	v_dot2_f32_f16 v82, v113, v97, v82
	;;#ASMEND
	;; [unrolled: 3-line block ×32, first 2 shown]
	ds_load_b128 v[0:3], v20 offset:16416
	ds_load_b128 v[96:99], v21 offset:160
	;; [unrolled: 1-line block ×10, first 2 shown]
	s_waitcnt lgkmcnt(8)
	;;#ASMSTART
	v_dot2_f32_f16 v81, v0, v96, v81
	;;#ASMEND
	;;#ASMSTART
	v_dot2_f32_f16 v81, v1, v97, v81
	;;#ASMEND
	;;#ASMSTART
	v_dot2_f32_f16 v81, v2, v98, v81
	;;#ASMEND
	;;#ASMSTART
	v_dot2_f32_f16 v81, v3, v99, v81
	;;#ASMEND
	s_waitcnt lgkmcnt(7)
	;;#ASMSTART
	v_dot2_f32_f16 v94, v0, v100, v94
	;;#ASMEND
	;;#ASMSTART
	v_dot2_f32_f16 v94, v1, v101, v94
	;;#ASMEND
	;;#ASMSTART
	v_dot2_f32_f16 v94, v2, v102, v94
	;;#ASMEND
	;;#ASMSTART
	v_dot2_f32_f16 v94, v3, v103, v94
	;;#ASMEND
	;; [unrolled: 13-line block ×8, first 2 shown]
	;;#ASMSTART
	v_dot2_f32_f16 v82, v112, v96, v82
	;;#ASMEND
	;;#ASMSTART
	v_dot2_f32_f16 v82, v113, v97, v82
	;;#ASMEND
	;; [unrolled: 3-line block ×32, first 2 shown]
	ds_load_b128 v[0:3], v20 offset:16432
	ds_load_b128 v[96:99], v21 offset:176
	;; [unrolled: 1-line block ×10, first 2 shown]
	s_waitcnt lgkmcnt(8)
	;;#ASMSTART
	v_dot2_f32_f16 v81, v0, v96, v81
	;;#ASMEND
	;;#ASMSTART
	v_dot2_f32_f16 v81, v1, v97, v81
	;;#ASMEND
	;;#ASMSTART
	v_dot2_f32_f16 v81, v2, v98, v81
	;;#ASMEND
	;;#ASMSTART
	v_dot2_f32_f16 v81, v3, v99, v81
	;;#ASMEND
	s_waitcnt lgkmcnt(7)
	;;#ASMSTART
	v_dot2_f32_f16 v94, v0, v100, v94
	;;#ASMEND
	;;#ASMSTART
	v_dot2_f32_f16 v94, v1, v101, v94
	;;#ASMEND
	;;#ASMSTART
	v_dot2_f32_f16 v94, v2, v102, v94
	;;#ASMEND
	;;#ASMSTART
	v_dot2_f32_f16 v94, v3, v103, v94
	;;#ASMEND
	;; [unrolled: 13-line block ×8, first 2 shown]
	;;#ASMSTART
	v_dot2_f32_f16 v82, v112, v96, v82
	;;#ASMEND
	;;#ASMSTART
	v_dot2_f32_f16 v82, v113, v97, v82
	;;#ASMEND
	;;#ASMSTART
	v_dot2_f32_f16 v82, v114, v98, v82
	;;#ASMEND
	;;#ASMSTART
	v_dot2_f32_f16 v82, v115, v99, v82
	;;#ASMEND
	;;#ASMSTART
	v_dot2_f32_f16 v95, v112, v100, v95
	;;#ASMEND
	;;#ASMSTART
	v_dot2_f32_f16 v95, v113, v101, v95
	;;#ASMEND
	;;#ASMSTART
	v_dot2_f32_f16 v95, v114, v102, v95
	;;#ASMEND
	;;#ASMSTART
	v_dot2_f32_f16 v95, v115, v103, v95
	;;#ASMEND
	;;#ASMSTART
	v_dot2_f32_f16 v93, v112, v104, v93
	;;#ASMEND
	;;#ASMSTART
	v_dot2_f32_f16 v93, v113, v105, v93
	;;#ASMEND
	;;#ASMSTART
	v_dot2_f32_f16 v93, v114, v106, v93
	;;#ASMEND
	;;#ASMSTART
	v_dot2_f32_f16 v93, v115, v107, v93
	;;#ASMEND
	;;#ASMSTART
	v_dot2_f32_f16 v91, v112, v108, v91
	;;#ASMEND
	;;#ASMSTART
	v_dot2_f32_f16 v91, v113, v109, v91
	;;#ASMEND
	;;#ASMSTART
	v_dot2_f32_f16 v91, v114, v110, v91
	;;#ASMEND
	;;#ASMSTART
	v_dot2_f32_f16 v91, v115, v111, v91
	;;#ASMEND
	;;#ASMSTART
	v_dot2_f32_f16 v89, v112, v116, v89
	;;#ASMEND
	;;#ASMSTART
	v_dot2_f32_f16 v89, v113, v117, v89
	;;#ASMEND
	;;#ASMSTART
	v_dot2_f32_f16 v89, v114, v118, v89
	;;#ASMEND
	;;#ASMSTART
	v_dot2_f32_f16 v89, v115, v119, v89
	;;#ASMEND
	;;#ASMSTART
	v_dot2_f32_f16 v87, v112, v120, v87
	;;#ASMEND
	;;#ASMSTART
	v_dot2_f32_f16 v87, v113, v121, v87
	;;#ASMEND
	;;#ASMSTART
	v_dot2_f32_f16 v87, v114, v122, v87
	;;#ASMEND
	;;#ASMSTART
	v_dot2_f32_f16 v87, v115, v123, v87
	;;#ASMEND
	;;#ASMSTART
	v_dot2_f32_f16 v80, v112, v124, v80
	;;#ASMEND
	;;#ASMSTART
	v_dot2_f32_f16 v80, v113, v125, v80
	;;#ASMEND
	;;#ASMSTART
	v_dot2_f32_f16 v80, v114, v126, v80
	;;#ASMEND
	;;#ASMSTART
	v_dot2_f32_f16 v80, v115, v127, v80
	;;#ASMEND
	;;#ASMSTART
	v_dot2_f32_f16 v78, v112, v128, v78
	;;#ASMEND
	;;#ASMSTART
	v_dot2_f32_f16 v78, v113, v129, v78
	;;#ASMEND
	;;#ASMSTART
	v_dot2_f32_f16 v78, v114, v130, v78
	;;#ASMEND
	;;#ASMSTART
	v_dot2_f32_f16 v78, v115, v131, v78
	;;#ASMEND
	ds_load_b128 v[0:3], v20 offset:16448
	ds_load_b128 v[96:99], v21 offset:192
	;; [unrolled: 1-line block ×10, first 2 shown]
	s_waitcnt lgkmcnt(8)
	;;#ASMSTART
	v_dot2_f32_f16 v81, v0, v96, v81
	;;#ASMEND
	;;#ASMSTART
	v_dot2_f32_f16 v81, v1, v97, v81
	;;#ASMEND
	;;#ASMSTART
	v_dot2_f32_f16 v81, v2, v98, v81
	;;#ASMEND
	;;#ASMSTART
	v_dot2_f32_f16 v81, v3, v99, v81
	;;#ASMEND
	s_waitcnt lgkmcnt(7)
	;;#ASMSTART
	v_dot2_f32_f16 v94, v0, v100, v94
	;;#ASMEND
	;;#ASMSTART
	v_dot2_f32_f16 v94, v1, v101, v94
	;;#ASMEND
	;;#ASMSTART
	v_dot2_f32_f16 v94, v2, v102, v94
	;;#ASMEND
	;;#ASMSTART
	v_dot2_f32_f16 v94, v3, v103, v94
	;;#ASMEND
	;; [unrolled: 13-line block ×8, first 2 shown]
	;;#ASMSTART
	v_dot2_f32_f16 v82, v112, v96, v82
	;;#ASMEND
	;;#ASMSTART
	v_dot2_f32_f16 v82, v113, v97, v82
	;;#ASMEND
	;; [unrolled: 3-line block ×32, first 2 shown]
	ds_load_b128 v[0:3], v20 offset:16464
	ds_load_b128 v[96:99], v21 offset:208
	;; [unrolled: 1-line block ×10, first 2 shown]
	s_waitcnt lgkmcnt(8)
	;;#ASMSTART
	v_dot2_f32_f16 v81, v0, v96, v81
	;;#ASMEND
	;;#ASMSTART
	v_dot2_f32_f16 v81, v1, v97, v81
	;;#ASMEND
	;;#ASMSTART
	v_dot2_f32_f16 v81, v2, v98, v81
	;;#ASMEND
	;;#ASMSTART
	v_dot2_f32_f16 v81, v3, v99, v81
	;;#ASMEND
	s_waitcnt lgkmcnt(7)
	;;#ASMSTART
	v_dot2_f32_f16 v94, v0, v100, v94
	;;#ASMEND
	;;#ASMSTART
	v_dot2_f32_f16 v94, v1, v101, v94
	;;#ASMEND
	;;#ASMSTART
	v_dot2_f32_f16 v94, v2, v102, v94
	;;#ASMEND
	;;#ASMSTART
	v_dot2_f32_f16 v94, v3, v103, v94
	;;#ASMEND
	;; [unrolled: 13-line block ×8, first 2 shown]
	;;#ASMSTART
	v_dot2_f32_f16 v82, v112, v96, v82
	;;#ASMEND
	;;#ASMSTART
	v_dot2_f32_f16 v82, v113, v97, v82
	;;#ASMEND
	;; [unrolled: 3-line block ×32, first 2 shown]
	ds_load_b128 v[0:3], v20 offset:16480
	ds_load_b128 v[96:99], v21 offset:224
	;; [unrolled: 1-line block ×10, first 2 shown]
	s_waitcnt lgkmcnt(8)
	;;#ASMSTART
	v_dot2_f32_f16 v81, v0, v96, v81
	;;#ASMEND
	;;#ASMSTART
	v_dot2_f32_f16 v81, v1, v97, v81
	;;#ASMEND
	;;#ASMSTART
	v_dot2_f32_f16 v81, v2, v98, v81
	;;#ASMEND
	;;#ASMSTART
	v_dot2_f32_f16 v81, v3, v99, v81
	;;#ASMEND
	s_waitcnt lgkmcnt(7)
	;;#ASMSTART
	v_dot2_f32_f16 v94, v0, v100, v94
	;;#ASMEND
	;;#ASMSTART
	v_dot2_f32_f16 v94, v1, v101, v94
	;;#ASMEND
	;;#ASMSTART
	v_dot2_f32_f16 v94, v2, v102, v94
	;;#ASMEND
	;;#ASMSTART
	v_dot2_f32_f16 v94, v3, v103, v94
	;;#ASMEND
	;; [unrolled: 13-line block ×8, first 2 shown]
	;;#ASMSTART
	v_dot2_f32_f16 v82, v112, v96, v82
	;;#ASMEND
	;;#ASMSTART
	v_dot2_f32_f16 v82, v113, v97, v82
	;;#ASMEND
	;; [unrolled: 3-line block ×32, first 2 shown]
	ds_load_b128 v[0:3], v20 offset:16496
	ds_load_b128 v[96:99], v21 offset:240
	;; [unrolled: 1-line block ×10, first 2 shown]
	s_waitcnt lgkmcnt(8)
	;;#ASMSTART
	v_dot2_f32_f16 v81, v0, v96, v81
	;;#ASMEND
	;;#ASMSTART
	v_dot2_f32_f16 v81, v1, v97, v81
	;;#ASMEND
	;;#ASMSTART
	v_dot2_f32_f16 v81, v2, v98, v81
	;;#ASMEND
	;;#ASMSTART
	v_dot2_f32_f16 v81, v3, v99, v81
	;;#ASMEND
	s_waitcnt lgkmcnt(7)
	;;#ASMSTART
	v_dot2_f32_f16 v94, v0, v100, v94
	;;#ASMEND
	;;#ASMSTART
	v_dot2_f32_f16 v94, v1, v101, v94
	;;#ASMEND
	;;#ASMSTART
	v_dot2_f32_f16 v94, v2, v102, v94
	;;#ASMEND
	;;#ASMSTART
	v_dot2_f32_f16 v94, v3, v103, v94
	;;#ASMEND
	;; [unrolled: 13-line block ×8, first 2 shown]
	;;#ASMSTART
	v_dot2_f32_f16 v82, v112, v96, v82
	;;#ASMEND
	;;#ASMSTART
	v_dot2_f32_f16 v82, v113, v97, v82
	;;#ASMEND
	;; [unrolled: 3-line block ×25, first 2 shown]
	v_cmp_ngt_f32_e64 s19, 0x3f200000, |v81|
	;;#ASMSTART
	v_dot2_f32_f16 v80, v113, v125, v80
	;;#ASMEND
	;;#ASMSTART
	v_dot2_f32_f16 v80, v114, v126, v80
	;;#ASMEND
	;; [unrolled: 3-line block ×7, first 2 shown]
                                        ; implicit-def: $vgpr2
	s_and_saveexec_b32 s20, s19
	s_delay_alu instid0(SALU_CYCLE_1)
	s_xor_b32 s19, exec_lo, s20
	s_cbranch_execz .LBB80_11
; %bb.10:                               ;   in Loop: Header=BB80_9 Depth=1
	v_add_f32_e64 v0, |v81|, |v81|
	s_delay_alu instid0(VALU_DEP_1) | instskip(SKIP_1) | instid1(VALU_DEP_2)
	v_mul_f32_e32 v1, 0x3fb8aa3b, v0
	v_cmp_ngt_f32_e32 vcc_lo, 0xc2ce8ed0, v0
	v_rndne_f32_e32 v2, v1
	v_fma_f32 v3, 0x3fb8aa3b, v0, -v1
	s_delay_alu instid0(VALU_DEP_2) | instskip(NEXT) | instid1(VALU_DEP_2)
	v_sub_f32_e32 v1, v1, v2
	v_fmac_f32_e32 v3, 0x32a5705f, v0
	v_cvt_i32_f32_e32 v2, v2
	s_delay_alu instid0(VALU_DEP_2) | instskip(NEXT) | instid1(VALU_DEP_1)
	v_add_f32_e32 v1, v1, v3
	v_exp_f32_e32 v1, v1
	s_waitcnt_depctr 0xfff
	v_ldexp_f32 v1, v1, v2
	s_delay_alu instid0(VALU_DEP_1) | instskip(SKIP_1) | instid1(VALU_DEP_2)
	v_cndmask_b32_e32 v1, 0, v1, vcc_lo
	v_cmp_nlt_f32_e32 vcc_lo, 0x42b17218, v0
	v_cndmask_b32_e32 v0, 0x7f800000, v1, vcc_lo
	s_delay_alu instid0(VALU_DEP_1) | instskip(NEXT) | instid1(VALU_DEP_1)
	v_add_f32_e32 v0, 1.0, v0
	v_rcp_f32_e32 v0, v0
	s_waitcnt_depctr 0xfff
	v_fma_f32 v2, v0, -2.0, 1.0
.LBB80_11:                              ;   in Loop: Header=BB80_9 Depth=1
	s_and_not1_saveexec_b32 s19, s19
; %bb.12:                               ;   in Loop: Header=BB80_9 Depth=1
	v_mul_f32_e32 v0, v81, v81
	s_delay_alu instid0(VALU_DEP_1) | instskip(NEXT) | instid1(VALU_DEP_1)
	v_fmaak_f32 v1, s18, v0, 0x3ca908c9
	v_fmaak_f32 v1, v0, v1, 0xbd5c1c4e
	s_delay_alu instid0(VALU_DEP_1) | instskip(NEXT) | instid1(VALU_DEP_1)
	v_fmaak_f32 v1, v0, v1, 0x3e088382
	v_fmaak_f32 v1, v0, v1, 0xbeaaaa99
	s_delay_alu instid0(VALU_DEP_1) | instskip(NEXT) | instid1(VALU_DEP_1)
	v_mul_f32_e64 v1, |v81|, v1
	v_fma_f32 v2, v0, v1, |v81|
; %bb.13:                               ;   in Loop: Header=BB80_9 Depth=1
	s_or_b32 exec_lo, exec_lo, s19
	v_add_nc_u32_e32 v109, s3, v39
	v_cmp_ngt_f32_e64 s19, 0x3f200000, |v82|
                                        ; implicit-def: $vgpr3
	s_delay_alu instid0(VALU_DEP_2) | instskip(NEXT) | instid1(VALU_DEP_1)
	v_add_nc_u32_e32 v0, v109, v22
	v_ashrrev_i32_e32 v1, 31, v0
	s_delay_alu instid0(VALU_DEP_1) | instskip(NEXT) | instid1(VALU_DEP_1)
	v_lshlrev_b64 v[0:1], 1, v[0:1]
	v_add_co_u32 v0, vcc_lo, s36, v0
	s_delay_alu instid0(VALU_DEP_2) | instskip(SKIP_2) | instid1(SALU_CYCLE_1)
	v_add_co_ci_u32_e32 v1, vcc_lo, s37, v1, vcc_lo
	flat_load_u16 v101, v[0:1]
	s_and_saveexec_b32 s20, s19
	s_xor_b32 s19, exec_lo, s20
	s_cbranch_execz .LBB80_15
; %bb.14:                               ;   in Loop: Header=BB80_9 Depth=1
	v_add_f32_e64 v3, |v82|, |v82|
	s_delay_alu instid0(VALU_DEP_1) | instskip(SKIP_1) | instid1(VALU_DEP_2)
	v_mul_f32_e32 v83, 0x3fb8aa3b, v3
	v_cmp_ngt_f32_e32 vcc_lo, 0xc2ce8ed0, v3
	v_rndne_f32_e32 v84, v83
	v_fma_f32 v86, 0x3fb8aa3b, v3, -v83
	s_delay_alu instid0(VALU_DEP_1) | instskip(SKIP_1) | instid1(VALU_DEP_2)
	v_dual_sub_f32 v83, v83, v84 :: v_dual_fmac_f32 v86, 0x32a5705f, v3
	v_cvt_i32_f32_e32 v84, v84
	v_add_f32_e32 v83, v83, v86
	s_delay_alu instid0(VALU_DEP_1) | instskip(SKIP_2) | instid1(VALU_DEP_1)
	v_exp_f32_e32 v83, v83
	s_waitcnt_depctr 0xfff
	v_ldexp_f32 v83, v83, v84
	v_cndmask_b32_e32 v83, 0, v83, vcc_lo
	v_cmp_nlt_f32_e32 vcc_lo, 0x42b17218, v3
	s_delay_alu instid0(VALU_DEP_2) | instskip(NEXT) | instid1(VALU_DEP_1)
	v_cndmask_b32_e32 v3, 0x7f800000, v83, vcc_lo
	v_add_f32_e32 v3, 1.0, v3
	s_delay_alu instid0(VALU_DEP_1)
	v_rcp_f32_e32 v3, v3
	s_waitcnt_depctr 0xfff
	v_fma_f32 v3, v3, -2.0, 1.0
.LBB80_15:                              ;   in Loop: Header=BB80_9 Depth=1
	s_and_not1_saveexec_b32 s19, s19
; %bb.16:                               ;   in Loop: Header=BB80_9 Depth=1
	v_mul_f32_e32 v3, v82, v82
	s_delay_alu instid0(VALU_DEP_1) | instskip(NEXT) | instid1(VALU_DEP_1)
	v_fmaak_f32 v83, s18, v3, 0x3ca908c9
	v_fmaak_f32 v83, v3, v83, 0xbd5c1c4e
	s_delay_alu instid0(VALU_DEP_1) | instskip(NEXT) | instid1(VALU_DEP_1)
	v_fmaak_f32 v83, v3, v83, 0x3e088382
	v_fmaak_f32 v83, v3, v83, 0xbeaaaa99
	s_delay_alu instid0(VALU_DEP_1) | instskip(NEXT) | instid1(VALU_DEP_1)
	v_mul_f32_e64 v83, |v82|, v83
	v_fma_f32 v3, v3, v83, |v82|
; %bb.17:                               ;   in Loop: Header=BB80_9 Depth=1
	s_or_b32 exec_lo, exec_lo, s19
	flat_load_u16 v0, v[0:1] offset:64
	v_bfi_b32 v1, 0x7fffffff, v2, v81
	v_bfi_b32 v2, 0x7fffffff, v3, v82
	v_xor_b32_e32 v86, 16, v16
	v_xor_b32_e32 v84, 8, v16
	;; [unrolled: 1-line block ×3, first 2 shown]
	s_waitcnt vmcnt(1) lgkmcnt(1)
	v_fma_mix_f32 v97, v1, s8, v101 op_sel_hi:[0,0,1]
	v_xor_b32_e32 v83, 4, v16
	v_cmp_gt_i32_e32 vcc_lo, 32, v86
	v_xor_b32_e32 v82, 2, v16
	v_cmp_ngt_f32_e64 s19, 0x3f200000, |v94|
	v_add_f32_e32 v1, 0x40051340, v97
	s_waitcnt vmcnt(0) lgkmcnt(0)
	v_fma_mix_f32 v98, v2, s8, v0 op_sel_hi:[0,0,1]
	v_cndmask_b32_e32 v2, v16, v86, vcc_lo
	v_cmp_gt_i32_e32 vcc_lo, 32, v84
	s_delay_alu instid0(VALU_DEP_3) | instskip(NEXT) | instid1(VALU_DEP_3)
	v_add_f32_e32 v3, 0x40051340, v98
	v_lshlrev_b32_e32 v100, 2, v2
	s_delay_alu instid0(VALU_DEP_2)
	v_max3_f32 v1, v75, v1, v3
	v_cndmask_b32_e32 v3, v16, v84, vcc_lo
	v_cmp_gt_i32_e32 vcc_lo, 32, v83
	ds_bpermute_b32 v2, v100, v1
	v_lshlrev_b32_e32 v99, 2, v3
	v_cndmask_b32_e32 v3, v16, v83, vcc_lo
	v_cmp_gt_i32_e32 vcc_lo, 32, v82
	s_delay_alu instid0(VALU_DEP_2) | instskip(SKIP_1) | instid1(VALU_DEP_2)
	v_dual_cndmask_b32 v3, v16, v82 :: v_dual_lshlrev_b32 v96, 2, v3
	v_cmp_gt_i32_e32 vcc_lo, 32, v81
	v_dual_cndmask_b32 v102, v16, v81 :: v_dual_lshlrev_b32 v3, 2, v3
	s_waitcnt lgkmcnt(0)
	v_max_f32_e32 v2, v2, v2
	s_delay_alu instid0(VALU_DEP_1) | instskip(SKIP_3) | instid1(VALU_DEP_1)
	v_max_f32_e32 v1, v1, v2
	ds_bpermute_b32 v2, v99, v1
	s_waitcnt lgkmcnt(0)
	v_max_f32_e32 v2, v2, v2
	v_max_f32_e32 v1, v1, v2
	ds_bpermute_b32 v2, v96, v1
	s_waitcnt lgkmcnt(0)
	v_max_f32_e32 v2, v2, v2
	s_delay_alu instid0(VALU_DEP_1) | instskip(SKIP_3) | instid1(VALU_DEP_1)
	v_max_f32_e32 v1, v1, v2
	ds_bpermute_b32 v2, v3, v1
	s_waitcnt lgkmcnt(0)
	v_max_f32_e32 v103, v2, v2
	v_dual_max_f32 v113, v1, v103 :: v_dual_lshlrev_b32 v2, 2, v102
                                        ; implicit-def: $vgpr1
	ds_bpermute_b32 v114, v2, v113
	s_and_saveexec_b32 s20, s19
	s_delay_alu instid0(SALU_CYCLE_1)
	s_xor_b32 s19, exec_lo, s20
	s_cbranch_execz .LBB80_19
; %bb.18:                               ;   in Loop: Header=BB80_9 Depth=1
	v_add_f32_e64 v1, |v94|, |v94|
	s_delay_alu instid0(VALU_DEP_1) | instskip(SKIP_1) | instid1(VALU_DEP_2)
	v_mul_f32_e32 v102, 0x3fb8aa3b, v1
	v_cmp_ngt_f32_e32 vcc_lo, 0xc2ce8ed0, v1
	v_rndne_f32_e32 v103, v102
	v_fma_f32 v104, 0x3fb8aa3b, v1, -v102
	s_delay_alu instid0(VALU_DEP_2) | instskip(NEXT) | instid1(VALU_DEP_2)
	v_sub_f32_e32 v102, v102, v103
	v_fmac_f32_e32 v104, 0x32a5705f, v1
	v_cvt_i32_f32_e32 v103, v103
	s_delay_alu instid0(VALU_DEP_2) | instskip(NEXT) | instid1(VALU_DEP_1)
	v_add_f32_e32 v102, v102, v104
	v_exp_f32_e32 v102, v102
	s_waitcnt_depctr 0xfff
	v_ldexp_f32 v102, v102, v103
	s_delay_alu instid0(VALU_DEP_1) | instskip(SKIP_1) | instid1(VALU_DEP_2)
	v_cndmask_b32_e32 v102, 0, v102, vcc_lo
	v_cmp_nlt_f32_e32 vcc_lo, 0x42b17218, v1
	v_cndmask_b32_e32 v1, 0x7f800000, v102, vcc_lo
	s_delay_alu instid0(VALU_DEP_1) | instskip(NEXT) | instid1(VALU_DEP_1)
	v_add_f32_e32 v1, 1.0, v1
	v_rcp_f32_e32 v1, v1
	s_waitcnt_depctr 0xfff
	v_fma_f32 v1, v1, -2.0, 1.0
.LBB80_19:                              ;   in Loop: Header=BB80_9 Depth=1
	s_and_not1_saveexec_b32 s19, s19
; %bb.20:                               ;   in Loop: Header=BB80_9 Depth=1
	v_mul_f32_e32 v1, v94, v94
	s_delay_alu instid0(VALU_DEP_1) | instskip(NEXT) | instid1(VALU_DEP_1)
	v_fmaak_f32 v102, s18, v1, 0x3ca908c9
	v_fmaak_f32 v102, v1, v102, 0xbd5c1c4e
	s_delay_alu instid0(VALU_DEP_1) | instskip(NEXT) | instid1(VALU_DEP_1)
	v_fmaak_f32 v102, v1, v102, 0x3e088382
	v_fmaak_f32 v102, v1, v102, 0xbeaaaa99
	s_delay_alu instid0(VALU_DEP_1) | instskip(NEXT) | instid1(VALU_DEP_1)
	v_mul_f32_e64 v102, |v94|, v102
	v_fma_f32 v1, v1, v102, |v94|
; %bb.21:                               ;   in Loop: Header=BB80_9 Depth=1
	s_or_b32 exec_lo, exec_lo, s19
	v_cmp_ngt_f32_e64 s19, 0x3f200000, |v95|
                                        ; implicit-def: $vgpr103
	s_delay_alu instid0(VALU_DEP_1) | instskip(NEXT) | instid1(SALU_CYCLE_1)
	s_and_saveexec_b32 s20, s19
	s_xor_b32 s19, exec_lo, s20
	s_cbranch_execz .LBB80_23
; %bb.22:                               ;   in Loop: Header=BB80_9 Depth=1
	v_add_f32_e64 v102, |v95|, |v95|
	s_delay_alu instid0(VALU_DEP_1) | instskip(SKIP_1) | instid1(VALU_DEP_2)
	v_mul_f32_e32 v103, 0x3fb8aa3b, v102
	v_cmp_ngt_f32_e32 vcc_lo, 0xc2ce8ed0, v102
	v_rndne_f32_e32 v104, v103
	v_fma_f32 v105, 0x3fb8aa3b, v102, -v103
	s_delay_alu instid0(VALU_DEP_2) | instskip(NEXT) | instid1(VALU_DEP_2)
	v_sub_f32_e32 v103, v103, v104
	v_fmac_f32_e32 v105, 0x32a5705f, v102
	v_cvt_i32_f32_e32 v104, v104
	s_delay_alu instid0(VALU_DEP_2) | instskip(NEXT) | instid1(VALU_DEP_1)
	v_add_f32_e32 v103, v103, v105
	v_exp_f32_e32 v103, v103
	s_waitcnt_depctr 0xfff
	v_ldexp_f32 v103, v103, v104
	s_delay_alu instid0(VALU_DEP_1) | instskip(SKIP_1) | instid1(VALU_DEP_2)
	v_cndmask_b32_e32 v103, 0, v103, vcc_lo
	v_cmp_nlt_f32_e32 vcc_lo, 0x42b17218, v102
	v_cndmask_b32_e32 v102, 0x7f800000, v103, vcc_lo
	s_delay_alu instid0(VALU_DEP_1) | instskip(NEXT) | instid1(VALU_DEP_1)
	v_add_f32_e32 v102, 1.0, v102
	v_rcp_f32_e32 v102, v102
	s_waitcnt_depctr 0xfff
	v_fma_f32 v103, v102, -2.0, 1.0
.LBB80_23:                              ;   in Loop: Header=BB80_9 Depth=1
	s_and_not1_saveexec_b32 s19, s19
; %bb.24:                               ;   in Loop: Header=BB80_9 Depth=1
	v_mul_f32_e32 v102, v95, v95
	s_delay_alu instid0(VALU_DEP_1) | instskip(NEXT) | instid1(VALU_DEP_1)
	v_fmaak_f32 v103, s18, v102, 0x3ca908c9
	v_fmaak_f32 v103, v102, v103, 0xbd5c1c4e
	s_delay_alu instid0(VALU_DEP_1) | instskip(NEXT) | instid1(VALU_DEP_1)
	v_fmaak_f32 v103, v102, v103, 0x3e088382
	v_fmaak_f32 v103, v102, v103, 0xbeaaaa99
	s_delay_alu instid0(VALU_DEP_1) | instskip(NEXT) | instid1(VALU_DEP_1)
	v_mul_f32_e64 v103, |v95|, v103
	v_fma_f32 v103, v102, v103, |v95|
; %bb.25:                               ;   in Loop: Header=BB80_9 Depth=1
	s_or_b32 exec_lo, exec_lo, s19
	v_cvt_f32_f16_e32 v102, v101
	v_cvt_f32_f16_e32 v101, v0
	v_bfi_b32 v0, 0x7fffffff, v1, v94
	v_bfi_b32 v1, 0x7fffffff, v103, v95
	v_cmp_ngt_f32_e64 s19, 0x3f200000, |v92|
                                        ; implicit-def: $vgpr95
	s_delay_alu instid0(VALU_DEP_2) | instskip(NEXT) | instid1(VALU_DEP_1)
	v_dual_fmac_f32 v102, s8, v0 :: v_dual_fmac_f32 v101, s8, v1
	v_dual_add_f32 v0, 0x40051340, v102 :: v_dual_add_f32 v1, 0x40051340, v101
	s_delay_alu instid0(VALU_DEP_1) | instskip(SKIP_3) | instid1(VALU_DEP_1)
	v_max3_f32 v0, v76, v0, v1
	ds_bpermute_b32 v1, v100, v0
	s_waitcnt lgkmcnt(0)
	v_max_f32_e32 v1, v1, v1
	v_max_f32_e32 v0, v0, v1
	ds_bpermute_b32 v1, v99, v0
	s_waitcnt lgkmcnt(0)
	v_max_f32_e32 v1, v1, v1
	s_delay_alu instid0(VALU_DEP_1) | instskip(SKIP_3) | instid1(VALU_DEP_1)
	v_max_f32_e32 v0, v0, v1
	ds_bpermute_b32 v1, v96, v0
	s_waitcnt lgkmcnt(0)
	v_max_f32_e32 v1, v1, v1
	v_max_f32_e32 v0, v0, v1
	ds_bpermute_b32 v1, v3, v0
	s_waitcnt lgkmcnt(0)
	v_max_f32_e32 v1, v1, v1
	s_delay_alu instid0(VALU_DEP_1) | instskip(SKIP_2) | instid1(SALU_CYCLE_1)
	v_max_f32_e32 v117, v0, v1
	ds_bpermute_b32 v118, v2, v117
	s_and_saveexec_b32 s20, s19
	s_xor_b32 s19, exec_lo, s20
	s_cbranch_execz .LBB80_27
; %bb.26:                               ;   in Loop: Header=BB80_9 Depth=1
	v_add_f32_e64 v0, |v92|, |v92|
	s_delay_alu instid0(VALU_DEP_1) | instskip(SKIP_1) | instid1(VALU_DEP_2)
	v_mul_f32_e32 v1, 0x3fb8aa3b, v0
	v_cmp_ngt_f32_e32 vcc_lo, 0xc2ce8ed0, v0
	v_rndne_f32_e32 v94, v1
	v_fma_f32 v95, 0x3fb8aa3b, v0, -v1
	s_delay_alu instid0(VALU_DEP_2) | instskip(NEXT) | instid1(VALU_DEP_2)
	v_sub_f32_e32 v1, v1, v94
	v_fmac_f32_e32 v95, 0x32a5705f, v0
	v_cvt_i32_f32_e32 v94, v94
	s_delay_alu instid0(VALU_DEP_2) | instskip(NEXT) | instid1(VALU_DEP_1)
	v_add_f32_e32 v1, v1, v95
	v_exp_f32_e32 v1, v1
	s_waitcnt_depctr 0xfff
	v_ldexp_f32 v1, v1, v94
	s_delay_alu instid0(VALU_DEP_1) | instskip(SKIP_1) | instid1(VALU_DEP_2)
	v_cndmask_b32_e32 v1, 0, v1, vcc_lo
	v_cmp_nlt_f32_e32 vcc_lo, 0x42b17218, v0
	v_cndmask_b32_e32 v0, 0x7f800000, v1, vcc_lo
	s_delay_alu instid0(VALU_DEP_1) | instskip(NEXT) | instid1(VALU_DEP_1)
	v_add_f32_e32 v0, 1.0, v0
	v_rcp_f32_e32 v0, v0
	s_waitcnt_depctr 0xfff
	v_fma_f32 v95, v0, -2.0, 1.0
.LBB80_27:                              ;   in Loop: Header=BB80_9 Depth=1
	s_and_not1_saveexec_b32 s19, s19
; %bb.28:                               ;   in Loop: Header=BB80_9 Depth=1
	v_mul_f32_e32 v0, v92, v92
	s_delay_alu instid0(VALU_DEP_1) | instskip(NEXT) | instid1(VALU_DEP_1)
	v_fmaak_f32 v1, s18, v0, 0x3ca908c9
	v_fmaak_f32 v1, v0, v1, 0xbd5c1c4e
	s_delay_alu instid0(VALU_DEP_1) | instskip(NEXT) | instid1(VALU_DEP_1)
	v_fmaak_f32 v1, v0, v1, 0x3e088382
	v_fmaak_f32 v1, v0, v1, 0xbeaaaa99
	s_delay_alu instid0(VALU_DEP_1) | instskip(NEXT) | instid1(VALU_DEP_1)
	v_mul_f32_e64 v1, |v92|, v1
	v_fma_f32 v95, v0, v1, |v92|
; %bb.29:                               ;   in Loop: Header=BB80_9 Depth=1
	s_or_b32 exec_lo, exec_lo, s19
	v_add_nc_u32_e32 v0, v109, v23
	v_cmp_ngt_f32_e64 s19, 0x3f200000, |v93|
                                        ; implicit-def: $vgpr103
	s_delay_alu instid0(VALU_DEP_2) | instskip(NEXT) | instid1(VALU_DEP_1)
	v_ashrrev_i32_e32 v1, 31, v0
	v_lshlrev_b64 v[0:1], 1, v[0:1]
	s_delay_alu instid0(VALU_DEP_1) | instskip(NEXT) | instid1(VALU_DEP_2)
	v_add_co_u32 v0, vcc_lo, s36, v0
	v_add_co_ci_u32_e32 v1, vcc_lo, s37, v1, vcc_lo
	flat_load_u16 v94, v[0:1]
	s_and_saveexec_b32 s20, s19
	s_delay_alu instid0(SALU_CYCLE_1)
	s_xor_b32 s19, exec_lo, s20
	s_cbranch_execz .LBB80_31
; %bb.30:                               ;   in Loop: Header=BB80_9 Depth=1
	v_add_f32_e64 v103, |v93|, |v93|
	s_delay_alu instid0(VALU_DEP_1) | instskip(SKIP_1) | instid1(VALU_DEP_2)
	v_mul_f32_e32 v104, 0x3fb8aa3b, v103
	v_cmp_ngt_f32_e32 vcc_lo, 0xc2ce8ed0, v103
	v_rndne_f32_e32 v105, v104
	v_fma_f32 v106, 0x3fb8aa3b, v103, -v104
	s_delay_alu instid0(VALU_DEP_2) | instskip(NEXT) | instid1(VALU_DEP_2)
	v_sub_f32_e32 v104, v104, v105
	v_fmac_f32_e32 v106, 0x32a5705f, v103
	v_cvt_i32_f32_e32 v105, v105
	s_delay_alu instid0(VALU_DEP_2) | instskip(NEXT) | instid1(VALU_DEP_1)
	v_add_f32_e32 v104, v104, v106
	v_exp_f32_e32 v104, v104
	s_waitcnt_depctr 0xfff
	v_ldexp_f32 v104, v104, v105
	s_delay_alu instid0(VALU_DEP_1) | instskip(SKIP_1) | instid1(VALU_DEP_2)
	v_cndmask_b32_e32 v104, 0, v104, vcc_lo
	v_cmp_nlt_f32_e32 vcc_lo, 0x42b17218, v103
	v_cndmask_b32_e32 v103, 0x7f800000, v104, vcc_lo
	s_delay_alu instid0(VALU_DEP_1) | instskip(NEXT) | instid1(VALU_DEP_1)
	v_add_f32_e32 v103, 1.0, v103
	v_rcp_f32_e32 v103, v103
	s_waitcnt_depctr 0xfff
	v_fma_f32 v103, v103, -2.0, 1.0
.LBB80_31:                              ;   in Loop: Header=BB80_9 Depth=1
	s_and_not1_saveexec_b32 s19, s19
; %bb.32:                               ;   in Loop: Header=BB80_9 Depth=1
	v_mul_f32_e32 v103, v93, v93
	s_delay_alu instid0(VALU_DEP_1) | instskip(NEXT) | instid1(VALU_DEP_1)
	v_fmaak_f32 v104, s18, v103, 0x3ca908c9
	v_fmaak_f32 v104, v103, v104, 0xbd5c1c4e
	s_delay_alu instid0(VALU_DEP_1) | instskip(NEXT) | instid1(VALU_DEP_1)
	v_fmaak_f32 v104, v103, v104, 0x3e088382
	v_fmaak_f32 v104, v103, v104, 0xbeaaaa99
	s_delay_alu instid0(VALU_DEP_1) | instskip(NEXT) | instid1(VALU_DEP_1)
	v_mul_f32_e64 v104, |v93|, v104
	v_fma_f32 v103, v103, v104, |v93|
; %bb.33:                               ;   in Loop: Header=BB80_9 Depth=1
	s_or_b32 exec_lo, exec_lo, s19
	flat_load_u16 v0, v[0:1] offset:64
	v_bfi_b32 v1, 0x7fffffff, v95, v92
	v_bfi_b32 v93, 0x7fffffff, v103, v93
	v_cmp_ngt_f32_e64 s19, 0x3f200000, |v90|
	s_waitcnt vmcnt(1) lgkmcnt(1)
	s_delay_alu instid0(VALU_DEP_3) | instskip(NEXT) | instid1(VALU_DEP_1)
	v_fma_mix_f32 v92, v1, s8, v94 op_sel_hi:[0,0,1]
	v_add_f32_e32 v1, 0x40051340, v92
	s_waitcnt vmcnt(0) lgkmcnt(0)
	v_fma_mix_f32 v93, v93, s8, v0 op_sel_hi:[0,0,1]
	s_delay_alu instid0(VALU_DEP_1) | instskip(NEXT) | instid1(VALU_DEP_1)
	v_add_f32_e32 v95, 0x40051340, v93
	v_max3_f32 v1, v73, v1, v95
	ds_bpermute_b32 v95, v100, v1
	s_waitcnt lgkmcnt(0)
	v_max_f32_e32 v95, v95, v95
	s_delay_alu instid0(VALU_DEP_1) | instskip(SKIP_3) | instid1(VALU_DEP_1)
	v_max_f32_e32 v1, v1, v95
	ds_bpermute_b32 v95, v99, v1
	s_waitcnt lgkmcnt(0)
	v_max_f32_e32 v95, v95, v95
	v_max_f32_e32 v1, v1, v95
	ds_bpermute_b32 v95, v96, v1
	s_waitcnt lgkmcnt(0)
	v_max_f32_e32 v95, v95, v95
	s_delay_alu instid0(VALU_DEP_1) | instskip(SKIP_3) | instid1(VALU_DEP_1)
	v_max_f32_e32 v1, v1, v95
	ds_bpermute_b32 v95, v3, v1
	s_waitcnt lgkmcnt(0)
	v_max_f32_e32 v95, v95, v95
	v_max_f32_e32 v103, v1, v95
                                        ; implicit-def: $vgpr1
	ds_bpermute_b32 v104, v2, v103
	s_and_saveexec_b32 s20, s19
	s_delay_alu instid0(SALU_CYCLE_1)
	s_xor_b32 s19, exec_lo, s20
	s_cbranch_execz .LBB80_35
; %bb.34:                               ;   in Loop: Header=BB80_9 Depth=1
	v_add_f32_e64 v1, |v90|, |v90|
	s_delay_alu instid0(VALU_DEP_1) | instskip(SKIP_1) | instid1(VALU_DEP_2)
	v_mul_f32_e32 v95, 0x3fb8aa3b, v1
	v_cmp_ngt_f32_e32 vcc_lo, 0xc2ce8ed0, v1
	v_rndne_f32_e32 v105, v95
	v_fma_f32 v106, 0x3fb8aa3b, v1, -v95
	s_delay_alu instid0(VALU_DEP_2) | instskip(NEXT) | instid1(VALU_DEP_2)
	v_sub_f32_e32 v95, v95, v105
	v_fmac_f32_e32 v106, 0x32a5705f, v1
	v_cvt_i32_f32_e32 v105, v105
	s_delay_alu instid0(VALU_DEP_2) | instskip(NEXT) | instid1(VALU_DEP_1)
	v_add_f32_e32 v95, v95, v106
	v_exp_f32_e32 v95, v95
	s_waitcnt_depctr 0xfff
	v_ldexp_f32 v95, v95, v105
	s_delay_alu instid0(VALU_DEP_1) | instskip(SKIP_1) | instid1(VALU_DEP_2)
	v_cndmask_b32_e32 v95, 0, v95, vcc_lo
	v_cmp_nlt_f32_e32 vcc_lo, 0x42b17218, v1
	v_cndmask_b32_e32 v1, 0x7f800000, v95, vcc_lo
	s_delay_alu instid0(VALU_DEP_1) | instskip(NEXT) | instid1(VALU_DEP_1)
	v_add_f32_e32 v1, 1.0, v1
	v_rcp_f32_e32 v1, v1
	s_waitcnt_depctr 0xfff
	v_fma_f32 v1, v1, -2.0, 1.0
.LBB80_35:                              ;   in Loop: Header=BB80_9 Depth=1
	s_and_not1_saveexec_b32 s19, s19
; %bb.36:                               ;   in Loop: Header=BB80_9 Depth=1
	v_mul_f32_e32 v1, v90, v90
	s_delay_alu instid0(VALU_DEP_1) | instskip(NEXT) | instid1(VALU_DEP_1)
	v_fmaak_f32 v95, s18, v1, 0x3ca908c9
	v_fmaak_f32 v95, v1, v95, 0xbd5c1c4e
	s_delay_alu instid0(VALU_DEP_1) | instskip(NEXT) | instid1(VALU_DEP_1)
	v_fmaak_f32 v95, v1, v95, 0x3e088382
	v_fmaak_f32 v95, v1, v95, 0xbeaaaa99
	s_delay_alu instid0(VALU_DEP_1) | instskip(NEXT) | instid1(VALU_DEP_1)
	v_mul_f32_e64 v95, |v90|, v95
	v_fma_f32 v1, v1, v95, |v90|
; %bb.37:                               ;   in Loop: Header=BB80_9 Depth=1
	s_or_b32 exec_lo, exec_lo, s19
	v_cmp_ngt_f32_e64 s19, 0x3f200000, |v91|
                                        ; implicit-def: $vgpr105
	s_delay_alu instid0(VALU_DEP_1) | instskip(NEXT) | instid1(SALU_CYCLE_1)
	s_and_saveexec_b32 s20, s19
	s_xor_b32 s19, exec_lo, s20
	s_cbranch_execz .LBB80_39
; %bb.38:                               ;   in Loop: Header=BB80_9 Depth=1
	v_add_f32_e64 v95, |v91|, |v91|
	s_delay_alu instid0(VALU_DEP_1) | instskip(SKIP_1) | instid1(VALU_DEP_2)
	v_mul_f32_e32 v105, 0x3fb8aa3b, v95
	v_cmp_ngt_f32_e32 vcc_lo, 0xc2ce8ed0, v95
	v_rndne_f32_e32 v106, v105
	v_fma_f32 v107, 0x3fb8aa3b, v95, -v105
	s_delay_alu instid0(VALU_DEP_2) | instskip(NEXT) | instid1(VALU_DEP_2)
	v_sub_f32_e32 v105, v105, v106
	v_fmac_f32_e32 v107, 0x32a5705f, v95
	v_cvt_i32_f32_e32 v106, v106
	s_delay_alu instid0(VALU_DEP_2) | instskip(NEXT) | instid1(VALU_DEP_1)
	v_add_f32_e32 v105, v105, v107
	v_exp_f32_e32 v105, v105
	s_waitcnt_depctr 0xfff
	v_ldexp_f32 v105, v105, v106
	s_delay_alu instid0(VALU_DEP_1) | instskip(SKIP_1) | instid1(VALU_DEP_2)
	v_cndmask_b32_e32 v105, 0, v105, vcc_lo
	v_cmp_nlt_f32_e32 vcc_lo, 0x42b17218, v95
	v_cndmask_b32_e32 v95, 0x7f800000, v105, vcc_lo
	s_delay_alu instid0(VALU_DEP_1) | instskip(NEXT) | instid1(VALU_DEP_1)
	v_add_f32_e32 v95, 1.0, v95
	v_rcp_f32_e32 v95, v95
	s_waitcnt_depctr 0xfff
	v_fma_f32 v105, v95, -2.0, 1.0
.LBB80_39:                              ;   in Loop: Header=BB80_9 Depth=1
	s_and_not1_saveexec_b32 s19, s19
; %bb.40:                               ;   in Loop: Header=BB80_9 Depth=1
	v_mul_f32_e32 v95, v91, v91
	s_delay_alu instid0(VALU_DEP_1) | instskip(NEXT) | instid1(VALU_DEP_1)
	v_fmaak_f32 v105, s18, v95, 0x3ca908c9
	v_fmaak_f32 v105, v95, v105, 0xbd5c1c4e
	s_delay_alu instid0(VALU_DEP_1) | instskip(NEXT) | instid1(VALU_DEP_1)
	v_fmaak_f32 v105, v95, v105, 0x3e088382
	v_fmaak_f32 v105, v95, v105, 0xbeaaaa99
	s_delay_alu instid0(VALU_DEP_1) | instskip(NEXT) | instid1(VALU_DEP_1)
	v_mul_f32_e64 v105, |v91|, v105
	v_fma_f32 v105, v95, v105, |v91|
; %bb.41:                               ;   in Loop: Header=BB80_9 Depth=1
	s_or_b32 exec_lo, exec_lo, s19
	v_cvt_f32_f16_e32 v95, v94
	v_cvt_f32_f16_e32 v94, v0
	v_bfi_b32 v0, 0x7fffffff, v1, v90
	v_bfi_b32 v1, 0x7fffffff, v105, v91
	v_cmp_ngt_f32_e64 s19, 0x3f200000, |v88|
                                        ; implicit-def: $vgpr105
	s_delay_alu instid0(VALU_DEP_2) | instskip(NEXT) | instid1(VALU_DEP_1)
	v_dual_fmac_f32 v95, s8, v0 :: v_dual_fmac_f32 v94, s8, v1
	v_dual_add_f32 v0, 0x40051340, v95 :: v_dual_add_f32 v1, 0x40051340, v94
	s_delay_alu instid0(VALU_DEP_1) | instskip(SKIP_3) | instid1(VALU_DEP_1)
	v_max3_f32 v0, v72, v0, v1
	ds_bpermute_b32 v1, v100, v0
	s_waitcnt lgkmcnt(0)
	v_max_f32_e32 v1, v1, v1
	v_max_f32_e32 v0, v0, v1
	ds_bpermute_b32 v1, v99, v0
	s_waitcnt lgkmcnt(0)
	v_max_f32_e32 v1, v1, v1
	s_delay_alu instid0(VALU_DEP_1) | instskip(SKIP_3) | instid1(VALU_DEP_1)
	v_max_f32_e32 v0, v0, v1
	ds_bpermute_b32 v1, v96, v0
	s_waitcnt lgkmcnt(0)
	v_max_f32_e32 v1, v1, v1
	v_max_f32_e32 v0, v0, v1
	ds_bpermute_b32 v1, v3, v0
	s_waitcnt lgkmcnt(0)
	v_max_f32_e32 v1, v1, v1
	s_delay_alu instid0(VALU_DEP_1) | instskip(SKIP_2) | instid1(SALU_CYCLE_1)
	v_max_f32_e32 v90, v0, v1
	ds_bpermute_b32 v91, v2, v90
	s_and_saveexec_b32 s20, s19
	s_xor_b32 s19, exec_lo, s20
	s_cbranch_execz .LBB80_43
; %bb.42:                               ;   in Loop: Header=BB80_9 Depth=1
	v_add_f32_e64 v0, |v88|, |v88|
	s_delay_alu instid0(VALU_DEP_1) | instskip(SKIP_1) | instid1(VALU_DEP_2)
	v_mul_f32_e32 v1, 0x3fb8aa3b, v0
	v_cmp_ngt_f32_e32 vcc_lo, 0xc2ce8ed0, v0
	v_rndne_f32_e32 v105, v1
	v_fma_f32 v106, 0x3fb8aa3b, v0, -v1
	s_delay_alu instid0(VALU_DEP_1) | instskip(SKIP_1) | instid1(VALU_DEP_2)
	v_dual_sub_f32 v1, v1, v105 :: v_dual_fmac_f32 v106, 0x32a5705f, v0
	v_cvt_i32_f32_e32 v105, v105
	v_add_f32_e32 v1, v1, v106
	s_delay_alu instid0(VALU_DEP_1) | instskip(SKIP_2) | instid1(VALU_DEP_1)
	v_exp_f32_e32 v1, v1
	s_waitcnt_depctr 0xfff
	v_ldexp_f32 v1, v1, v105
	v_cndmask_b32_e32 v1, 0, v1, vcc_lo
	v_cmp_nlt_f32_e32 vcc_lo, 0x42b17218, v0
	s_delay_alu instid0(VALU_DEP_2) | instskip(NEXT) | instid1(VALU_DEP_1)
	v_cndmask_b32_e32 v0, 0x7f800000, v1, vcc_lo
	v_add_f32_e32 v0, 1.0, v0
	s_delay_alu instid0(VALU_DEP_1)
	v_rcp_f32_e32 v0, v0
	s_waitcnt_depctr 0xfff
	v_fma_f32 v105, v0, -2.0, 1.0
.LBB80_43:                              ;   in Loop: Header=BB80_9 Depth=1
	s_and_not1_saveexec_b32 s19, s19
; %bb.44:                               ;   in Loop: Header=BB80_9 Depth=1
	v_mul_f32_e32 v0, v88, v88
	s_delay_alu instid0(VALU_DEP_1) | instskip(NEXT) | instid1(VALU_DEP_1)
	v_fmaak_f32 v1, s18, v0, 0x3ca908c9
	v_fmaak_f32 v1, v0, v1, 0xbd5c1c4e
	s_delay_alu instid0(VALU_DEP_1) | instskip(NEXT) | instid1(VALU_DEP_1)
	v_fmaak_f32 v1, v0, v1, 0x3e088382
	v_fmaak_f32 v1, v0, v1, 0xbeaaaa99
	s_delay_alu instid0(VALU_DEP_1) | instskip(NEXT) | instid1(VALU_DEP_1)
	v_mul_f32_e64 v1, |v88|, v1
	v_fma_f32 v105, v0, v1, |v88|
; %bb.45:                               ;   in Loop: Header=BB80_9 Depth=1
	s_or_b32 exec_lo, exec_lo, s19
	v_add_nc_u32_e32 v0, v109, v40
	v_cmp_ngt_f32_e64 s19, 0x3f200000, |v89|
                                        ; implicit-def: $vgpr106
	s_delay_alu instid0(VALU_DEP_2) | instskip(NEXT) | instid1(VALU_DEP_1)
	v_ashrrev_i32_e32 v1, 31, v0
	v_lshlrev_b64 v[0:1], 1, v[0:1]
	s_delay_alu instid0(VALU_DEP_1) | instskip(NEXT) | instid1(VALU_DEP_2)
	v_add_co_u32 v0, vcc_lo, s36, v0
	v_add_co_ci_u32_e32 v1, vcc_lo, s37, v1, vcc_lo
	flat_load_u16 v107, v[0:1]
	s_and_saveexec_b32 s20, s19
	s_delay_alu instid0(SALU_CYCLE_1)
	s_xor_b32 s19, exec_lo, s20
	s_cbranch_execz .LBB80_47
; %bb.46:                               ;   in Loop: Header=BB80_9 Depth=1
	v_add_f32_e64 v106, |v89|, |v89|
	s_delay_alu instid0(VALU_DEP_1) | instskip(SKIP_1) | instid1(VALU_DEP_2)
	v_mul_f32_e32 v108, 0x3fb8aa3b, v106
	v_cmp_ngt_f32_e32 vcc_lo, 0xc2ce8ed0, v106
	v_rndne_f32_e32 v110, v108
	v_fma_f32 v111, 0x3fb8aa3b, v106, -v108
	s_delay_alu instid0(VALU_DEP_2) | instskip(NEXT) | instid1(VALU_DEP_2)
	v_sub_f32_e32 v108, v108, v110
	v_fmac_f32_e32 v111, 0x32a5705f, v106
	v_cvt_i32_f32_e32 v110, v110
	s_delay_alu instid0(VALU_DEP_2) | instskip(NEXT) | instid1(VALU_DEP_1)
	v_add_f32_e32 v108, v108, v111
	v_exp_f32_e32 v108, v108
	s_waitcnt_depctr 0xfff
	v_ldexp_f32 v108, v108, v110
	s_delay_alu instid0(VALU_DEP_1) | instskip(SKIP_1) | instid1(VALU_DEP_2)
	v_cndmask_b32_e32 v108, 0, v108, vcc_lo
	v_cmp_nlt_f32_e32 vcc_lo, 0x42b17218, v106
	v_cndmask_b32_e32 v106, 0x7f800000, v108, vcc_lo
	s_delay_alu instid0(VALU_DEP_1) | instskip(NEXT) | instid1(VALU_DEP_1)
	v_add_f32_e32 v106, 1.0, v106
	v_rcp_f32_e32 v106, v106
	s_waitcnt_depctr 0xfff
	v_fma_f32 v106, v106, -2.0, 1.0
.LBB80_47:                              ;   in Loop: Header=BB80_9 Depth=1
	s_and_not1_saveexec_b32 s19, s19
; %bb.48:                               ;   in Loop: Header=BB80_9 Depth=1
	v_mul_f32_e32 v106, v89, v89
	s_delay_alu instid0(VALU_DEP_1) | instskip(NEXT) | instid1(VALU_DEP_1)
	v_fmaak_f32 v108, s18, v106, 0x3ca908c9
	v_fmaak_f32 v108, v106, v108, 0xbd5c1c4e
	s_delay_alu instid0(VALU_DEP_1) | instskip(NEXT) | instid1(VALU_DEP_1)
	v_fmaak_f32 v108, v106, v108, 0x3e088382
	v_fmaak_f32 v108, v106, v108, 0xbeaaaa99
	s_delay_alu instid0(VALU_DEP_1) | instskip(NEXT) | instid1(VALU_DEP_1)
	v_mul_f32_e64 v108, |v89|, v108
	v_fma_f32 v106, v106, v108, |v89|
; %bb.49:                               ;   in Loop: Header=BB80_9 Depth=1
	s_or_b32 exec_lo, exec_lo, s19
	flat_load_u16 v0, v[0:1] offset:64
	v_bfi_b32 v1, 0x7fffffff, v105, v88
	v_bfi_b32 v89, 0x7fffffff, v106, v89
	v_cmp_ngt_f32_e64 s19, 0x3f200000, |v85|
	s_waitcnt vmcnt(1) lgkmcnt(1)
	s_delay_alu instid0(VALU_DEP_3) | instskip(NEXT) | instid1(VALU_DEP_1)
	v_fma_mix_f32 v88, v1, s8, v107 op_sel_hi:[0,0,1]
	v_add_f32_e32 v1, 0x40051340, v88
	s_waitcnt vmcnt(0) lgkmcnt(0)
	v_fma_mix_f32 v89, v89, s8, v0 op_sel_hi:[0,0,1]
	s_delay_alu instid0(VALU_DEP_1) | instskip(NEXT) | instid1(VALU_DEP_1)
	v_add_f32_e32 v105, 0x40051340, v89
	v_max3_f32 v1, v71, v1, v105
	ds_bpermute_b32 v105, v100, v1
	s_waitcnt lgkmcnt(0)
	v_max_f32_e32 v105, v105, v105
	s_delay_alu instid0(VALU_DEP_1) | instskip(SKIP_3) | instid1(VALU_DEP_1)
	v_max_f32_e32 v1, v1, v105
	ds_bpermute_b32 v105, v99, v1
	s_waitcnt lgkmcnt(0)
	v_max_f32_e32 v105, v105, v105
	v_max_f32_e32 v1, v1, v105
	ds_bpermute_b32 v105, v96, v1
	s_waitcnt lgkmcnt(0)
	v_max_f32_e32 v105, v105, v105
	s_delay_alu instid0(VALU_DEP_1) | instskip(SKIP_3) | instid1(VALU_DEP_1)
	v_max_f32_e32 v1, v1, v105
	ds_bpermute_b32 v105, v3, v1
	s_waitcnt lgkmcnt(0)
	v_max_f32_e32 v105, v105, v105
	v_max_f32_e32 v105, v1, v105
                                        ; implicit-def: $vgpr1
	ds_bpermute_b32 v106, v2, v105
	s_and_saveexec_b32 s20, s19
	s_delay_alu instid0(SALU_CYCLE_1)
	s_xor_b32 s19, exec_lo, s20
	s_cbranch_execz .LBB80_51
; %bb.50:                               ;   in Loop: Header=BB80_9 Depth=1
	v_add_f32_e64 v1, |v85|, |v85|
	s_delay_alu instid0(VALU_DEP_1) | instskip(SKIP_1) | instid1(VALU_DEP_2)
	v_mul_f32_e32 v108, 0x3fb8aa3b, v1
	v_cmp_ngt_f32_e32 vcc_lo, 0xc2ce8ed0, v1
	v_rndne_f32_e32 v110, v108
	v_fma_f32 v111, 0x3fb8aa3b, v1, -v108
	s_delay_alu instid0(VALU_DEP_1) | instskip(SKIP_1) | instid1(VALU_DEP_2)
	v_dual_sub_f32 v108, v108, v110 :: v_dual_fmac_f32 v111, 0x32a5705f, v1
	v_cvt_i32_f32_e32 v110, v110
	v_add_f32_e32 v108, v108, v111
	s_delay_alu instid0(VALU_DEP_1) | instskip(SKIP_2) | instid1(VALU_DEP_1)
	v_exp_f32_e32 v108, v108
	s_waitcnt_depctr 0xfff
	v_ldexp_f32 v108, v108, v110
	v_cndmask_b32_e32 v108, 0, v108, vcc_lo
	v_cmp_nlt_f32_e32 vcc_lo, 0x42b17218, v1
	s_delay_alu instid0(VALU_DEP_2) | instskip(NEXT) | instid1(VALU_DEP_1)
	v_cndmask_b32_e32 v1, 0x7f800000, v108, vcc_lo
	v_add_f32_e32 v1, 1.0, v1
	s_delay_alu instid0(VALU_DEP_1)
	v_rcp_f32_e32 v1, v1
	s_waitcnt_depctr 0xfff
	v_fma_f32 v1, v1, -2.0, 1.0
.LBB80_51:                              ;   in Loop: Header=BB80_9 Depth=1
	s_and_not1_saveexec_b32 s19, s19
; %bb.52:                               ;   in Loop: Header=BB80_9 Depth=1
	v_mul_f32_e32 v1, v85, v85
	s_delay_alu instid0(VALU_DEP_1) | instskip(NEXT) | instid1(VALU_DEP_1)
	v_fmaak_f32 v108, s18, v1, 0x3ca908c9
	v_fmaak_f32 v108, v1, v108, 0xbd5c1c4e
	s_delay_alu instid0(VALU_DEP_1) | instskip(NEXT) | instid1(VALU_DEP_1)
	v_fmaak_f32 v108, v1, v108, 0x3e088382
	v_fmaak_f32 v108, v1, v108, 0xbeaaaa99
	s_delay_alu instid0(VALU_DEP_1) | instskip(NEXT) | instid1(VALU_DEP_1)
	v_mul_f32_e64 v108, |v85|, v108
	v_fma_f32 v1, v1, v108, |v85|
; %bb.53:                               ;   in Loop: Header=BB80_9 Depth=1
	s_or_b32 exec_lo, exec_lo, s19
	v_cmp_ngt_f32_e64 s19, 0x3f200000, |v87|
                                        ; implicit-def: $vgpr110
	s_delay_alu instid0(VALU_DEP_1) | instskip(NEXT) | instid1(SALU_CYCLE_1)
	s_and_saveexec_b32 s20, s19
	s_xor_b32 s19, exec_lo, s20
	s_cbranch_execz .LBB80_55
; %bb.54:                               ;   in Loop: Header=BB80_9 Depth=1
	v_add_f32_e64 v108, |v87|, |v87|
	s_delay_alu instid0(VALU_DEP_1) | instskip(SKIP_1) | instid1(VALU_DEP_2)
	v_mul_f32_e32 v110, 0x3fb8aa3b, v108
	v_cmp_ngt_f32_e32 vcc_lo, 0xc2ce8ed0, v108
	v_rndne_f32_e32 v111, v110
	v_fma_f32 v112, 0x3fb8aa3b, v108, -v110
	s_delay_alu instid0(VALU_DEP_2) | instskip(NEXT) | instid1(VALU_DEP_2)
	v_sub_f32_e32 v110, v110, v111
	v_fmac_f32_e32 v112, 0x32a5705f, v108
	v_cvt_i32_f32_e32 v111, v111
	s_delay_alu instid0(VALU_DEP_2) | instskip(NEXT) | instid1(VALU_DEP_1)
	v_add_f32_e32 v110, v110, v112
	v_exp_f32_e32 v110, v110
	s_waitcnt_depctr 0xfff
	v_ldexp_f32 v110, v110, v111
	s_delay_alu instid0(VALU_DEP_1) | instskip(SKIP_1) | instid1(VALU_DEP_2)
	v_cndmask_b32_e32 v110, 0, v110, vcc_lo
	v_cmp_nlt_f32_e32 vcc_lo, 0x42b17218, v108
	v_cndmask_b32_e32 v108, 0x7f800000, v110, vcc_lo
	s_delay_alu instid0(VALU_DEP_1) | instskip(NEXT) | instid1(VALU_DEP_1)
	v_add_f32_e32 v108, 1.0, v108
	v_rcp_f32_e32 v108, v108
	s_waitcnt_depctr 0xfff
	v_fma_f32 v110, v108, -2.0, 1.0
.LBB80_55:                              ;   in Loop: Header=BB80_9 Depth=1
	s_and_not1_saveexec_b32 s19, s19
; %bb.56:                               ;   in Loop: Header=BB80_9 Depth=1
	v_mul_f32_e32 v108, v87, v87
	s_delay_alu instid0(VALU_DEP_1) | instskip(NEXT) | instid1(VALU_DEP_1)
	v_fmaak_f32 v110, s18, v108, 0x3ca908c9
	v_fmaak_f32 v110, v108, v110, 0xbd5c1c4e
	s_delay_alu instid0(VALU_DEP_1) | instskip(NEXT) | instid1(VALU_DEP_1)
	v_fmaak_f32 v110, v108, v110, 0x3e088382
	v_fmaak_f32 v110, v108, v110, 0xbeaaaa99
	s_delay_alu instid0(VALU_DEP_1) | instskip(NEXT) | instid1(VALU_DEP_1)
	v_mul_f32_e64 v110, |v87|, v110
	v_fma_f32 v110, v108, v110, |v87|
; %bb.57:                               ;   in Loop: Header=BB80_9 Depth=1
	s_or_b32 exec_lo, exec_lo, s19
	v_cvt_f32_f16_e32 v108, v107
	v_cvt_f32_f16_e32 v107, v0
	v_bfi_b32 v0, 0x7fffffff, v1, v85
	v_bfi_b32 v1, 0x7fffffff, v110, v87
	v_cmp_ngt_f32_e64 s19, 0x3f200000, |v79|
                                        ; implicit-def: $vgpr110
	s_delay_alu instid0(VALU_DEP_2) | instskip(NEXT) | instid1(VALU_DEP_1)
	v_dual_fmac_f32 v108, s8, v0 :: v_dual_fmac_f32 v107, s8, v1
	v_dual_add_f32 v0, 0x40051340, v108 :: v_dual_add_f32 v1, 0x40051340, v107
	s_delay_alu instid0(VALU_DEP_1) | instskip(SKIP_3) | instid1(VALU_DEP_1)
	v_max3_f32 v0, v70, v0, v1
	ds_bpermute_b32 v1, v100, v0
	s_waitcnt lgkmcnt(0)
	v_max_f32_e32 v1, v1, v1
	v_max_f32_e32 v0, v0, v1
	ds_bpermute_b32 v1, v99, v0
	s_waitcnt lgkmcnt(0)
	v_max_f32_e32 v1, v1, v1
	s_delay_alu instid0(VALU_DEP_1) | instskip(SKIP_3) | instid1(VALU_DEP_1)
	v_max_f32_e32 v0, v0, v1
	ds_bpermute_b32 v1, v96, v0
	s_waitcnt lgkmcnt(0)
	v_max_f32_e32 v1, v1, v1
	v_max_f32_e32 v0, v0, v1
	ds_bpermute_b32 v1, v3, v0
	s_waitcnt lgkmcnt(0)
	v_max_f32_e32 v1, v1, v1
	s_delay_alu instid0(VALU_DEP_1) | instskip(SKIP_2) | instid1(SALU_CYCLE_1)
	v_max_f32_e32 v85, v0, v1
	ds_bpermute_b32 v87, v2, v85
	s_and_saveexec_b32 s20, s19
	s_xor_b32 s19, exec_lo, s20
	s_cbranch_execz .LBB80_59
; %bb.58:                               ;   in Loop: Header=BB80_9 Depth=1
	v_add_f32_e64 v0, |v79|, |v79|
	s_delay_alu instid0(VALU_DEP_1) | instskip(SKIP_1) | instid1(VALU_DEP_2)
	v_mul_f32_e32 v1, 0x3fb8aa3b, v0
	v_cmp_ngt_f32_e32 vcc_lo, 0xc2ce8ed0, v0
	v_rndne_f32_e32 v110, v1
	v_fma_f32 v111, 0x3fb8aa3b, v0, -v1
	s_delay_alu instid0(VALU_DEP_2) | instskip(NEXT) | instid1(VALU_DEP_2)
	v_sub_f32_e32 v1, v1, v110
	v_fmac_f32_e32 v111, 0x32a5705f, v0
	v_cvt_i32_f32_e32 v110, v110
	s_delay_alu instid0(VALU_DEP_2) | instskip(NEXT) | instid1(VALU_DEP_1)
	v_add_f32_e32 v1, v1, v111
	v_exp_f32_e32 v1, v1
	s_waitcnt_depctr 0xfff
	v_ldexp_f32 v1, v1, v110
	s_delay_alu instid0(VALU_DEP_1) | instskip(SKIP_1) | instid1(VALU_DEP_2)
	v_cndmask_b32_e32 v1, 0, v1, vcc_lo
	v_cmp_nlt_f32_e32 vcc_lo, 0x42b17218, v0
	v_cndmask_b32_e32 v0, 0x7f800000, v1, vcc_lo
	s_delay_alu instid0(VALU_DEP_1) | instskip(NEXT) | instid1(VALU_DEP_1)
	v_add_f32_e32 v0, 1.0, v0
	v_rcp_f32_e32 v0, v0
	s_waitcnt_depctr 0xfff
	v_fma_f32 v110, v0, -2.0, 1.0
.LBB80_59:                              ;   in Loop: Header=BB80_9 Depth=1
	s_and_not1_saveexec_b32 s19, s19
; %bb.60:                               ;   in Loop: Header=BB80_9 Depth=1
	v_mul_f32_e32 v0, v79, v79
	s_delay_alu instid0(VALU_DEP_1) | instskip(NEXT) | instid1(VALU_DEP_1)
	v_fmaak_f32 v1, s18, v0, 0x3ca908c9
	v_fmaak_f32 v1, v0, v1, 0xbd5c1c4e
	s_delay_alu instid0(VALU_DEP_1) | instskip(NEXT) | instid1(VALU_DEP_1)
	v_fmaak_f32 v1, v0, v1, 0x3e088382
	v_fmaak_f32 v1, v0, v1, 0xbeaaaa99
	s_delay_alu instid0(VALU_DEP_1) | instskip(NEXT) | instid1(VALU_DEP_1)
	v_mul_f32_e64 v1, |v79|, v1
	v_fma_f32 v110, v0, v1, |v79|
; %bb.61:                               ;   in Loop: Header=BB80_9 Depth=1
	s_or_b32 exec_lo, exec_lo, s19
	v_add_nc_u32_e32 v0, v109, v41
	v_cmp_ngt_f32_e64 s19, 0x3f200000, |v80|
                                        ; implicit-def: $vgpr109
	s_delay_alu instid0(VALU_DEP_2) | instskip(NEXT) | instid1(VALU_DEP_1)
	v_ashrrev_i32_e32 v1, 31, v0
	v_lshlrev_b64 v[0:1], 1, v[0:1]
	s_delay_alu instid0(VALU_DEP_1) | instskip(NEXT) | instid1(VALU_DEP_2)
	v_add_co_u32 v0, vcc_lo, s36, v0
	v_add_co_ci_u32_e32 v1, vcc_lo, s37, v1, vcc_lo
	flat_load_u16 v115, v[0:1]
	s_and_saveexec_b32 s20, s19
	s_delay_alu instid0(SALU_CYCLE_1)
	s_xor_b32 s19, exec_lo, s20
	s_cbranch_execz .LBB80_63
; %bb.62:                               ;   in Loop: Header=BB80_9 Depth=1
	v_add_f32_e64 v109, |v80|, |v80|
	s_delay_alu instid0(VALU_DEP_1) | instskip(SKIP_1) | instid1(VALU_DEP_2)
	v_mul_f32_e32 v111, 0x3fb8aa3b, v109
	v_cmp_ngt_f32_e32 vcc_lo, 0xc2ce8ed0, v109
	v_rndne_f32_e32 v112, v111
	v_fma_f32 v116, 0x3fb8aa3b, v109, -v111
	s_delay_alu instid0(VALU_DEP_1) | instskip(SKIP_1) | instid1(VALU_DEP_2)
	v_dual_sub_f32 v111, v111, v112 :: v_dual_fmac_f32 v116, 0x32a5705f, v109
	v_cvt_i32_f32_e32 v112, v112
	v_add_f32_e32 v111, v111, v116
	s_delay_alu instid0(VALU_DEP_1) | instskip(SKIP_2) | instid1(VALU_DEP_1)
	v_exp_f32_e32 v111, v111
	s_waitcnt_depctr 0xfff
	v_ldexp_f32 v111, v111, v112
	v_cndmask_b32_e32 v111, 0, v111, vcc_lo
	v_cmp_nlt_f32_e32 vcc_lo, 0x42b17218, v109
	s_delay_alu instid0(VALU_DEP_2) | instskip(NEXT) | instid1(VALU_DEP_1)
	v_cndmask_b32_e32 v109, 0x7f800000, v111, vcc_lo
	v_add_f32_e32 v109, 1.0, v109
	s_delay_alu instid0(VALU_DEP_1)
	v_rcp_f32_e32 v109, v109
	s_waitcnt_depctr 0xfff
	v_fma_f32 v109, v109, -2.0, 1.0
.LBB80_63:                              ;   in Loop: Header=BB80_9 Depth=1
	s_and_not1_saveexec_b32 s19, s19
; %bb.64:                               ;   in Loop: Header=BB80_9 Depth=1
	v_mul_f32_e32 v109, v80, v80
	s_delay_alu instid0(VALU_DEP_1) | instskip(NEXT) | instid1(VALU_DEP_1)
	v_fmaak_f32 v111, s18, v109, 0x3ca908c9
	v_fmaak_f32 v111, v109, v111, 0xbd5c1c4e
	s_delay_alu instid0(VALU_DEP_1) | instskip(NEXT) | instid1(VALU_DEP_1)
	v_fmaak_f32 v111, v109, v111, 0x3e088382
	v_fmaak_f32 v111, v109, v111, 0xbeaaaa99
	s_delay_alu instid0(VALU_DEP_1) | instskip(NEXT) | instid1(VALU_DEP_1)
	v_mul_f32_e64 v111, |v80|, v111
	v_fma_f32 v109, v109, v111, |v80|
; %bb.65:                               ;   in Loop: Header=BB80_9 Depth=1
	s_or_b32 exec_lo, exec_lo, s19
	flat_load_u16 v0, v[0:1] offset:64
	v_bfi_b32 v1, 0x7fffffff, v110, v79
	v_bfi_b32 v79, 0x7fffffff, v109, v80
	v_cmp_ngt_f32_e64 s19, 0x3f200000, |v77|
	s_waitcnt vmcnt(1) lgkmcnt(1)
	s_delay_alu instid0(VALU_DEP_3) | instskip(NEXT) | instid1(VALU_DEP_1)
	v_fma_mix_f32 v109, v1, s8, v115 op_sel_hi:[0,0,1]
	v_add_f32_e32 v1, 0x40051340, v109
	s_waitcnt vmcnt(0) lgkmcnt(0)
	v_fma_mix_f32 v110, v79, s8, v0 op_sel_hi:[0,0,1]
	s_delay_alu instid0(VALU_DEP_1) | instskip(NEXT) | instid1(VALU_DEP_1)
	v_add_f32_e32 v79, 0x40051340, v110
	v_max3_f32 v1, v68, v1, v79
	ds_bpermute_b32 v79, v100, v1
	s_waitcnt lgkmcnt(0)
	v_max_f32_e32 v79, v79, v79
	s_delay_alu instid0(VALU_DEP_1) | instskip(SKIP_3) | instid1(VALU_DEP_1)
	v_max_f32_e32 v1, v1, v79
	ds_bpermute_b32 v79, v99, v1
	s_waitcnt lgkmcnt(0)
	v_max_f32_e32 v79, v79, v79
	v_max_f32_e32 v1, v1, v79
	ds_bpermute_b32 v79, v96, v1
	s_waitcnt lgkmcnt(0)
	v_max_f32_e32 v79, v79, v79
	s_delay_alu instid0(VALU_DEP_1) | instskip(SKIP_3) | instid1(VALU_DEP_1)
	v_max_f32_e32 v1, v1, v79
	ds_bpermute_b32 v79, v3, v1
	s_waitcnt lgkmcnt(0)
	v_max_f32_e32 v79, v79, v79
	v_max_f32_e32 v111, v1, v79
                                        ; implicit-def: $vgpr1
	ds_bpermute_b32 v112, v2, v111
	s_and_saveexec_b32 s20, s19
	s_delay_alu instid0(SALU_CYCLE_1)
	s_xor_b32 s19, exec_lo, s20
	s_cbranch_execz .LBB80_67
; %bb.66:                               ;   in Loop: Header=BB80_9 Depth=1
	v_add_f32_e64 v1, |v77|, |v77|
	s_delay_alu instid0(VALU_DEP_1) | instskip(SKIP_1) | instid1(VALU_DEP_2)
	v_mul_f32_e32 v79, 0x3fb8aa3b, v1
	v_cmp_ngt_f32_e32 vcc_lo, 0xc2ce8ed0, v1
	v_rndne_f32_e32 v80, v79
	v_fma_f32 v116, 0x3fb8aa3b, v1, -v79
	s_delay_alu instid0(VALU_DEP_1) | instskip(SKIP_1) | instid1(VALU_DEP_2)
	v_dual_sub_f32 v79, v79, v80 :: v_dual_fmac_f32 v116, 0x32a5705f, v1
	v_cvt_i32_f32_e32 v80, v80
	v_add_f32_e32 v79, v79, v116
	s_delay_alu instid0(VALU_DEP_1) | instskip(SKIP_2) | instid1(VALU_DEP_1)
	v_exp_f32_e32 v79, v79
	s_waitcnt_depctr 0xfff
	v_ldexp_f32 v79, v79, v80
	v_cndmask_b32_e32 v79, 0, v79, vcc_lo
	v_cmp_nlt_f32_e32 vcc_lo, 0x42b17218, v1
	s_delay_alu instid0(VALU_DEP_2) | instskip(NEXT) | instid1(VALU_DEP_1)
	v_cndmask_b32_e32 v1, 0x7f800000, v79, vcc_lo
	v_add_f32_e32 v1, 1.0, v1
	s_delay_alu instid0(VALU_DEP_1)
	v_rcp_f32_e32 v1, v1
	s_waitcnt_depctr 0xfff
	v_fma_f32 v1, v1, -2.0, 1.0
.LBB80_67:                              ;   in Loop: Header=BB80_9 Depth=1
	s_and_not1_saveexec_b32 s19, s19
; %bb.68:                               ;   in Loop: Header=BB80_9 Depth=1
	v_mul_f32_e32 v1, v77, v77
	s_delay_alu instid0(VALU_DEP_1) | instskip(NEXT) | instid1(VALU_DEP_1)
	v_fmaak_f32 v79, s18, v1, 0x3ca908c9
	v_fmaak_f32 v79, v1, v79, 0xbd5c1c4e
	s_delay_alu instid0(VALU_DEP_1) | instskip(NEXT) | instid1(VALU_DEP_1)
	v_fmaak_f32 v79, v1, v79, 0x3e088382
	v_fmaak_f32 v79, v1, v79, 0xbeaaaa99
	s_delay_alu instid0(VALU_DEP_1) | instskip(NEXT) | instid1(VALU_DEP_1)
	v_mul_f32_e64 v79, |v77|, v79
	v_fma_f32 v1, v1, v79, |v77|
; %bb.69:                               ;   in Loop: Header=BB80_9 Depth=1
	s_or_b32 exec_lo, exec_lo, s19
	v_cmp_ngt_f32_e64 s19, 0x3f200000, |v78|
                                        ; implicit-def: $vgpr79
	s_delay_alu instid0(VALU_DEP_1) | instskip(NEXT) | instid1(SALU_CYCLE_1)
	s_and_saveexec_b32 s20, s19
	s_xor_b32 s19, exec_lo, s20
	s_cbranch_execz .LBB80_71
; %bb.70:                               ;   in Loop: Header=BB80_9 Depth=1
	v_add_f32_e64 v79, |v78|, |v78|
	s_delay_alu instid0(VALU_DEP_1) | instskip(SKIP_1) | instid1(VALU_DEP_2)
	v_mul_f32_e32 v80, 0x3fb8aa3b, v79
	v_cmp_ngt_f32_e32 vcc_lo, 0xc2ce8ed0, v79
	v_rndne_f32_e32 v116, v80
	v_fma_f32 v119, 0x3fb8aa3b, v79, -v80
	s_delay_alu instid0(VALU_DEP_1) | instskip(SKIP_1) | instid1(VALU_DEP_2)
	v_dual_sub_f32 v80, v80, v116 :: v_dual_fmac_f32 v119, 0x32a5705f, v79
	v_cvt_i32_f32_e32 v116, v116
	v_add_f32_e32 v80, v80, v119
	s_delay_alu instid0(VALU_DEP_1) | instskip(SKIP_2) | instid1(VALU_DEP_1)
	v_exp_f32_e32 v80, v80
	s_waitcnt_depctr 0xfff
	v_ldexp_f32 v80, v80, v116
	v_cndmask_b32_e32 v80, 0, v80, vcc_lo
	v_cmp_nlt_f32_e32 vcc_lo, 0x42b17218, v79
	s_delay_alu instid0(VALU_DEP_2) | instskip(NEXT) | instid1(VALU_DEP_1)
	v_cndmask_b32_e32 v79, 0x7f800000, v80, vcc_lo
	v_add_f32_e32 v79, 1.0, v79
	s_delay_alu instid0(VALU_DEP_1)
	v_rcp_f32_e32 v79, v79
	s_waitcnt_depctr 0xfff
	v_fma_f32 v79, v79, -2.0, 1.0
.LBB80_71:                              ;   in Loop: Header=BB80_9 Depth=1
	s_and_not1_saveexec_b32 s19, s19
; %bb.72:                               ;   in Loop: Header=BB80_9 Depth=1
	v_mul_f32_e32 v79, v78, v78
	s_delay_alu instid0(VALU_DEP_1) | instskip(NEXT) | instid1(VALU_DEP_1)
	v_fmaak_f32 v80, s18, v79, 0x3ca908c9
	v_fmaak_f32 v80, v79, v80, 0xbd5c1c4e
	s_delay_alu instid0(VALU_DEP_1) | instskip(NEXT) | instid1(VALU_DEP_1)
	v_fmaak_f32 v80, v79, v80, 0x3e088382
	v_fmaak_f32 v80, v79, v80, 0xbeaaaa99
	s_delay_alu instid0(VALU_DEP_1) | instskip(NEXT) | instid1(VALU_DEP_1)
	v_mul_f32_e64 v80, |v78|, v80
	v_fma_f32 v79, v79, v80, |v78|
; %bb.73:                               ;   in Loop: Header=BB80_9 Depth=1
	s_or_b32 exec_lo, exec_lo, s19
	v_cvt_f32_f16_e32 v116, v115
	v_cvt_f32_f16_e32 v115, v0
	v_bfi_b32 v0, 0x7fffffff, v1, v77
	v_bfi_b32 v1, 0x7fffffff, v79, v78
	v_dual_max_f32 v79, v114, v114 :: v_dual_max_f32 v80, v113, v113
	s_mul_hi_i32 s21, s3, s10
	s_delay_alu instid0(VALU_DEP_2) | instskip(SKIP_2) | instid1(VALU_DEP_2)
	v_dual_fmac_f32 v116, s8, v0 :: v_dual_fmac_f32 v115, s8, v1
	s_mul_i32 s20, s3, s10
	v_dual_max_f32 v77, v118, v118 :: v_dual_max_f32 v78, v117, v117
	v_dual_add_f32 v0, 0x40051340, v116 :: v_dual_add_f32 v1, 0x40051340, v115
	s_lshl_b64 s[20:21], s[20:21], 2
	s_waitcnt lgkmcnt(0)
	s_add_u32 s19, s11, s20
	s_addc_u32 s20, s17, s21
	v_max3_f32 v113, v67, v0, v1
	v_dual_max_f32 v1, v78, v77 :: v_dual_max_f32 v0, v80, v79
	v_add_co_u32 v77, vcc_lo, s19, v12
	ds_bpermute_b32 v100, v100, v113
	v_add_co_ci_u32_e32 v78, vcc_lo, s20, v13, vcc_lo
	v_add_co_u32 v79, vcc_lo, s19, v14
	v_add_co_ci_u32_e32 v80, vcc_lo, s20, v15, vcc_lo
	v_dual_sub_f32 v118, v75, v0 :: v_dual_sub_f32 v121, v102, v1
	v_dual_sub_f32 v119, v98, v0 :: v_dual_sub_f32 v122, v76, v1
	v_add_co_u32 v75, vcc_lo, v77, v48
	v_add_co_ci_u32_e32 v76, vcc_lo, 0, v78, vcc_lo
	v_add_co_u32 v77, vcc_lo, v79, v48
	v_sub_f32_e32 v123, v101, v1
	v_add_co_ci_u32_e32 v78, vcc_lo, 0, v80, vcc_lo
	v_mul_f32_e32 v80, 0x3fb8aa3b, v119
	s_delay_alu instid0(VALU_DEP_3)
	v_dual_sub_f32 v120, v97, v0 :: v_dual_mul_f32 v127, 0x3fb8aa3b, v123
	s_waitcnt lgkmcnt(0)
	v_dual_max_f32 v97, v100, v100 :: v_dual_mul_f32 v124, 0x3fb8aa3b, v121
	v_mul_f32_e32 v126, 0x3fb8aa3b, v118
	s_barrier
	buffer_gl0_inv
	v_dual_max_f32 v113, v113, v97 :: v_dual_max_f32 v114, v104, v104
	v_max_f32_e32 v117, v103, v103
	v_rndne_f32_e32 v132, v126
	v_fma_f32 v131, 0x3fb8aa3b, v118, -v126
	ds_bpermute_b32 v79, v99, v113
	s_clause 0x1
	global_load_b128 v[97:100], v[75:76], off
	global_load_b128 v[101:104], v[77:78], off
	v_rndne_f32_e32 v76, v80
	v_fma_f32 v75, 0x3fb8aa3b, v119, -v80
	v_dual_mul_f32 v125, 0x3fb8aa3b, v120 :: v_dual_mul_f32 v128, 0x3fb8aa3b, v122
	v_fma_f32 v77, 0x3fb8aa3b, v121, -v124
	v_rndne_f32_e32 v78, v124
	v_fma_f32 v133, 0x3fb8aa3b, v123, -v127
	s_delay_alu instid0(VALU_DEP_4)
	v_fma_f32 v129, 0x3fb8aa3b, v120, -v125
	v_rndne_f32_e32 v130, v125
	v_rndne_f32_e32 v134, v127
	v_fma_f32 v135, 0x3fb8aa3b, v122, -v128
	v_rndne_f32_e32 v136, v128
	v_dual_sub_f32 v80, v80, v76 :: v_dual_fmac_f32 v75, 0x32a5705f, v119
	v_fmac_f32_e32 v77, 0x32a5705f, v121
	v_sub_f32_e32 v127, v127, v134
	v_dual_fmac_f32 v135, 0x32a5705f, v122 :: v_dual_sub_f32 v126, v126, v132
	s_waitcnt lgkmcnt(0)
	v_dual_max_f32 v79, v79, v79 :: v_dual_sub_f32 v128, v128, v136
	v_fmac_f32_e32 v129, 0x32a5705f, v120
	v_cvt_i32_f32_e32 v76, v76
	v_cmp_ngt_f32_e32 vcc_lo, 0xc2ce8ed0, v119
	s_delay_alu instid0(VALU_DEP_4)
	v_max_f32_e32 v79, v113, v79
	s_or_b32 s19, s3, 32
	v_max_f32_e32 v90, v90, v90
	s_mul_hi_i32 s21, s19, s10
	s_mul_i32 s20, s19, s10
	ds_bpermute_b32 v96, v96, v79
	v_fmac_f32_e32 v133, 0x32a5705f, v123
	s_lshl_b64 s[20:21], s[20:21], 2
	s_delay_alu instid0(SALU_CYCLE_1)
	s_add_u32 s19, s11, s20
	s_addc_u32 s20, s17, s21
	s_waitcnt lgkmcnt(0)
	v_max_f32_e32 v96, v96, v96
	v_sub_f32_e32 v113, v124, v78
	v_dual_sub_f32 v124, v125, v130 :: v_dual_add_f32 v75, v80, v75
	v_fmac_f32_e32 v131, 0x32a5705f, v118
	v_cvt_i32_f32_e32 v78, v78
	v_cvt_i32_f32_e32 v125, v130
	s_delay_alu instid0(VALU_DEP_4)
	v_add_f32_e32 v80, v124, v129
	v_add_f32_e32 v124, v127, v133
	;; [unrolled: 1-line block ×3, first 2 shown]
	v_exp_f32_e32 v75, v75
	v_cvt_i32_f32_e32 v130, v132
	v_exp_f32_e32 v80, v80
	v_exp_f32_e32 v124, v124
	;; [unrolled: 1-line block ×3, first 2 shown]
	v_cvt_i32_f32_e32 v127, v134
	v_max_f32_e32 v79, v79, v96
	v_ldexp_f32 v75, v75, v76
	ds_bpermute_b32 v3, v3, v79
	v_ldexp_f32 v76, v77, v78
	v_cndmask_b32_e32 v75, 0, v75, vcc_lo
	v_cmp_ngt_f32_e32 vcc_lo, 0xc2ce8ed0, v121
	v_ldexp_f32 v77, v80, v125
	v_ldexp_f32 v80, v124, v127
	v_cndmask_b32_e32 v76, 0, v76, vcc_lo
	v_cmp_ngt_f32_e32 vcc_lo, 0xc2ce8ed0, v120
	s_delay_alu instid0(VALU_DEP_4) | instskip(SKIP_4) | instid1(VALU_DEP_3)
	v_cndmask_b32_e32 v77, 0, v77, vcc_lo
	v_add_f32_e32 v113, v126, v131
	v_cmp_ngt_f32_e32 vcc_lo, 0xc2ce8ed0, v118
	s_waitcnt lgkmcnt(0)
	v_max_f32_e32 v3, v3, v3
	v_exp_f32_e32 v113, v113
	s_waitcnt_depctr 0xfff
	v_ldexp_f32 v78, v113, v130
	s_delay_alu instid0(VALU_DEP_1)
	v_cndmask_b32_e32 v78, 0, v78, vcc_lo
	v_cmp_ngt_f32_e32 vcc_lo, 0xc2ce8ed0, v123
	v_cndmask_b32_e32 v80, 0, v80, vcc_lo
	v_cmp_nlt_f32_e32 vcc_lo, 0x42b17218, v119
	v_add_f32_e32 v126, v128, v135
	v_cvt_i32_f32_e32 v128, v136
	v_max_f32_e32 v119, v79, v3
	v_cndmask_b32_e32 v75, 0x7f800000, v75, vcc_lo
	v_cmp_nlt_f32_e32 vcc_lo, 0x42b17218, v120
	v_exp_f32_e32 v126, v126
	v_cndmask_b32_e32 v96, 0x7f800000, v77, vcc_lo
	v_cmp_nlt_f32_e32 vcc_lo, 0x42b17218, v118
	v_cndmask_b32_e32 v78, 0x7f800000, v78, vcc_lo
	v_cmp_nlt_f32_e32 vcc_lo, 0x42b17218, v121
	s_waitcnt_depctr 0xfff
	v_ldexp_f32 v3, v126, v128
	v_cvt_f16_f32_e32 v113, v78
	v_cndmask_b32_e32 v76, 0x7f800000, v76, vcc_lo
	v_cmp_nlt_f32_e32 vcc_lo, 0x42b17218, v123
	v_add_f32_e32 v77, v96, v75
	v_cvt_f16_f32_e32 v96, v96
	s_delay_alu instid0(VALU_DEP_4) | instskip(NEXT) | instid1(VALU_DEP_3)
	v_cvt_f16_f32_e32 v118, v76
	v_fmac_f32_e32 v77, v74, v78
	v_pk_mul_f16 v74, v113, v63 op_sel_hi:[0,1]
	ds_bpermute_b32 v63, v2, v119
	v_max_f32_e32 v2, v117, v114
	v_pk_mul_f16 v113, v113, v64 op_sel_hi:[0,1]
	v_cndmask_b32_e32 v64, 0x7f800000, v80, vcc_lo
	v_cmp_ngt_f32_e32 vcc_lo, 0xc2ce8ed0, v122
	s_delay_alu instid0(VALU_DEP_4) | instskip(NEXT) | instid1(VALU_DEP_3)
	v_dual_sub_f32 v80, v93, v2 :: v_dual_max_f32 v79, v91, v91
	v_dual_add_f32 v78, v76, v64 :: v_dual_cndmask_b32 v91, 0, v3
	v_cmp_nlt_f32_e32 vcc_lo, 0x42b17218, v122
	s_delay_alu instid0(VALU_DEP_3) | instskip(SKIP_3) | instid1(VALU_DEP_4)
	v_dual_mul_f32 v76, 0x3fb8aa3b, v80 :: v_dual_max_f32 v3, v90, v79
	v_sub_f32_e32 v73, v73, v2
	v_cvt_f16_f32_e32 v75, v75
	v_cndmask_b32_e32 v79, 0x7f800000, v91, vcc_lo
	v_rndne_f32_e32 v91, v76
	s_delay_alu instid0(VALU_DEP_4) | instskip(SKIP_1) | instid1(VALU_DEP_4)
	v_dual_sub_f32 v93, v95, v3 :: v_dual_mul_f32 v120, 0x3fb8aa3b, v73
	v_fma_f32 v90, 0x3fb8aa3b, v80, -v76
	v_cvt_f16_f32_e32 v95, v79
	v_fmac_f32_e32 v78, v7, v79
	s_delay_alu instid0(VALU_DEP_4) | instskip(NEXT) | instid1(VALU_DEP_4)
	v_dual_sub_f32 v7, v76, v91 :: v_dual_mul_f32 v76, 0x3fb8aa3b, v93
	v_fmac_f32_e32 v90, 0x32a5705f, v80
	s_delay_alu instid0(VALU_DEP_4)
	v_pk_mul_f16 v114, v95, v61 op_sel_hi:[0,1]
	v_sub_f32_e32 v61, v92, v2
	v_pk_mul_f16 v92, v95, v62 op_sel_hi:[0,1]
	v_fma_f32 v62, 0x3fb8aa3b, v93, -v76
	v_rndne_f32_e32 v79, v76
	v_cvt_i32_f32_e32 v91, v91
	v_rndne_f32_e32 v121, v120
	v_cmp_ngt_f32_e32 vcc_lo, 0xc2ce8ed0, v80
	v_dual_fmac_f32 v62, 0x32a5705f, v93 :: v_dual_add_f32 v7, v7, v90
	v_sub_f32_e32 v76, v76, v79
	v_mul_f32_e32 v90, 0x3fb8aa3b, v61
	v_cvt_i32_f32_e32 v79, v79
	v_cvt_f16_f32_e32 v64, v64
	v_exp_f32_e32 v7, v7
	v_add_f32_e32 v62, v76, v62
	v_rndne_f32_e32 v117, v90
	s_waitcnt lgkmcnt(0)
	v_max_f32_e32 v63, v63, v63
	s_delay_alu instid0(VALU_DEP_3) | instskip(NEXT) | instid1(VALU_DEP_2)
	v_exp_f32_e32 v62, v62
	v_sub_f32_e32 v76, v90, v117
	v_fma_f32 v95, 0x3fb8aa3b, v61, -v90
	s_delay_alu instid0(TRANS32_DEP_2) | instskip(NEXT) | instid1(VALU_DEP_1)
	v_ldexp_f32 v7, v7, v91
	v_cndmask_b32_e32 v7, 0, v7, vcc_lo
	s_waitcnt_depctr 0xfff
	v_ldexp_f32 v62, v62, v79
	v_sub_f32_e32 v91, v120, v121
	v_fmac_f32_e32 v95, 0x32a5705f, v61
	v_cmp_nlt_f32_e32 vcc_lo, 0x42b17218, v80
	v_cvt_i32_f32_e32 v79, v117
	s_delay_alu instid0(VALU_DEP_3) | instskip(SKIP_3) | instid1(VALU_DEP_4)
	v_add_f32_e32 v76, v76, v95
	v_fma_f32 v90, 0x3fb8aa3b, v73, -v120
	v_cndmask_b32_e32 v7, 0x7f800000, v7, vcc_lo
	v_cmp_ngt_f32_e32 vcc_lo, 0xc2ce8ed0, v93
	v_exp_f32_e32 v76, v76
	s_delay_alu instid0(VALU_DEP_3) | instskip(SKIP_2) | instid1(VALU_DEP_3)
	v_fmac_f32_e32 v90, 0x32a5705f, v73
	v_cndmask_b32_e32 v62, 0, v62, vcc_lo
	v_cmp_ngt_f32_e32 vcc_lo, 0xc2ce8ed0, v61
	v_add_f32_e32 v90, v91, v90
	s_waitcnt_depctr 0xfff
	v_ldexp_f32 v76, v76, v79
	v_exp_f32_e32 v80, v90
	v_cvt_i32_f32_e32 v79, v121
	s_delay_alu instid0(VALU_DEP_2) | instskip(SKIP_3) | instid1(VALU_DEP_1)
	v_dual_sub_f32 v91, v94, v3 :: v_dual_cndmask_b32 v76, 0, v76
	v_cmp_ngt_f32_e32 vcc_lo, 0xc2ce8ed0, v73
	s_waitcnt_depctr 0xfff
	v_ldexp_f32 v79, v80, v79
	v_cndmask_b32_e32 v79, 0, v79, vcc_lo
	v_cmp_nlt_f32_e32 vcc_lo, 0x42b17218, v61
	v_dual_sub_f32 v72, v72, v3 :: v_dual_cndmask_b32 v61, 0x7f800000, v76
	s_delay_alu instid0(VALU_DEP_1) | instskip(SKIP_1) | instid1(VALU_DEP_2)
	v_dual_mul_f32 v90, 0x3fb8aa3b, v91 :: v_dual_mul_f32 v117, 0x3fb8aa3b, v72
	v_cmp_nlt_f32_e32 vcc_lo, 0x42b17218, v73
	v_rndne_f32_e32 v95, v90
	v_fma_f32 v94, 0x3fb8aa3b, v91, -v90
	s_delay_alu instid0(VALU_DEP_4) | instskip(NEXT) | instid1(VALU_DEP_3)
	v_rndne_f32_e32 v120, v117
	v_sub_f32_e32 v80, v90, v95
	v_fma_f32 v90, 0x3fb8aa3b, v72, -v117
	s_delay_alu instid0(VALU_DEP_1) | instskip(SKIP_4) | instid1(VALU_DEP_3)
	v_fmac_f32_e32 v90, 0x32a5705f, v72
	v_cndmask_b32_e32 v73, 0x7f800000, v79, vcc_lo
	v_fmac_f32_e32 v94, 0x32a5705f, v91
	v_cmp_nlt_f32_e32 vcc_lo, 0x42b17218, v93
	v_cvt_i32_f32_e32 v93, v95
	v_add_f32_e32 v80, v80, v94
	v_dual_cndmask_b32 v62, 0x7f800000, v62 :: v_dual_add_f32 v79, v61, v7
	v_cmp_ngt_f32_e32 vcc_lo, 0xc2ce8ed0, v91
	v_sub_f32_e32 v94, v117, v120
	s_delay_alu instid0(VALU_DEP_4) | instskip(NEXT) | instid1(VALU_DEP_1)
	v_exp_f32_e32 v80, v80
	v_add_f32_e32 v76, v94, v90
	v_cvt_f16_f32_e32 v94, v7
	v_fmac_f32_e32 v79, v4, v73
	v_cvt_i32_f32_e32 v4, v120
	v_cvt_f16_f32_e32 v90, v73
	v_exp_f32_e32 v76, v76
	s_delay_alu instid0(TRANS32_DEP_2) | instskip(NEXT) | instid1(VALU_DEP_2)
	v_ldexp_f32 v7, v80, v93
	v_pk_mul_f16 v73, v90, v59 op_sel_hi:[0,1]
	v_pk_mul_f16 v90, v90, v60 op_sel_hi:[0,1]
	s_delay_alu instid0(VALU_DEP_3) | instskip(SKIP_2) | instid1(TRANS32_DEP_1)
	v_cndmask_b32_e32 v7, 0, v7, vcc_lo
	v_cmp_ngt_f32_e32 vcc_lo, 0xc2ce8ed0, v72
	v_cvt_f16_f32_e32 v59, v62
	v_ldexp_f32 v4, v76, v4
	s_delay_alu instid0(VALU_DEP_1) | instskip(SKIP_4) | instid1(VALU_DEP_1)
	v_cndmask_b32_e32 v80, 0, v4, vcc_lo
	v_cmp_nlt_f32_e32 vcc_lo, 0x42b17218, v91
	v_dual_max_f32 v60, v106, v106 :: v_dual_cndmask_b32 v7, 0x7f800000, v7
	v_cmp_nlt_f32_e32 vcc_lo, 0x42b17218, v72
	v_max_f32_e32 v76, v105, v105
	v_max_f32_e32 v4, v76, v60
	v_cvt_f16_f32_e32 v60, v61
	v_dual_cndmask_b32 v61, 0x7f800000, v80 :: v_dual_max_f32 v72, v87, v87
	v_max_f32_e32 v76, v85, v85
	v_add_f32_e32 v80, v62, v7
	s_delay_alu instid0(VALU_DEP_3) | instskip(NEXT) | instid1(VALU_DEP_2)
	v_cvt_f16_f32_e32 v85, v61
	v_dual_fmac_f32 v80, v5, v61 :: v_dual_max_f32 v5, v76, v72
	s_delay_alu instid0(VALU_DEP_2) | instskip(SKIP_1) | instid1(VALU_DEP_3)
	v_pk_mul_f16 v72, v85, v57 op_sel_hi:[0,1]
	v_pk_mul_f16 v91, v85, v58 op_sel_hi:[0,1]
	v_dual_sub_f32 v87, v108, v5 :: v_dual_sub_f32 v62, v89, v4
	v_cvt_f16_f32_e32 v89, v7
	s_delay_alu instid0(VALU_DEP_2) | instskip(NEXT) | instid1(VALU_DEP_3)
	v_dual_sub_f32 v70, v70, v5 :: v_dual_mul_f32 v85, 0x3fb8aa3b, v87
	v_mul_f32_e32 v7, 0x3fb8aa3b, v62
	v_cmp_ngt_f32_e32 vcc_lo, 0xc2ce8ed0, v62
	s_delay_alu instid0(VALU_DEP_3) | instskip(NEXT) | instid1(VALU_DEP_3)
	v_rndne_f32_e32 v95, v85
	v_fma_f32 v61, 0x3fb8aa3b, v62, -v7
	v_rndne_f32_e32 v76, v7
	s_delay_alu instid0(VALU_DEP_2) | instskip(SKIP_2) | instid1(VALU_DEP_4)
	v_fmac_f32_e32 v61, 0x32a5705f, v62
	v_sub_f32_e32 v57, v88, v4
	v_sub_f32_e32 v71, v71, v4
	;; [unrolled: 1-line block ×3, first 2 shown]
	v_cvt_i32_f32_e32 v76, v76
	s_delay_alu instid0(VALU_DEP_3) | instskip(NEXT) | instid1(VALU_DEP_1)
	v_dual_mul_f32 v58, 0x3fb8aa3b, v57 :: v_dual_mul_f32 v105, 0x3fb8aa3b, v71
	v_fma_f32 v88, 0x3fb8aa3b, v57, -v58
	v_rndne_f32_e32 v93, v58
	s_delay_alu instid0(VALU_DEP_3) | instskip(NEXT) | instid1(VALU_DEP_3)
	v_rndne_f32_e32 v106, v105
	v_fmac_f32_e32 v88, 0x32a5705f, v57
	s_delay_alu instid0(VALU_DEP_3) | instskip(SKIP_3) | instid1(VALU_DEP_2)
	v_sub_f32_e32 v58, v58, v93
	v_add_f32_e32 v7, v7, v61
	v_fma_f32 v61, 0x3fb8aa3b, v87, -v85
	v_sub_f32_e32 v85, v85, v95
	v_dual_fmac_f32 v61, 0x32a5705f, v87 :: v_dual_add_f32 v58, v58, v88
	s_delay_alu instid0(VALU_DEP_4) | instskip(SKIP_1) | instid1(VALU_DEP_2)
	v_exp_f32_e32 v7, v7
	v_fma_f32 v88, 0x3fb8aa3b, v71, -v105
	v_add_f32_e32 v61, v85, v61
	s_delay_alu instid0(VALU_DEP_3) | instskip(SKIP_1) | instid1(VALU_DEP_3)
	v_exp_f32_e32 v58, v58
	v_cvt_i32_f32_e32 v85, v93
	v_fmac_f32_e32 v88, 0x32a5705f, v71
	s_delay_alu instid0(VALU_DEP_3) | instskip(NEXT) | instid1(TRANS32_DEP_3)
	v_exp_f32_e32 v61, v61
	v_ldexp_f32 v7, v7, v76
	v_sub_f32_e32 v76, v105, v106
	s_waitcnt_depctr 0xfff
	v_ldexp_f32 v58, v58, v85
	v_cndmask_b32_e32 v7, 0, v7, vcc_lo
	v_cmp_nlt_f32_e32 vcc_lo, 0x42b17218, v62
	v_add_f32_e32 v76, v76, v88
	v_cvt_i32_f32_e32 v88, v95
	v_max_f32_e32 v95, v111, v111
	v_cndmask_b32_e32 v7, 0x7f800000, v7, vcc_lo
	v_cmp_ngt_f32_e32 vcc_lo, 0xc2ce8ed0, v57
	v_exp_f32_e32 v62, v76
	v_ldexp_f32 v61, v61, v88
	v_cvt_i32_f32_e32 v76, v106
	v_cvt_f16_f32_e32 v93, v7
	v_cndmask_b32_e32 v58, 0, v58, vcc_lo
	v_cmp_ngt_f32_e32 vcc_lo, 0xc2ce8ed0, v87
	v_cndmask_b32_e32 v61, 0, v61, vcc_lo
	v_cmp_nlt_f32_e32 vcc_lo, 0x42b17218, v57
	s_delay_alu instid0(VALU_DEP_4) | instskip(NEXT) | instid1(TRANS32_DEP_1)
	v_dual_sub_f32 v88, v107, v5 :: v_dual_cndmask_b32 v57, 0x7f800000, v58
	v_ldexp_f32 v58, v62, v76
	s_delay_alu instid0(VALU_DEP_2) | instskip(SKIP_1) | instid1(VALU_DEP_4)
	v_mul_f32_e32 v62, 0x3fb8aa3b, v88
	v_cmp_nlt_f32_e32 vcc_lo, 0x42b17218, v87
	v_add_f32_e32 v85, v57, v7
	v_cvt_f16_f32_e32 v57, v57
	s_delay_alu instid0(VALU_DEP_4) | instskip(SKIP_3) | instid1(VALU_DEP_4)
	v_rndne_f32_e32 v87, v62
	v_cndmask_b32_e32 v61, 0x7f800000, v61, vcc_lo
	v_cmp_ngt_f32_e32 vcc_lo, 0xc2ce8ed0, v71
	v_fma_f32 v76, 0x3fb8aa3b, v88, -v62
	v_sub_f32_e32 v62, v62, v87
	v_cndmask_b32_e32 v58, 0, v58, vcc_lo
	v_cmp_nlt_f32_e32 vcc_lo, 0x42b17218, v71
	s_delay_alu instid0(VALU_DEP_2) | instskip(SKIP_3) | instid1(VALU_DEP_4)
	v_cndmask_b32_e32 v58, 0x7f800000, v58, vcc_lo
	v_fmac_f32_e32 v76, 0x32a5705f, v88
	v_mul_f32_e32 v71, 0x3fb8aa3b, v70
	v_cmp_ngt_f32_e32 vcc_lo, 0xc2ce8ed0, v88
	v_fmac_f32_e32 v85, v6, v58
	s_delay_alu instid0(VALU_DEP_4) | instskip(SKIP_4) | instid1(VALU_DEP_4)
	v_add_f32_e32 v6, v62, v76
	v_cvt_f16_f32_e32 v7, v58
	v_fma_f32 v58, 0x3fb8aa3b, v70, -v71
	v_rndne_f32_e32 v62, v71
	v_max_f32_e32 v76, v112, v112
	v_pk_mul_f16 v105, v7, v55 op_sel_hi:[0,1]
	v_exp_f32_e32 v55, v6
	s_delay_alu instid0(VALU_DEP_3)
	v_sub_f32_e32 v71, v71, v62
	v_fmac_f32_e32 v58, 0x32a5705f, v70
	v_max_f32_e32 v6, v95, v76
	v_pk_mul_f16 v76, v7, v56 op_sel_hi:[0,1]
	v_cvt_i32_f32_e32 v7, v87
	v_cvt_i32_f32_e32 v62, v62
	v_cvt_f16_f32_e32 v56, v61
	s_delay_alu instid0(TRANS32_DEP_1) | instid1(VALU_DEP_3)
	v_ldexp_f32 v55, v55, v7
	v_max_f32_e32 v7, v119, v63
	v_add_f32_e32 v58, v71, v58
	v_sub_f32_e32 v71, v110, v6
	v_pack_b32_f16 v57, v57, v56
	v_cndmask_b32_e32 v55, 0, v55, vcc_lo
	v_cmp_nlt_f32_e32 vcc_lo, 0x42b17218, v88
	v_exp_f32_e32 v58, v58
	v_mul_f32_e32 v87, 0x3fb8aa3b, v71
	v_pack_b32_f16 v56, v60, v59
	v_pack_b32_f16 v59, v75, v64
	v_cndmask_b32_e32 v55, 0x7f800000, v55, vcc_lo
	v_cmp_ngt_f32_e32 vcc_lo, 0xc2ce8ed0, v70
	v_fma_f32 v63, 0x3fb8aa3b, v71, -v87
	v_rndne_f32_e32 v95, v87
	v_pack_b32_f16 v60, v94, v89
	s_delay_alu instid0(TRANS32_DEP_1) | instskip(NEXT) | instid1(VALU_DEP_4)
	v_ldexp_f32 v58, v58, v62
	v_fmac_f32_e32 v63, 0x32a5705f, v71
	s_delay_alu instid0(VALU_DEP_4) | instskip(NEXT) | instid1(VALU_DEP_3)
	v_sub_f32_e32 v62, v87, v95
	v_cndmask_b32_e32 v58, 0, v58, vcc_lo
	v_cmp_nlt_f32_e32 vcc_lo, 0x42b17218, v70
	v_add_f32_e32 v87, v61, v55
	s_delay_alu instid0(VALU_DEP_3) | instskip(SKIP_1) | instid1(VALU_DEP_2)
	v_dual_add_f32 v61, v62, v63 :: v_dual_cndmask_b32 v58, 0x7f800000, v58
	v_sub_f32_e32 v106, v116, v7
	v_exp_f32_e32 v61, v61
	v_cmp_ngt_f32_e32 vcc_lo, 0xc2ce8ed0, v71
	s_delay_alu instid0(VALU_DEP_3) | instskip(NEXT) | instid1(VALU_DEP_3)
	v_fmac_f32_e32 v87, v69, v58
	v_mul_f32_e32 v88, 0x3fb8aa3b, v106
	s_delay_alu instid0(VALU_DEP_1) | instskip(SKIP_1) | instid1(VALU_DEP_2)
	v_rndne_f32_e32 v63, v88
	v_fma_f32 v62, 0x3fb8aa3b, v106, -v88
	v_sub_f32_e32 v70, v88, v63
	v_sub_f32_e32 v88, v109, v6
	v_cvt_f16_f32_e32 v107, v55
	v_cvt_i32_f32_e32 v55, v95
	v_dual_fmac_f32 v62, 0x32a5705f, v106 :: v_dual_sub_f32 v95, v115, v7
	s_delay_alu instid0(VALU_DEP_4) | instskip(SKIP_1) | instid1(VALU_DEP_4)
	v_mul_f32_e32 v69, 0x3fb8aa3b, v88
	v_cvt_i32_f32_e32 v63, v63
	v_ldexp_f32 v55, v61, v55
	s_delay_alu instid0(VALU_DEP_4) | instskip(NEXT) | instid1(VALU_DEP_4)
	v_mul_f32_e32 v108, 0x3fb8aa3b, v95
	v_fma_f32 v61, 0x3fb8aa3b, v88, -v69
	s_delay_alu instid0(VALU_DEP_3) | instskip(SKIP_1) | instid1(VALU_DEP_3)
	v_cndmask_b32_e32 v55, 0, v55, vcc_lo
	v_cmp_nlt_f32_e32 vcc_lo, 0x42b17218, v71
	v_dual_sub_f32 v68, v68, v6 :: v_dual_fmac_f32 v61, 0x32a5705f, v88
	v_add_f32_e32 v62, v70, v62
	v_cvt_f16_f32_e32 v70, v58
	v_cndmask_b32_e32 v71, 0x7f800000, v55, vcc_lo
	v_cmp_ngt_f32_e32 vcc_lo, 0xc2ce8ed0, v106
	s_delay_alu instid0(VALU_DEP_4) | instskip(SKIP_3) | instid1(VALU_DEP_3)
	v_exp_f32_e32 v58, v62
	v_rndne_f32_e32 v62, v69
	v_pk_mul_f16 v53, v70, v53 op_sel_hi:[0,1]
	v_pk_mul_f16 v54, v70, v54 op_sel_hi:[0,1]
	v_sub_f32_e32 v69, v69, v62
	v_cvt_i32_f32_e32 v62, v62
	s_waitcnt_depctr 0xfff
	v_ldexp_f32 v55, v58, v63
	v_add_f32_e32 v58, v69, v61
	v_rndne_f32_e32 v63, v108
	v_fma_f32 v61, 0x3fb8aa3b, v95, -v108
	s_delay_alu instid0(VALU_DEP_4) | instskip(NEXT) | instid1(VALU_DEP_4)
	v_cndmask_b32_e32 v55, 0, v55, vcc_lo
	v_exp_f32_e32 v58, v58
	s_delay_alu instid0(VALU_DEP_3)
	v_dual_sub_f32 v69, v108, v63 :: v_dual_mul_f32 v108, 0x3fb8aa3b, v68
	v_cmp_nlt_f32_e32 vcc_lo, 0x42b17218, v106
	v_cvt_i32_f32_e32 v63, v63
	s_waitcnt_depctr 0xfff
	v_ldexp_f32 v58, v58, v62
	v_fma_f32 v62, 0x3fb8aa3b, v68, -v108
	s_delay_alu instid0(VALU_DEP_1) | instskip(NEXT) | instid1(VALU_DEP_1)
	v_dual_fmac_f32 v61, 0x32a5705f, v95 :: v_dual_fmac_f32 v62, 0x32a5705f, v68
	v_dual_cndmask_b32 v106, 0x7f800000, v55 :: v_dual_add_f32 v55, v69, v61
	v_rndne_f32_e32 v69, v108
	v_sub_f32_e32 v67, v67, v7
	v_cmp_ngt_f32_e32 vcc_lo, 0xc2ce8ed0, v88
	s_delay_alu instid0(VALU_DEP_4) | instskip(NEXT) | instid1(VALU_DEP_2)
	v_exp_f32_e32 v55, v55
	v_dual_sub_f32 v108, v108, v69 :: v_dual_mul_f32 v61, 0x3fb8aa3b, v67
	v_cndmask_b32_e32 v58, 0, v58, vcc_lo
	v_cmp_nlt_f32_e32 vcc_lo, 0x42b17218, v88
	s_delay_alu instid0(VALU_DEP_3) | instskip(NEXT) | instid1(VALU_DEP_4)
	v_add_f32_e32 v62, v108, v62
	v_fma_f32 v109, 0x3fb8aa3b, v67, -v61
	v_rndne_f32_e32 v110, v61
	v_cvt_f16_f32_e32 v108, v71
	s_delay_alu instid0(TRANS32_DEP_1)
	v_ldexp_f32 v55, v55, v63
	v_cndmask_b32_e32 v63, 0x7f800000, v58, vcc_lo
	v_cmp_ngt_f32_e32 vcc_lo, 0xc2ce8ed0, v95
	v_fmac_f32_e32 v109, 0x32a5705f, v67
	v_exp_f32_e32 v58, v62
	v_cvt_i32_f32_e32 v62, v69
	v_cvt_f16_f32_e32 v69, v106
	v_cndmask_b32_e32 v55, 0, v55, vcc_lo
	v_cmp_nlt_f32_e32 vcc_lo, 0x42b17218, v95
	s_delay_alu instid0(VALU_DEP_2) | instskip(NEXT) | instid1(VALU_DEP_1)
	v_dual_sub_f32 v61, v61, v110 :: v_dual_cndmask_b32 v88, 0x7f800000, v55
	v_add_f32_e32 v61, v61, v109
	v_cvt_i32_f32_e32 v55, v110
	s_delay_alu instid0(TRANS32_DEP_1)
	v_ldexp_f32 v109, v58, v62
	v_cmp_ngt_f32_e32 vcc_lo, 0xc2ce8ed0, v68
	v_cvt_f16_f32_e32 v62, v88
	v_exp_f32_e32 v61, v61
	v_add_f32_e32 v88, v106, v88
	v_cvt_f16_f32_e32 v95, v63
	v_cndmask_b32_e32 v64, 0, v109, vcc_lo
	v_cmp_ngt_f32_e32 vcc_lo, 0xc2ce8ed0, v67
	v_pack_b32_f16 v62, v108, v62
	v_add_f32_e32 v89, v63, v71
	v_pack_b32_f16 v58, v95, v69
	s_delay_alu instid0(TRANS32_DEP_1)
	v_ldexp_f32 v110, v61, v55
	v_pack_b32_f16 v55, v96, v118
	v_pack_b32_f16 v61, v93, v107
	ds_store_b128 v47, v[55:58]
	ds_store_b128 v47, v[59:62] offset:512
	s_waitcnt vmcnt(1)
	ds_store_b128 v43, v[97:100]
	s_waitcnt vmcnt(0)
	ds_store_b128 v44, v[101:104]
	v_cndmask_b32_e32 v69, 0, v110, vcc_lo
	v_cmp_nlt_f32_e32 vcc_lo, 0x42b17218, v68
	s_waitcnt lgkmcnt(0)
	s_barrier
	buffer_gl0_inv
	ds_load_2addr_b64 v[55:58], v45 offset1:32
	ds_load_b128 v[59:62], v42
	v_cndmask_b32_e32 v64, 0x7f800000, v64, vcc_lo
	v_cmp_nlt_f32_e32 vcc_lo, 0x42b17218, v67
	s_delay_alu instid0(VALU_DEP_2) | instskip(SKIP_2) | instid1(VALU_DEP_3)
	v_cvt_f16_f32_e32 v63, v64
	v_cndmask_b32_e32 v67, 0x7f800000, v69, vcc_lo
	v_fmac_f32_e32 v89, v66, v64
	v_pk_mul_f16 v71, v63, v51 op_sel_hi:[0,1]
	s_delay_alu instid0(VALU_DEP_3) | instskip(SKIP_2) | instid1(VALU_DEP_2)
	v_fmac_f32_e32 v88, v65, v67
	v_cvt_f16_f32_e32 v68, v67
	v_pk_mul_f16 v75, v63, v52 op_sel_hi:[0,1]
	v_pk_mul_f16 v93, v68, v50 op_sel_hi:[0,1]
	;; [unrolled: 1-line block ×3, first 2 shown]
	ds_load_b128 v[49:52], v42 offset:16
	ds_load_b128 v[63:66], v42 offset:32
	ds_load_b128 v[67:70], v42 offset:48
	s_waitcnt lgkmcnt(3)
	v_pk_fma_f16 v95, v55, v59, v74 op_sel_hi:[1,0,1]
	v_pk_fma_f16 v97, v55, v60, v73 op_sel_hi:[1,0,1]
	v_pk_fma_f16 v98, v55, v60, v72 op_sel:[0,1,0]
	v_pk_fma_f16 v100, v55, v62, v71 op_sel_hi:[1,0,1]
	ds_load_2addr_b64 v[71:74], v45 offset0:64 offset1:96
	v_pk_fma_f16 v96, v55, v59, v114 op_sel:[0,1,0]
	v_pk_fma_f16 v99, v55, v61, v105 op_sel_hi:[1,0,1]
	v_pk_fma_f16 v53, v55, v61, v53 op_sel:[0,1,0]
	v_pk_fma_f16 v55, v55, v62, v93 op_sel:[0,1,0]
	v_pk_fma_f16 v93, v56, v59, v113 op_sel_hi:[1,0,1]
	v_pk_fma_f16 v59, v56, v59, v92 op_sel:[0,1,0]
	v_pk_fma_f16 v90, v56, v60, v90 op_sel_hi:[1,0,1]
	v_pk_fma_f16 v60, v56, v60, v91 op_sel:[0,1,0]
	v_pk_fma_f16 v76, v56, v61, v76 op_sel_hi:[1,0,1]
	v_pk_fma_f16 v54, v56, v61, v54 op_sel:[0,1,0]
	v_pk_fma_f16 v61, v56, v62, v75 op_sel_hi:[1,0,1]
	v_pk_fma_f16 v56, v56, v62, v94 op_sel:[0,1,0]
	s_waitcnt lgkmcnt(3)
	v_pk_fma_f16 v62, v57, v49, v95 op_sel_hi:[1,0,1]
	v_pk_fma_f16 v75, v57, v49, v96 op_sel:[0,1,0]
	v_pk_fma_f16 v91, v57, v50, v97 op_sel_hi:[1,0,1]
	v_pk_fma_f16 v92, v57, v50, v98 op_sel:[0,1,0]
	;; [unrolled: 2-line block ×8, first 2 shown]
	s_waitcnt lgkmcnt(0)
	v_pk_fma_f16 v62, v71, v63, v62 op_sel_hi:[1,0,1]
	v_pk_fma_f16 v75, v71, v63, v75 op_sel:[0,1,0]
	v_pk_fma_f16 v76, v71, v64, v91 op_sel_hi:[1,0,1]
	v_pk_fma_f16 v90, v71, v64, v92 op_sel:[0,1,0]
	;; [unrolled: 2-line block ×7, first 2 shown]
	ds_load_2addr_b64 v[49:52], v45 offset0:128 offset1:160
	ds_load_b128 v[53:56], v42 offset:64
	v_pk_fma_f16 v61, v72, v66, v61 op_sel_hi:[1,0,1]
	v_pk_fma_f16 v66, v72, v66, v58 op_sel:[0,1,0]
	v_pk_fma_f16 v62, v73, v67, v62 op_sel_hi:[1,0,1]
	v_pk_fma_f16 v72, v73, v67, v75 op_sel:[0,1,0]
	;; [unrolled: 2-line block ×8, first 2 shown]
	ds_load_b128 v[57:60], v42 offset:80
	v_pk_fma_f16 v69, v74, v70, v61 op_sel_hi:[1,0,1]
	v_pk_fma_f16 v70, v74, v70, v66 op_sel:[0,1,0]
	s_waitcnt lgkmcnt(1)
	v_pk_fma_f16 v74, v49, v53, v62 op_sel_hi:[1,0,1]
	v_pk_fma_f16 v72, v49, v53, v72 op_sel:[0,1,0]
	v_pk_fma_f16 v75, v49, v54, v75 op_sel_hi:[1,0,1]
	v_pk_fma_f16 v76, v49, v54, v76 op_sel:[0,1,0]
	;; [unrolled: 2-line block ×7, first 2 shown]
	ds_load_2addr_b64 v[61:64], v45 offset0:192 offset1:224
	ds_load_b128 v[65:68], v42 offset:96
	v_pk_fma_f16 v69, v50, v56, v69 op_sel_hi:[1,0,1]
	v_pk_fma_f16 v50, v50, v56, v70 op_sel:[0,1,0]
	s_waitcnt lgkmcnt(2)
	v_pk_fma_f16 v56, v51, v57, v74 op_sel_hi:[1,0,1]
	v_pk_fma_f16 v70, v51, v57, v72 op_sel:[0,1,0]
	v_pk_fma_f16 v72, v51, v58, v75 op_sel_hi:[1,0,1]
	v_pk_fma_f16 v74, v51, v58, v76 op_sel:[0,1,0]
	;; [unrolled: 2-line block ×8, first 2 shown]
	ds_load_b128 v[52:55], v42 offset:112
	s_waitcnt lgkmcnt(1)
	v_pk_fma_f16 v60, v61, v65, v56 op_sel_hi:[1,0,1]
	v_pk_fma_f16 v92, v61, v65, v70 op_sel:[0,1,0]
	v_pk_fma_f16 v93, v61, v66, v72 op_sel_hi:[1,0,1]
	v_pk_fma_f16 v74, v61, v66, v74 op_sel:[0,1,0]
	;; [unrolled: 2-line block ×4, first 2 shown]
	v_pk_fma_f16 v61, v62, v65, v51 op_sel_hi:[1,0,1]
	v_add_nc_u32_e32 v51, 0x800, v45
	v_pk_fma_f16 v65, v62, v65, v57 op_sel:[0,1,0]
	v_pk_fma_f16 v94, v62, v66, v71 op_sel_hi:[1,0,1]
	v_pk_fma_f16 v66, v62, v66, v58 op_sel:[0,1,0]
	v_pk_fma_f16 v73, v62, v67, v73 op_sel_hi:[1,0,1]
	v_pk_fma_f16 v67, v62, v67, v59 op_sel:[0,1,0]
	ds_load_2addr_b64 v[56:59], v51 offset1:32
	ds_load_b128 v[69:72], v42 offset:128
	v_pk_fma_f16 v91, v62, v68, v91 op_sel_hi:[1,0,1]
	v_pk_fma_f16 v50, v62, v68, v50 op_sel:[0,1,0]
	s_waitcnt lgkmcnt(2)
	v_pk_fma_f16 v68, v63, v52, v60 op_sel_hi:[1,0,1]
	v_pk_fma_f16 v92, v63, v52, v92 op_sel:[0,1,0]
	v_pk_fma_f16 v93, v63, v53, v93 op_sel_hi:[1,0,1]
	v_pk_fma_f16 v74, v63, v53, v74 op_sel:[0,1,0]
	;; [unrolled: 2-line block ×7, first 2 shown]
	ds_load_b128 v[60:63], v42 offset:144
	v_pk_fma_f16 v73, v64, v55, v91 op_sel_hi:[1,0,1]
	v_pk_fma_f16 v50, v64, v55, v50 op_sel:[0,1,0]
	s_waitcnt lgkmcnt(1)
	v_pk_fma_f16 v68, v56, v69, v68 op_sel_hi:[1,0,1]
	v_pk_fma_f16 v91, v56, v69, v92 op_sel:[0,1,0]
	v_pk_fma_f16 v92, v56, v70, v93 op_sel_hi:[1,0,1]
	v_pk_fma_f16 v74, v56, v70, v74 op_sel:[0,1,0]
	;; [unrolled: 2-line block ×7, first 2 shown]
	ds_load_2addr_b64 v[52:55], v51 offset0:64 offset1:96
	ds_load_b128 v[64:67], v42 offset:160
	v_pk_fma_f16 v73, v57, v72, v73 op_sel_hi:[1,0,1]
	v_pk_fma_f16 v50, v57, v72, v50 op_sel:[0,1,0]
	s_waitcnt lgkmcnt(2)
	v_pk_fma_f16 v57, v58, v60, v68 op_sel_hi:[1,0,1]
	v_pk_fma_f16 v72, v58, v60, v91 op_sel:[0,1,0]
	v_pk_fma_f16 v91, v58, v61, v92 op_sel_hi:[1,0,1]
	v_pk_fma_f16 v74, v58, v61, v74 op_sel:[0,1,0]
	;; [unrolled: 2-line block ×6, first 2 shown]
	ds_load_b128 v[68:71], v42 offset:176
	v_pk_fma_f16 v92, v59, v62, v94 op_sel_hi:[1,0,1]
	v_pk_fma_f16 v62, v59, v62, v95 op_sel:[0,1,0]
	v_pk_fma_f16 v73, v59, v63, v73 op_sel_hi:[1,0,1]
	v_pk_fma_f16 v50, v59, v63, v50 op_sel:[0,1,0]
	s_waitcnt lgkmcnt(1)
	v_pk_fma_f16 v57, v52, v64, v57 op_sel_hi:[1,0,1]
	v_pk_fma_f16 v59, v52, v64, v72 op_sel:[0,1,0]
	v_pk_fma_f16 v202, v52, v65, v91 op_sel_hi:[1,0,1]
	v_pk_fma_f16 v203, v52, v65, v74 op_sel:[0,1,0]
	;; [unrolled: 2-line block ×4, first 2 shown]
	v_add_co_u32 v52, vcc_lo, s19, v12
	v_pk_fma_f16 v207, v53, v64, v56 op_sel_hi:[1,0,1]
	v_pk_fma_f16 v208, v53, v64, v58 op_sel:[0,1,0]
	v_pk_fma_f16 v209, v53, v65, v60 op_sel_hi:[1,0,1]
	v_pk_fma_f16 v210, v53, v65, v61 op_sel:[0,1,0]
	;; [unrolled: 2-line block ×4, first 2 shown]
	v_add_co_ci_u32_e32 v53, vcc_lo, s20, v13, vcc_lo
	v_add_co_u32 v194, vcc_lo, s19, v14
	v_add_co_ci_u32_e32 v195, vcc_lo, s20, v15, vcc_lo
	v_add_co_u32 v52, vcc_lo, v52, v48
	s_delay_alu instid0(VALU_DEP_4) | instskip(NEXT) | instid1(VALU_DEP_4)
	v_add_co_ci_u32_e32 v53, vcc_lo, 0, v53, vcc_lo
	v_add_co_u32 v198, vcc_lo, v194, v48
	v_add_nc_u32_e32 v49, 0x1800, v45
	v_add_co_ci_u32_e32 v199, vcc_lo, 0, v195, vcc_lo
	v_add_nc_u32_e32 v50, 0x1000, v45
	s_waitcnt lgkmcnt(0)
	v_pk_fma_f16 v215, v54, v68, v57 op_sel_hi:[1,0,1]
	v_pk_fma_f16 v216, v54, v68, v59 op_sel:[0,1,0]
	ds_load_2addr_b64 v[56:59], v51 offset0:128 offset1:160
	ds_load_b128 v[60:63], v42 offset:192
	ds_load_b128 v[64:67], v42 offset:208
	ds_load_2addr_b64 v[72:75], v51 offset0:192 offset1:224
	ds_load_b128 v[90:93], v42 offset:224
	ds_load_b128 v[94:97], v42 offset:240
	ds_load_2addr_b64 v[98:101], v50 offset1:32
	ds_load_b128 v[102:105], v42 offset:256
	ds_load_b128 v[106:109], v42 offset:272
	ds_load_2addr_b64 v[110:113], v50 offset0:64 offset1:96
	ds_load_b128 v[114:117], v42 offset:288
	ds_load_b128 v[118:121], v42 offset:304
	ds_load_2addr_b64 v[122:125], v50 offset0:128 offset1:160
	;; [unrolled: 3-line block ×3, first 2 shown]
	ds_load_b128 v[138:141], v42 offset:352
	ds_load_b128 v[142:145], v42 offset:368
	ds_load_2addr_b64 v[146:149], v49 offset1:32
	ds_load_b128 v[150:153], v42 offset:384
	ds_load_b128 v[154:157], v42 offset:400
	ds_load_2addr_b64 v[158:161], v49 offset0:64 offset1:96
	ds_load_b128 v[162:165], v42 offset:416
	ds_load_b128 v[166:169], v42 offset:432
	ds_load_2addr_b64 v[170:173], v49 offset0:128 offset1:160
	;; [unrolled: 3-line block ×3, first 2 shown]
	ds_load_b128 v[186:189], v42 offset:480
	ds_load_b128 v[190:193], v42 offset:496
	s_waitcnt lgkmcnt(0)
	s_barrier
	buffer_gl0_inv
	s_clause 0x1
	global_load_b128 v[194:197], v[52:53], off
	global_load_b128 v[198:201], v[198:199], off
	v_pk_fma_f16 v52, v54, v69, v202 op_sel_hi:[1,0,1]
	v_pk_fma_f16 v53, v54, v69, v203 op_sel:[0,1,0]
	v_pk_fma_f16 v202, v54, v70, v204 op_sel_hi:[1,0,1]
	v_pk_fma_f16 v76, v54, v70, v76 op_sel:[0,1,0]
	;; [unrolled: 2-line block ×12, first 2 shown]
	v_pk_fma_f16 v55, v57, v63, v55 op_sel:[0,1,0]
	v_pk_fma_f16 v68, v57, v61, v205 op_sel_hi:[1,0,1]
	v_pk_fma_f16 v61, v57, v61, v69 op_sel:[0,1,0]
	v_pk_fma_f16 v69, v57, v62, v206 op_sel_hi:[1,0,1]
	;; [unrolled: 2-line block ×3, first 2 shown]
	v_pk_fma_f16 v57, v58, v64, v71 op_sel_hi:[1,0,1]
	v_pk_fma_f16 v63, v58, v64, v208 op_sel:[0,1,0]
	v_pk_fma_f16 v52, v58, v65, v52 op_sel_hi:[1,0,1]
	v_pk_fma_f16 v53, v58, v65, v53 op_sel:[0,1,0]
	;; [unrolled: 2-line block ×5, first 2 shown]
	v_pk_fma_f16 v55, v59, v67, v55 op_sel:[0,1,0]
	v_pk_fma_f16 v60, v59, v65, v68 op_sel_hi:[1,0,1]
	v_pk_fma_f16 v61, v59, v65, v61 op_sel:[0,1,0]
	v_pk_fma_f16 v64, v59, v66, v69 op_sel_hi:[1,0,1]
	v_pk_fma_f16 v62, v59, v66, v62 op_sel:[0,1,0]
	v_pk_fma_f16 v65, v59, v67, v70 op_sel_hi:[1,0,1]
	v_pk_fma_f16 v57, v72, v90, v57 op_sel_hi:[1,0,1]
	v_pk_fma_f16 v59, v72, v90, v63 op_sel:[0,1,0]
	v_pk_fma_f16 v52, v72, v91, v52 op_sel_hi:[1,0,1]
	v_pk_fma_f16 v53, v72, v91, v53 op_sel:[0,1,0]
	v_pk_fma_f16 v54, v72, v93, v54 op_sel:[0,1,0]
	v_pk_fma_f16 v56, v73, v90, v56 op_sel_hi:[1,0,1]
	v_pk_fma_f16 v58, v73, v90, v58 op_sel:[0,1,0]
	;; [unrolled: 3-line block ×3, first 2 shown]
	v_pk_fma_f16 v52, v74, v95, v52 op_sel_hi:[1,0,1]
	v_pk_fma_f16 v53, v74, v95, v53 op_sel:[0,1,0]
	v_pk_fma_f16 v54, v74, v97, v54 op_sel:[0,1,0]
	v_pk_fma_f16 v56, v75, v94, v56 op_sel_hi:[1,0,1]
	v_pk_fma_f16 v58, v75, v94, v58 op_sel:[0,1,0]
	v_pk_fma_f16 v55, v75, v97, v55 op_sel:[0,1,0]
	v_pk_fma_f16 v63, v72, v92, v71 op_sel_hi:[1,0,1]
	v_pk_fma_f16 v66, v72, v92, v76 op_sel:[0,1,0]
	v_pk_fma_f16 v67, v72, v93, v202 op_sel_hi:[1,0,1]
	v_pk_fma_f16 v57, v98, v102, v57 op_sel_hi:[1,0,1]
	v_pk_fma_f16 v59, v98, v102, v59 op_sel:[0,1,0]
	v_pk_fma_f16 v52, v98, v103, v52 op_sel_hi:[1,0,1]
	v_pk_fma_f16 v53, v98, v103, v53 op_sel:[0,1,0]
	v_pk_fma_f16 v54, v98, v105, v54 op_sel:[0,1,0]
	v_pk_fma_f16 v56, v99, v102, v56 op_sel_hi:[1,0,1]
	v_pk_fma_f16 v58, v99, v102, v58 op_sel:[0,1,0]
	v_pk_fma_f16 v55, v99, v105, v55 op_sel:[0,1,0]
	v_pk_fma_f16 v60, v73, v91, v60 op_sel_hi:[1,0,1]
	v_pk_fma_f16 v61, v73, v91, v61 op_sel:[0,1,0]
	v_pk_fma_f16 v64, v73, v92, v64 op_sel_hi:[1,0,1]
	v_pk_fma_f16 v62, v73, v92, v62 op_sel:[0,1,0]
	v_pk_fma_f16 v65, v73, v93, v65 op_sel_hi:[1,0,1]
	v_pk_fma_f16 v63, v74, v96, v63 op_sel_hi:[1,0,1]
	v_pk_fma_f16 v66, v74, v96, v66 op_sel:[0,1,0]
	v_pk_fma_f16 v67, v74, v97, v67 op_sel_hi:[1,0,1]
	v_pk_fma_f16 v57, v100, v106, v57 op_sel_hi:[1,0,1]
	v_pk_fma_f16 v59, v100, v106, v59 op_sel:[0,1,0]
	v_pk_fma_f16 v52, v100, v107, v52 op_sel_hi:[1,0,1]
	v_pk_fma_f16 v53, v100, v107, v53 op_sel:[0,1,0]
	v_pk_fma_f16 v54, v100, v109, v54 op_sel:[0,1,0]
	v_pk_fma_f16 v56, v101, v106, v56 op_sel_hi:[1,0,1]
	v_pk_fma_f16 v58, v101, v106, v58 op_sel:[0,1,0]
	v_pk_fma_f16 v55, v101, v109, v55 op_sel:[0,1,0]
	v_pk_fma_f16 v60, v75, v95, v60 op_sel_hi:[1,0,1]
	v_pk_fma_f16 v61, v75, v95, v61 op_sel:[0,1,0]
	v_pk_fma_f16 v64, v75, v96, v64 op_sel_hi:[1,0,1]
	v_pk_fma_f16 v62, v75, v96, v62 op_sel:[0,1,0]
	v_pk_fma_f16 v65, v75, v97, v65 op_sel_hi:[1,0,1]
	;; [unrolled: 16-line block ×14, first 2 shown]
	v_pk_fma_f16 v63, v170, v176, v63 op_sel_hi:[1,0,1]
	v_pk_fma_f16 v66, v170, v176, v66 op_sel:[0,1,0]
	v_pk_fma_f16 v67, v170, v177, v67 op_sel_hi:[1,0,1]
	v_pk_fma_f16 v68, v182, v186, v57 op_sel_hi:[1,0,1]
	v_pk_fma_f16 v69, v182, v186, v59 op_sel:[0,1,0]
	v_pk_fma_f16 v70, v182, v187, v52 op_sel_hi:[1,0,1]
	v_pk_fma_f16 v71, v182, v187, v53 op_sel:[0,1,0]
	v_pk_fma_f16 v72, v182, v189, v54 op_sel:[0,1,0]
	v_pk_fma_f16 v73, v183, v186, v56 op_sel_hi:[1,0,1]
	v_pk_fma_f16 v74, v183, v186, v58 op_sel:[0,1,0]
	v_pk_fma_f16 v75, v183, v189, v55 op_sel:[0,1,0]
	s_waitcnt vmcnt(1)
	ds_store_b128 v43, v[194:197]
	s_waitcnt vmcnt(0)
	ds_store_b128 v44, v[198:201]
	s_waitcnt lgkmcnt(0)
	s_barrier
	buffer_gl0_inv
	ds_load_2addr_b64 v[52:55], v45 offset1:32
	ds_load_b128 v[56:59], v42 offset:512
	v_pk_fma_f16 v60, v171, v175, v60 op_sel_hi:[1,0,1]
	v_pk_fma_f16 v61, v171, v175, v61 op_sel:[0,1,0]
	v_pk_fma_f16 v64, v171, v176, v64 op_sel_hi:[1,0,1]
	v_pk_fma_f16 v62, v171, v176, v62 op_sel:[0,1,0]
	v_pk_fma_f16 v65, v171, v177, v65 op_sel_hi:[1,0,1]
	v_pk_fma_f16 v63, v172, v180, v63 op_sel_hi:[1,0,1]
	v_pk_fma_f16 v66, v172, v180, v66 op_sel:[0,1,0]
	v_pk_fma_f16 v67, v172, v181, v67 op_sel_hi:[1,0,1]
	v_pk_fma_f16 v60, v173, v179, v60 op_sel_hi:[1,0,1]
	v_pk_fma_f16 v61, v173, v179, v61 op_sel:[0,1,0]
	v_pk_fma_f16 v64, v173, v180, v64 op_sel_hi:[1,0,1]
	v_pk_fma_f16 v62, v173, v180, v62 op_sel:[0,1,0]
	v_pk_fma_f16 v65, v173, v181, v65 op_sel_hi:[1,0,1]
	v_pk_fma_f16 v63, v182, v188, v63 op_sel_hi:[1,0,1]
	v_pk_fma_f16 v66, v182, v188, v66 op_sel:[0,1,0]
	v_pk_fma_f16 v67, v182, v189, v67 op_sel_hi:[1,0,1]
	;; [unrolled: 8-line block ×3, first 2 shown]
	v_pk_fma_f16 v92, v184, v191, v71 op_sel:[0,1,0]
	v_pk_fma_f16 v93, v184, v192, v63 op_sel_hi:[1,0,1]
	v_pk_fma_f16 v94, v184, v192, v66 op_sel:[0,1,0]
	v_pk_fma_f16 v95, v184, v193, v67 op_sel_hi:[1,0,1]
	;; [unrolled: 2-line block ×6, first 2 shown]
	ds_load_b128 v[60:63], v42 offset:528
	ds_load_b128 v[64:67], v42 offset:544
	;; [unrolled: 1-line block ×3, first 2 shown]
	v_pk_fma_f16 v101, v185, v193, v75 op_sel:[0,1,0]
	s_waitcnt lgkmcnt(3)
	v_pk_fma_f16 v76, v52, v56, v76 op_sel_hi:[1,0,1]
	v_pk_fma_f16 v90, v52, v56, v90 op_sel:[0,1,0]
	v_pk_fma_f16 v91, v52, v57, v91 op_sel_hi:[1,0,1]
	v_pk_fma_f16 v92, v52, v57, v92 op_sel:[0,1,0]
	v_pk_fma_f16 v93, v52, v58, v93 op_sel_hi:[1,0,1]
	v_pk_fma_f16 v94, v52, v58, v94 op_sel:[0,1,0]
	v_pk_fma_f16 v95, v52, v59, v95 op_sel_hi:[1,0,1]
	v_pk_fma_f16 v52, v52, v59, v72 op_sel:[0,1,0]
	v_pk_fma_f16 v102, v53, v56, v73 op_sel_hi:[1,0,1]
	v_pk_fma_f16 v56, v53, v56, v74 op_sel:[0,1,0]
	ds_load_2addr_b64 v[72:75], v45 offset0:64 offset1:96
	v_pk_fma_f16 v96, v53, v57, v96 op_sel_hi:[1,0,1]
	v_pk_fma_f16 v57, v53, v57, v97 op_sel:[0,1,0]
	v_pk_fma_f16 v97, v53, v58, v98 op_sel_hi:[1,0,1]
	v_pk_fma_f16 v58, v53, v58, v99 op_sel:[0,1,0]
	;; [unrolled: 2-line block ×3, first 2 shown]
	s_waitcnt lgkmcnt(3)
	v_pk_fma_f16 v59, v54, v60, v76 op_sel_hi:[1,0,1]
	v_pk_fma_f16 v76, v54, v60, v90 op_sel:[0,1,0]
	v_pk_fma_f16 v90, v54, v61, v91 op_sel_hi:[1,0,1]
	v_pk_fma_f16 v91, v54, v61, v92 op_sel:[0,1,0]
	;; [unrolled: 2-line block ×8, first 2 shown]
	s_waitcnt lgkmcnt(0)
	v_pk_fma_f16 v95, v72, v64, v59 op_sel_hi:[1,0,1]
	v_pk_fma_f16 v76, v72, v64, v76 op_sel:[0,1,0]
	v_pk_fma_f16 v90, v72, v65, v90 op_sel_hi:[1,0,1]
	v_pk_fma_f16 v91, v72, v65, v91 op_sel:[0,1,0]
	;; [unrolled: 2-line block ×7, first 2 shown]
	ds_load_2addr_b64 v[52:55], v45 offset0:128 offset1:160
	ds_load_b128 v[56:59], v42 offset:576
	v_pk_fma_f16 v62, v73, v67, v62 op_sel_hi:[1,0,1]
	v_pk_fma_f16 v67, v73, v67, v63 op_sel:[0,1,0]
	v_pk_fma_f16 v73, v74, v68, v95 op_sel_hi:[1,0,1]
	v_pk_fma_f16 v76, v74, v68, v76 op_sel:[0,1,0]
	;; [unrolled: 2-line block ×7, first 2 shown]
	v_pk_fma_f16 v69, v75, v70, v61 op_sel_hi:[1,0,1]
	v_pk_fma_f16 v95, v75, v71, v62 op_sel_hi:[1,0,1]
	ds_load_b128 v[60:63], v42 offset:592
	v_pk_fma_f16 v66, v75, v70, v66 op_sel:[0,1,0]
	v_pk_fma_f16 v75, v75, v71, v67 op_sel:[0,1,0]
	s_waitcnt lgkmcnt(1)
	v_pk_fma_f16 v73, v52, v56, v73 op_sel_hi:[1,0,1]
	v_pk_fma_f16 v76, v52, v56, v76 op_sel:[0,1,0]
	v_pk_fma_f16 v90, v52, v57, v90 op_sel_hi:[1,0,1]
	v_pk_fma_f16 v91, v52, v57, v91 op_sel:[0,1,0]
	;; [unrolled: 2-line block ×7, first 2 shown]
	ds_load_2addr_b64 v[64:67], v45 offset0:192 offset1:224
	ds_load_b128 v[68:71], v42 offset:608
	v_pk_fma_f16 v95, v53, v59, v95 op_sel_hi:[1,0,1]
	v_pk_fma_f16 v53, v53, v59, v75 op_sel:[0,1,0]
	s_waitcnt lgkmcnt(2)
	v_pk_fma_f16 v73, v54, v60, v73 op_sel_hi:[1,0,1]
	v_pk_fma_f16 v75, v54, v60, v76 op_sel:[0,1,0]
	v_pk_fma_f16 v76, v54, v61, v90 op_sel_hi:[1,0,1]
	v_pk_fma_f16 v90, v54, v61, v91 op_sel:[0,1,0]
	;; [unrolled: 2-line block ×7, first 2 shown]
	ds_load_b128 v[56:59], v42 offset:624
	v_pk_fma_f16 v94, v55, v63, v95 op_sel_hi:[1,0,1]
	v_pk_fma_f16 v95, v55, v63, v53 op_sel:[0,1,0]
	s_waitcnt lgkmcnt(1)
	v_pk_fma_f16 v73, v64, v68, v73 op_sel_hi:[1,0,1]
	v_pk_fma_f16 v75, v64, v68, v75 op_sel:[0,1,0]
	v_pk_fma_f16 v76, v64, v69, v76 op_sel_hi:[1,0,1]
	v_pk_fma_f16 v90, v64, v69, v90 op_sel:[0,1,0]
	;; [unrolled: 2-line block ×7, first 2 shown]
	ds_load_2addr_b64 v[52:55], v51 offset1:32
	ds_load_b128 v[60:63], v42 offset:640
	v_pk_fma_f16 v94, v65, v71, v94 op_sel_hi:[1,0,1]
	v_pk_fma_f16 v65, v65, v71, v95 op_sel:[0,1,0]
	s_waitcnt lgkmcnt(2)
	v_pk_fma_f16 v73, v66, v56, v73 op_sel_hi:[1,0,1]
	v_pk_fma_f16 v75, v66, v56, v75 op_sel:[0,1,0]
	v_pk_fma_f16 v76, v66, v57, v76 op_sel_hi:[1,0,1]
	v_pk_fma_f16 v90, v66, v57, v90 op_sel:[0,1,0]
	v_pk_fma_f16 v91, v66, v58, v91 op_sel_hi:[1,0,1]
	v_pk_fma_f16 v92, v66, v58, v92 op_sel:[0,1,0]
	v_pk_fma_f16 v93, v66, v59, v93 op_sel_hi:[1,0,1]
	v_pk_fma_f16 v64, v66, v59, v64 op_sel:[0,1,0]
	v_pk_fma_f16 v66, v67, v56, v96 op_sel_hi:[1,0,1]
	v_pk_fma_f16 v56, v67, v56, v68 op_sel:[0,1,0]
	v_pk_fma_f16 v72, v67, v57, v72 op_sel_hi:[1,0,1]
	v_pk_fma_f16 v57, v67, v57, v69 op_sel:[0,1,0]
	v_pk_fma_f16 v74, v67, v58, v74 op_sel_hi:[1,0,1]
	v_pk_fma_f16 v58, v67, v58, v70 op_sel:[0,1,0]
	ds_load_b128 v[68:71], v42 offset:656
	v_pk_fma_f16 v94, v67, v59, v94 op_sel_hi:[1,0,1]
	v_pk_fma_f16 v95, v67, v59, v65 op_sel:[0,1,0]
	s_waitcnt lgkmcnt(1)
	v_pk_fma_f16 v73, v52, v60, v73 op_sel_hi:[1,0,1]
	v_pk_fma_f16 v75, v52, v60, v75 op_sel:[0,1,0]
	v_pk_fma_f16 v76, v52, v61, v76 op_sel_hi:[1,0,1]
	v_pk_fma_f16 v90, v52, v61, v90 op_sel:[0,1,0]
	v_pk_fma_f16 v91, v52, v62, v91 op_sel_hi:[1,0,1]
	v_pk_fma_f16 v92, v52, v62, v92 op_sel:[0,1,0]
	v_pk_fma_f16 v93, v52, v63, v93 op_sel_hi:[1,0,1]
	v_pk_fma_f16 v52, v52, v63, v64 op_sel:[0,1,0]
	v_pk_fma_f16 v96, v53, v60, v66 op_sel_hi:[1,0,1]
	v_pk_fma_f16 v60, v53, v60, v56 op_sel:[0,1,0]
	v_pk_fma_f16 v72, v53, v61, v72 op_sel_hi:[1,0,1]
	v_pk_fma_f16 v61, v53, v61, v57 op_sel:[0,1,0]
	v_pk_fma_f16 v74, v53, v62, v74 op_sel_hi:[1,0,1]
	v_pk_fma_f16 v62, v53, v62, v58 op_sel:[0,1,0]
	ds_load_2addr_b64 v[56:59], v51 offset0:64 offset1:96
	ds_load_b128 v[64:67], v42 offset:672
	v_pk_fma_f16 v94, v53, v63, v94 op_sel_hi:[1,0,1]
	v_pk_fma_f16 v53, v53, v63, v95 op_sel:[0,1,0]
	s_waitcnt lgkmcnt(2)
	v_pk_fma_f16 v73, v54, v68, v73 op_sel_hi:[1,0,1]
	v_pk_fma_f16 v75, v54, v68, v75 op_sel:[0,1,0]
	v_pk_fma_f16 v76, v54, v69, v76 op_sel_hi:[1,0,1]
	v_pk_fma_f16 v90, v54, v69, v90 op_sel:[0,1,0]
	v_pk_fma_f16 v91, v54, v70, v91 op_sel_hi:[1,0,1]
	v_pk_fma_f16 v92, v54, v70, v92 op_sel:[0,1,0]
	v_pk_fma_f16 v93, v54, v71, v93 op_sel_hi:[1,0,1]
	v_pk_fma_f16 v52, v54, v71, v52 op_sel:[0,1,0]
	v_pk_fma_f16 v54, v55, v68, v96 op_sel_hi:[1,0,1]
	v_pk_fma_f16 v68, v55, v68, v60 op_sel:[0,1,0]
	v_pk_fma_f16 v72, v55, v69, v72 op_sel_hi:[1,0,1]
	v_pk_fma_f16 v69, v55, v69, v61 op_sel:[0,1,0]
	v_pk_fma_f16 v74, v55, v70, v74 op_sel_hi:[1,0,1]
	v_pk_fma_f16 v70, v55, v70, v62 op_sel:[0,1,0]
	ds_load_b128 v[60:63], v42 offset:688
	v_pk_fma_f16 v94, v55, v71, v94 op_sel_hi:[1,0,1]
	v_pk_fma_f16 v95, v55, v71, v53 op_sel:[0,1,0]
	s_waitcnt lgkmcnt(1)
	v_pk_fma_f16 v73, v56, v64, v73 op_sel_hi:[1,0,1]
	v_pk_fma_f16 v75, v56, v64, v75 op_sel:[0,1,0]
	v_pk_fma_f16 v76, v56, v65, v76 op_sel_hi:[1,0,1]
	v_pk_fma_f16 v90, v56, v65, v90 op_sel:[0,1,0]
	v_pk_fma_f16 v91, v56, v66, v91 op_sel_hi:[1,0,1]
	v_pk_fma_f16 v92, v56, v66, v92 op_sel:[0,1,0]
	v_pk_fma_f16 v93, v56, v67, v93 op_sel_hi:[1,0,1]
	v_pk_fma_f16 v56, v56, v67, v52 op_sel:[0,1,0]
	v_pk_fma_f16 v96, v57, v64, v54 op_sel_hi:[1,0,1]
	v_pk_fma_f16 v64, v57, v64, v68 op_sel:[0,1,0]
	v_pk_fma_f16 v72, v57, v65, v72 op_sel_hi:[1,0,1]
	v_pk_fma_f16 v65, v57, v65, v69 op_sel:[0,1,0]
	v_pk_fma_f16 v74, v57, v66, v74 op_sel_hi:[1,0,1]
	v_pk_fma_f16 v66, v57, v66, v70 op_sel:[0,1,0]
	ds_load_2addr_b64 v[52:55], v51 offset0:128 offset1:160
	;; [unrolled: 37-line block ×3, first 2 shown]
	ds_load_b128 v[60:63], v42 offset:736
	v_pk_fma_f16 v51, v53, v71, v94 op_sel_hi:[1,0,1]
	v_pk_fma_f16 v71, v53, v71, v95 op_sel:[0,1,0]
	s_waitcnt lgkmcnt(2)
	v_pk_fma_f16 v73, v54, v64, v73 op_sel_hi:[1,0,1]
	v_pk_fma_f16 v75, v54, v64, v75 op_sel:[0,1,0]
	v_pk_fma_f16 v76, v54, v65, v76 op_sel_hi:[1,0,1]
	v_pk_fma_f16 v90, v54, v65, v90 op_sel:[0,1,0]
	;; [unrolled: 2-line block ×5, first 2 shown]
	v_pk_fma_f16 v68, v55, v65, v72 op_sel_hi:[1,0,1]
	v_pk_fma_f16 v72, v55, v67, v51 op_sel_hi:[1,0,1]
	ds_load_b128 v[51:54], v42 offset:752
	v_pk_fma_f16 v65, v55, v65, v69 op_sel:[0,1,0]
	v_pk_fma_f16 v69, v55, v66, v74 op_sel_hi:[1,0,1]
	v_pk_fma_f16 v66, v55, v66, v70 op_sel:[0,1,0]
	v_pk_fma_f16 v55, v55, v67, v71 op_sel:[0,1,0]
	s_waitcnt lgkmcnt(1)
	v_pk_fma_f16 v73, v56, v60, v73 op_sel_hi:[1,0,1]
	v_pk_fma_f16 v74, v56, v60, v75 op_sel:[0,1,0]
	v_pk_fma_f16 v75, v56, v61, v76 op_sel_hi:[1,0,1]
	v_pk_fma_f16 v76, v56, v61, v90 op_sel:[0,1,0]
	;; [unrolled: 2-line block ×7, first 2 shown]
	ds_load_2addr_b64 v[64:67], v50 offset1:32
	ds_load_b128 v[68:71], v42 offset:768
	v_pk_fma_f16 v72, v57, v63, v72 op_sel_hi:[1,0,1]
	v_pk_fma_f16 v63, v57, v63, v55 op_sel:[0,1,0]
	s_waitcnt lgkmcnt(2)
	v_pk_fma_f16 v73, v58, v51, v73 op_sel_hi:[1,0,1]
	v_pk_fma_f16 v74, v58, v51, v74 op_sel:[0,1,0]
	v_pk_fma_f16 v75, v58, v52, v75 op_sel_hi:[1,0,1]
	v_pk_fma_f16 v76, v58, v52, v76 op_sel:[0,1,0]
	;; [unrolled: 2-line block ×4, first 2 shown]
	ds_load_b128 v[55:58], v42 offset:784
	v_pk_fma_f16 v93, v59, v51, v93 op_sel_hi:[1,0,1]
	v_pk_fma_f16 v51, v59, v51, v60 op_sel:[0,1,0]
	v_pk_fma_f16 v60, v59, v52, v94 op_sel_hi:[1,0,1]
	v_pk_fma_f16 v52, v59, v52, v61 op_sel:[0,1,0]
	;; [unrolled: 2-line block ×4, first 2 shown]
	s_waitcnt lgkmcnt(1)
	v_pk_fma_f16 v73, v64, v68, v73 op_sel_hi:[1,0,1]
	v_pk_fma_f16 v74, v64, v68, v74 op_sel:[0,1,0]
	v_pk_fma_f16 v75, v64, v69, v75 op_sel_hi:[1,0,1]
	v_pk_fma_f16 v76, v64, v69, v76 op_sel:[0,1,0]
	;; [unrolled: 2-line block ×7, first 2 shown]
	ds_load_2addr_b64 v[51:54], v50 offset0:64 offset1:96
	ds_load_b128 v[59:62], v42 offset:800
	v_pk_fma_f16 v72, v65, v71, v72 op_sel_hi:[1,0,1]
	v_pk_fma_f16 v71, v65, v71, v63 op_sel:[0,1,0]
	s_waitcnt lgkmcnt(2)
	v_pk_fma_f16 v73, v66, v55, v73 op_sel_hi:[1,0,1]
	v_pk_fma_f16 v74, v66, v55, v74 op_sel:[0,1,0]
	v_pk_fma_f16 v75, v66, v56, v75 op_sel_hi:[1,0,1]
	v_pk_fma_f16 v76, v66, v56, v76 op_sel:[0,1,0]
	;; [unrolled: 2-line block ×4, first 2 shown]
	ds_load_b128 v[63:66], v42 offset:816
	v_pk_fma_f16 v93, v67, v55, v93 op_sel_hi:[1,0,1]
	v_pk_fma_f16 v55, v67, v55, v68 op_sel:[0,1,0]
	v_pk_fma_f16 v68, v67, v56, v94 op_sel_hi:[1,0,1]
	v_pk_fma_f16 v56, v67, v56, v69 op_sel:[0,1,0]
	;; [unrolled: 2-line block ×4, first 2 shown]
	s_waitcnt lgkmcnt(1)
	v_pk_fma_f16 v73, v51, v59, v73 op_sel_hi:[1,0,1]
	v_pk_fma_f16 v74, v51, v59, v74 op_sel:[0,1,0]
	v_pk_fma_f16 v75, v51, v60, v75 op_sel_hi:[1,0,1]
	v_pk_fma_f16 v76, v51, v60, v76 op_sel:[0,1,0]
	;; [unrolled: 2-line block ×7, first 2 shown]
	ds_load_2addr_b64 v[55:58], v50 offset0:128 offset1:160
	ds_load_b128 v[67:70], v42 offset:832
	v_pk_fma_f16 v72, v52, v62, v72 op_sel_hi:[1,0,1]
	v_pk_fma_f16 v52, v52, v62, v71 op_sel:[0,1,0]
	s_waitcnt lgkmcnt(2)
	v_pk_fma_f16 v71, v53, v63, v73 op_sel_hi:[1,0,1]
	v_pk_fma_f16 v73, v53, v63, v74 op_sel:[0,1,0]
	v_pk_fma_f16 v74, v53, v64, v75 op_sel_hi:[1,0,1]
	v_pk_fma_f16 v75, v53, v64, v76 op_sel:[0,1,0]
	;; [unrolled: 2-line block ×7, first 2 shown]
	ds_load_b128 v[59:62], v42 offset:848
	v_pk_fma_f16 v72, v54, v66, v72 op_sel_hi:[1,0,1]
	v_pk_fma_f16 v54, v54, v66, v52 op_sel:[0,1,0]
	s_waitcnt lgkmcnt(1)
	v_pk_fma_f16 v71, v55, v67, v71 op_sel_hi:[1,0,1]
	v_pk_fma_f16 v73, v55, v67, v73 op_sel:[0,1,0]
	v_pk_fma_f16 v74, v55, v68, v74 op_sel_hi:[1,0,1]
	v_pk_fma_f16 v75, v55, v68, v75 op_sel:[0,1,0]
	;; [unrolled: 2-line block ×7, first 2 shown]
	ds_load_2addr_b64 v[50:53], v50 offset0:192 offset1:224
	ds_load_b128 v[63:66], v42 offset:864
	v_pk_fma_f16 v72, v56, v70, v72 op_sel_hi:[1,0,1]
	v_pk_fma_f16 v70, v56, v70, v54 op_sel:[0,1,0]
	s_waitcnt lgkmcnt(2)
	v_pk_fma_f16 v71, v57, v59, v71 op_sel_hi:[1,0,1]
	v_pk_fma_f16 v73, v57, v59, v73 op_sel:[0,1,0]
	v_pk_fma_f16 v74, v57, v60, v74 op_sel_hi:[1,0,1]
	v_pk_fma_f16 v75, v57, v60, v75 op_sel:[0,1,0]
	;; [unrolled: 2-line block ×4, first 2 shown]
	ds_load_b128 v[54:57], v42 offset:880
	v_pk_fma_f16 v94, v58, v59, v94 op_sel_hi:[1,0,1]
	v_pk_fma_f16 v59, v58, v59, v67 op_sel:[0,1,0]
	v_pk_fma_f16 v67, v58, v60, v92 op_sel_hi:[1,0,1]
	v_pk_fma_f16 v60, v58, v60, v68 op_sel:[0,1,0]
	;; [unrolled: 2-line block ×4, first 2 shown]
	s_waitcnt lgkmcnt(1)
	v_pk_fma_f16 v71, v50, v63, v71 op_sel_hi:[1,0,1]
	v_pk_fma_f16 v72, v50, v63, v73 op_sel:[0,1,0]
	v_pk_fma_f16 v73, v50, v64, v74 op_sel_hi:[1,0,1]
	v_pk_fma_f16 v74, v50, v64, v75 op_sel:[0,1,0]
	;; [unrolled: 2-line block ×7, first 2 shown]
	ds_load_2addr_b64 v[58:61], v49 offset1:32
	ds_load_b128 v[62:65], v42 offset:896
	v_pk_fma_f16 v69, v51, v66, v69 op_sel_hi:[1,0,1]
	v_pk_fma_f16 v51, v51, v66, v70 op_sel:[0,1,0]
	s_waitcnt lgkmcnt(2)
	v_pk_fma_f16 v70, v52, v54, v71 op_sel_hi:[1,0,1]
	v_pk_fma_f16 v71, v52, v54, v72 op_sel:[0,1,0]
	v_pk_fma_f16 v72, v52, v55, v73 op_sel_hi:[1,0,1]
	v_pk_fma_f16 v73, v52, v55, v74 op_sel:[0,1,0]
	;; [unrolled: 2-line block ×5, first 2 shown]
	v_pk_fma_f16 v90, v53, v55, v67 op_sel_hi:[1,0,1]
	v_pk_fma_f16 v91, v53, v56, v68 op_sel_hi:[1,0,1]
	;; [unrolled: 1-line block ×3, first 2 shown]
	ds_load_b128 v[66:69], v42 offset:912
	v_pk_fma_f16 v55, v53, v55, v93 op_sel:[0,1,0]
	v_pk_fma_f16 v56, v53, v56, v94 op_sel:[0,1,0]
	v_pk_fma_f16 v93, v53, v57, v51 op_sel:[0,1,0]
	s_waitcnt lgkmcnt(1)
	v_pk_fma_f16 v70, v58, v62, v70 op_sel_hi:[1,0,1]
	v_pk_fma_f16 v71, v58, v62, v71 op_sel:[0,1,0]
	v_pk_fma_f16 v72, v58, v63, v72 op_sel_hi:[1,0,1]
	v_pk_fma_f16 v73, v58, v63, v73 op_sel:[0,1,0]
	;; [unrolled: 2-line block ×7, first 2 shown]
	ds_load_2addr_b64 v[50:53], v49 offset0:64 offset1:96
	ds_load_b128 v[54:57], v42 offset:928
	v_pk_fma_f16 v92, v59, v65, v92 op_sel_hi:[1,0,1]
	v_pk_fma_f16 v59, v59, v65, v93 op_sel:[0,1,0]
	s_waitcnt lgkmcnt(2)
	v_pk_fma_f16 v70, v60, v66, v70 op_sel_hi:[1,0,1]
	v_pk_fma_f16 v71, v60, v66, v71 op_sel:[0,1,0]
	v_pk_fma_f16 v72, v60, v67, v72 op_sel_hi:[1,0,1]
	v_pk_fma_f16 v73, v60, v67, v73 op_sel:[0,1,0]
	;; [unrolled: 2-line block ×7, first 2 shown]
	ds_load_b128 v[62:65], v42 offset:944
	v_pk_fma_f16 v92, v61, v69, v92 op_sel_hi:[1,0,1]
	v_pk_fma_f16 v93, v61, v69, v59 op_sel:[0,1,0]
	s_waitcnt lgkmcnt(1)
	v_pk_fma_f16 v70, v50, v54, v70 op_sel_hi:[1,0,1]
	v_pk_fma_f16 v71, v50, v54, v71 op_sel:[0,1,0]
	v_pk_fma_f16 v72, v50, v55, v72 op_sel_hi:[1,0,1]
	v_pk_fma_f16 v73, v50, v55, v73 op_sel:[0,1,0]
	;; [unrolled: 2-line block ×7, first 2 shown]
	ds_load_2addr_b64 v[58:61], v49 offset0:128 offset1:160
	ds_load_b128 v[66:69], v42 offset:960
	v_pk_fma_f16 v92, v51, v57, v92 op_sel_hi:[1,0,1]
	v_pk_fma_f16 v51, v51, v57, v93 op_sel:[0,1,0]
	s_waitcnt lgkmcnt(2)
	v_pk_fma_f16 v70, v52, v62, v70 op_sel_hi:[1,0,1]
	v_pk_fma_f16 v71, v52, v62, v71 op_sel:[0,1,0]
	v_pk_fma_f16 v72, v52, v63, v72 op_sel_hi:[1,0,1]
	v_pk_fma_f16 v73, v52, v63, v73 op_sel:[0,1,0]
	v_pk_fma_f16 v74, v52, v64, v74 op_sel_hi:[1,0,1]
	v_pk_fma_f16 v75, v52, v64, v75 op_sel:[0,1,0]
	v_pk_fma_f16 v76, v52, v65, v76 op_sel_hi:[1,0,1]
	v_pk_fma_f16 v50, v52, v65, v50 op_sel:[0,1,0]
	v_pk_fma_f16 v52, v53, v62, v94 op_sel_hi:[1,0,1]
	v_pk_fma_f16 v62, v53, v62, v54 op_sel:[0,1,0]
	v_pk_fma_f16 v90, v53, v63, v90 op_sel_hi:[1,0,1]
	v_pk_fma_f16 v63, v53, v63, v55 op_sel:[0,1,0]
	v_pk_fma_f16 v91, v53, v64, v91 op_sel_hi:[1,0,1]
	v_pk_fma_f16 v64, v53, v64, v56 op_sel:[0,1,0]
	ds_load_b128 v[54:57], v42 offset:976
	v_pk_fma_f16 v92, v53, v65, v92 op_sel_hi:[1,0,1]
	v_pk_fma_f16 v53, v53, v65, v51 op_sel:[0,1,0]
	s_waitcnt lgkmcnt(1)
	v_pk_fma_f16 v70, v58, v66, v70 op_sel_hi:[1,0,1]
	v_pk_fma_f16 v71, v58, v66, v71 op_sel:[0,1,0]
	v_pk_fma_f16 v72, v58, v67, v72 op_sel_hi:[1,0,1]
	v_pk_fma_f16 v73, v58, v67, v73 op_sel:[0,1,0]
	;; [unrolled: 2-line block ×7, first 2 shown]
	ds_load_2addr_b64 v[62:65], v49 offset0:192 offset1:224
	ds_load_b128 v[49:52], v42 offset:992
	v_pk_fma_f16 v92, v59, v69, v92 op_sel_hi:[1,0,1]
	v_pk_fma_f16 v53, v59, v69, v53 op_sel:[0,1,0]
	s_waitcnt lgkmcnt(2)
	v_pk_fma_f16 v59, v60, v54, v70 op_sel_hi:[1,0,1]
	v_pk_fma_f16 v70, v60, v54, v71 op_sel:[0,1,0]
	v_pk_fma_f16 v71, v60, v55, v72 op_sel_hi:[1,0,1]
	v_pk_fma_f16 v72, v60, v55, v73 op_sel:[0,1,0]
	;; [unrolled: 2-line block ×7, first 2 shown]
	ds_load_b128 v[66:69], v42 offset:1008
	s_waitcnt lgkmcnt(0)
	s_barrier
	buffer_gl0_inv
	s_load_b32 s19, s[4:5], 0x4
	v_pk_fma_f16 v91, v61, v57, v92 op_sel_hi:[1,0,1]
	v_pk_fma_f16 v53, v61, v57, v53 op_sel:[0,1,0]
	v_pk_fma_f16 v57, v62, v49, v59 op_sel_hi:[1,0,1]
	v_pk_fma_f16 v59, v62, v49, v70 op_sel:[0,1,0]
	v_pk_fma_f16 v70, v62, v50, v71 op_sel_hi:[1,0,1]
	v_pk_fma_f16 v71, v62, v50, v72 op_sel:[0,1,0]
	v_pk_fma_f16 v72, v62, v51, v73 op_sel_hi:[1,0,1]
	v_pk_fma_f16 v73, v62, v51, v74 op_sel:[0,1,0]
	v_pk_fma_f16 v74, v62, v52, v75 op_sel_hi:[1,0,1]
	v_pk_fma_f16 v58, v62, v52, v58 op_sel:[0,1,0]
	v_pk_fma_f16 v60, v63, v49, v60 op_sel_hi:[1,0,1]
	v_pk_fma_f16 v49, v63, v49, v54 op_sel:[0,1,0]
	v_pk_fma_f16 v54, v63, v50, v76 op_sel_hi:[1,0,1]
	v_pk_fma_f16 v75, v63, v50, v55 op_sel:[0,1,0]
	v_pk_fma_f16 v76, v63, v51, v90 op_sel_hi:[1,0,1]
	v_pk_fma_f16 v90, v63, v51, v56 op_sel:[0,1,0]
	v_pk_fma_f16 v91, v63, v52, v91 op_sel_hi:[1,0,1]
	v_pk_fma_f16 v92, v63, v52, v53 op_sel:[0,1,0]
	v_pk_fma_f16 v63, v64, v66, v57 op_sel_hi:[1,0,1]
	s_waitcnt lgkmcnt(0)
	s_lshl_b32 s19, s19, 6
	v_pk_fma_f16 v61, v64, v66, v59 op_sel:[0,1,0]
	v_pk_fma_f16 v59, v64, v67, v70 op_sel_hi:[1,0,1]
	v_pk_fma_f16 v57, v64, v67, v71 op_sel:[0,1,0]
	v_pk_fma_f16 v55, v64, v68, v72 op_sel_hi:[1,0,1]
	;; [unrolled: 2-line block ×7, first 2 shown]
	v_pk_fma_f16 v49, v65, v69, v92 op_sel:[0,1,0]
	s_add_i32 s3, s19, s3
	s_delay_alu instid0(SALU_CYCLE_1)
	s_cmp_ge_i32 s3, s34
	s_cbranch_scc1 .LBB80_75
; %bb.74:                               ;   in Loop: Header=BB80_9 Depth=1
	v_dual_mov_b32 v75, v0 :: v_dual_mov_b32 v76, v1
	v_dual_mov_b32 v73, v2 :: v_dual_mov_b32 v72, v3
	;; [unrolled: 1-line block ×8, first 2 shown]
	s_branch .LBB80_9
.LBB80_75:
	v_mov_b32_e32 v10, v16
.LBB80_76:
	v_cmp_lt_i32_e32 vcc_lo, v86, v17
	s_cmp_lg_u64 s[24:25], 0
	s_cselect_b32 s3, -1, 0
	s_cmp_eq_u32 s14, 0
	v_cndmask_b32_e32 v8, v10, v86, vcc_lo
	v_cmp_lt_i32_e32 vcc_lo, v84, v17
	s_cselect_b32 s4, -1, 0
	s_delay_alu instid0(SALU_CYCLE_1) | instskip(NEXT) | instid1(VALU_DEP_2)
	s_and_b32 s3, s4, s3
	v_lshlrev_b32_e32 v8, 2, v8
	ds_bpermute_b32 v11, v8, v78
	s_waitcnt lgkmcnt(0)
	v_add_f32_e32 v11, v78, v11
	ds_bpermute_b32 v9, v8, v77
	ds_bpermute_b32 v13, v8, v80
	ds_bpermute_b32 v15, v8, v87
	v_cndmask_b32_e32 v18, v10, v84, vcc_lo
	ds_bpermute_b32 v12, v8, v79
	ds_bpermute_b32 v14, v8, v85
	;; [unrolled: 1-line block ×4, first 2 shown]
	v_cmp_lt_i32_e32 vcc_lo, v83, v17
	s_waitcnt lgkmcnt(6)
	v_add_f32_e32 v9, v77, v9
	s_waitcnt lgkmcnt(5)
	v_dual_add_f32 v13, v80, v13 :: v_dual_lshlrev_b32 v18, 2, v18
	s_waitcnt lgkmcnt(4)
	v_add_f32_e32 v15, v87, v15
	ds_bpermute_b32 v19, v18, v9
	s_waitcnt lgkmcnt(4)
	v_add_f32_e32 v12, v79, v12
	ds_bpermute_b32 v22, v18, v13
	ds_bpermute_b32 v40, v18, v15
	v_cndmask_b32_e32 v42, v10, v83, vcc_lo
	s_waitcnt lgkmcnt(3)
	v_add_f32_e32 v8, v88, v8
	ds_bpermute_b32 v20, v18, v11
	v_add_f32_e32 v14, v85, v14
	v_cmp_lt_i32_e32 vcc_lo, v82, v17
	s_waitcnt lgkmcnt(3)
	v_add_f32_e32 v9, v9, v19
	ds_bpermute_b32 v21, v18, v12
	s_waitcnt lgkmcnt(3)
	v_add_f32_e32 v13, v13, v22
	s_waitcnt lgkmcnt(2)
	v_dual_add_f32 v15, v15, v40 :: v_dual_lshlrev_b32 v42, 2, v42
	s_waitcnt lgkmcnt(1)
	v_add_f32_e32 v11, v11, v20
	ds_bpermute_b32 v23, v18, v14
	s_waitcnt lgkmcnt(1)
	v_add_f32_e32 v12, v12, v21
	ds_bpermute_b32 v21, v42, v13
	;; [unrolled: 3-line block ×3, first 2 shown]
	s_waitcnt lgkmcnt(0)
	v_dual_add_f32 v16, v89, v16 :: v_dual_add_f32 v11, v11, v19
	ds_bpermute_b32 v41, v18, v16
	ds_bpermute_b32 v18, v18, v8
	s_waitcnt lgkmcnt(0)
	v_add_f32_e32 v8, v8, v18
	ds_bpermute_b32 v18, v42, v9
	s_waitcnt lgkmcnt(0)
	v_dual_add_f32 v9, v9, v18 :: v_dual_add_f32 v14, v14, v23
	ds_bpermute_b32 v23, v42, v15
	v_add_f32_e32 v16, v16, v41
	ds_bpermute_b32 v20, v42, v12
	ds_bpermute_b32 v41, v42, v8
	;; [unrolled: 1-line block ×3, first 2 shown]
	s_waitcnt lgkmcnt(3)
	v_add_f32_e32 v15, v15, v23
	ds_bpermute_b32 v40, v42, v16
	v_cndmask_b32_e32 v42, v10, v82, vcc_lo
	v_cmp_lt_i32_e32 vcc_lo, v81, v17
	s_delay_alu instid0(VALU_DEP_2)
	v_lshlrev_b32_e32 v42, 2, v42
	ds_bpermute_b32 v23, v42, v15
	s_waitcnt lgkmcnt(0)
	v_add_f32_e32 v15, v15, v23
	ds_bpermute_b32 v19, v42, v11
	ds_bpermute_b32 v21, v42, v13
	;; [unrolled: 1-line block ×3, first 2 shown]
	s_waitcnt lgkmcnt(2)
	v_add_f32_e32 v11, v11, v19
	s_waitcnt lgkmcnt(1)
	v_add_f32_e32 v13, v13, v21
	s_waitcnt lgkmcnt(0)
	v_dual_add_f32 v8, v8, v41 :: v_dual_add_f32 v9, v9, v18
	ds_bpermute_b32 v41, v42, v8
	s_waitcnt lgkmcnt(0)
	v_dual_add_f32 v14, v14, v22 :: v_dual_add_f32 v17, v8, v41
	v_cndmask_b32_e32 v10, v10, v81, vcc_lo
	ds_bpermute_b32 v22, v42, v14
	s_and_b32 vcc_lo, exec_lo, s3
	v_lshlrev_b32_e32 v10, 2, v10
	ds_bpermute_b32 v8, v10, v9
	ds_bpermute_b32 v18, v10, v11
	v_add_f32_e32 v12, v12, v20
	s_waitcnt lgkmcnt(2)
	v_add_f32_e32 v14, v14, v22
	ds_bpermute_b32 v22, v10, v15
	v_add_f32_e32 v16, v16, v40
	ds_bpermute_b32 v21, v10, v14
	s_waitcnt lgkmcnt(2)
	v_dual_add_f32 v8, v9, v8 :: v_dual_add_f32 v9, v11, v18
	ds_bpermute_b32 v20, v42, v12
	s_waitcnt lgkmcnt(0)
	v_add_f32_e32 v12, v12, v20
	ds_bpermute_b32 v20, v10, v13
	ds_bpermute_b32 v19, v10, v12
	s_waitcnt lgkmcnt(1)
	v_add_f32_e32 v11, v13, v20
	v_add_f32_e32 v13, v15, v22
	ds_bpermute_b32 v40, v42, v16
	s_waitcnt lgkmcnt(0)
	v_add_f32_e32 v16, v16, v40
	ds_bpermute_b32 v40, v10, v17
	ds_bpermute_b32 v23, v10, v16
	v_add_f32_e32 v10, v12, v19
	s_waitcnt lgkmcnt(1)
	v_dual_add_f32 v12, v14, v21 :: v_dual_add_f32 v15, v17, v40
	s_waitcnt lgkmcnt(0)
	v_add_f32_e32 v14, v16, v23
	s_cbranch_vccz .LBB80_79
; %bb.77:
	s_ashr_i32 s3, s2, 31
	v_dual_mov_b32 v16, 0 :: v_dual_max_f32 v17, v1, v1
	s_lshl_b64 s[4:5], s[2:3], 2
	v_dual_max_f32 v20, v4, v4 :: v_dual_max_f32 v21, v5, v5
	s_add_u32 s4, s24, s4
	s_addc_u32 s5, s25, s5
	v_max_f32_e32 v19, v3, v3
	global_load_b64 v[40:41], v16, s[4:5]
	v_max_f32_e32 v16, v0, v0
	v_dual_max_f32 v18, v2, v2 :: v_dual_max_f32 v43, v7, v7
	s_waitcnt vmcnt(0)
	v_dual_max_f32 v23, v41, v41 :: v_dual_max_f32 v22, v40, v40
	s_delay_alu instid0(VALU_DEP_1) | instskip(NEXT) | instid1(VALU_DEP_2)
	v_dual_max_f32 v42, v6, v6 :: v_dual_max_f32 v17, v17, v23
	v_dual_max_f32 v16, v16, v22 :: v_dual_max_f32 v19, v19, v23
	;; [unrolled: 1-line block ×4, first 2 shown]
	s_delay_alu instid0(VALU_DEP_3) | instskip(SKIP_1) | instid1(VALU_DEP_4)
	v_dual_max_f32 v22, v42, v22 :: v_dual_sub_f32 v43, v40, v16
	v_dual_sub_f32 v42, v0, v16 :: v_dual_sub_f32 v45, v41, v17
	v_dual_sub_f32 v44, v1, v17 :: v_dual_sub_f32 v47, v40, v18
	;; [unrolled: 1-line block ×7, first 2 shown]
	v_dual_mov_b32 v0, v16 :: v_dual_mov_b32 v3, v19
	v_dual_sub_f32 v40, v40, v22 :: v_dual_mov_b32 v1, v17
	v_dual_mov_b32 v2, v18 :: v_dual_mov_b32 v5, v21
	v_dual_mov_b32 v4, v20 :: v_dual_mov_b32 v7, v23
	v_dual_mov_b32 v6, v22 :: v_dual_mul_f32 v17, 0x3fb8aa3b, v43
	v_dual_mul_f32 v16, 0x3fb8aa3b, v42 :: v_dual_mul_f32 v19, 0x3fb8aa3b, v45
	v_dual_mul_f32 v22, 0x3fb8aa3b, v48 :: v_dual_mul_f32 v73, 0x3fb8aa3b, v67
	;; [unrolled: 1-line block ×3, first 2 shown]
	s_delay_alu instid0(VALU_DEP_3)
	v_fma_f32 v80, 0x3fb8aa3b, v42, -v16
	v_rndne_f32_e32 v81, v16
	v_fma_f32 v82, 0x3fb8aa3b, v43, -v17
	v_rndne_f32_e32 v83, v17
	;; [unrolled: 2-line block ×3, first 2 shown]
	v_rndne_f32_e32 v99, v73
	s_delay_alu instid0(VALU_DEP_4) | instskip(NEXT) | instid1(VALU_DEP_3)
	v_dual_fmac_f32 v80, 0x32a5705f, v42 :: v_dual_sub_f32 v17, v17, v83
	v_dual_sub_f32 v16, v16, v81 :: v_dual_sub_f32 v19, v19, v87
	v_dual_mul_f32 v20, 0x3fb8aa3b, v46 :: v_dual_mul_f32 v23, 0x3fb8aa3b, v65
	v_fma_f32 v84, 0x3fb8aa3b, v44, -v18
	v_rndne_f32_e32 v85, v18
	v_fma_f32 v98, 0x3fb8aa3b, v67, -v73
	v_dual_fmac_f32 v86, 0x32a5705f, v45 :: v_dual_sub_f32 v73, v73, v99
	v_fmac_f32_e32 v82, 0x32a5705f, v43
	v_add_f32_e32 v16, v16, v80
	v_dual_mul_f32 v76, 0x3fb8aa3b, v70 :: v_dual_mul_f32 v77, 0x3fb8aa3b, v40
	v_rndne_f32_e32 v91, v21
	v_rndne_f32_e32 v95, v23
	v_fmac_f32_e32 v84, 0x32a5705f, v44
	v_dual_sub_f32 v18, v18, v85 :: v_dual_add_f32 v19, v19, v86
	v_dual_mul_f32 v78, 0x3fb8aa3b, v71 :: v_dual_add_f32 v17, v17, v82
	v_exp_f32_e32 v16, v16
	v_dual_mul_f32 v72, 0x3fb8aa3b, v66 :: v_dual_mul_f32 v75, 0x3fb8aa3b, v69
	v_fma_f32 v88, 0x3fb8aa3b, v46, -v20
	v_rndne_f32_e32 v89, v20
	v_fma_f32 v90, 0x3fb8aa3b, v47, -v21
	v_fma_f32 v94, 0x3fb8aa3b, v65, -v23
	;; [unrolled: 1-line block ×3, first 2 shown]
	v_rndne_f32_e32 v107, v77
	v_cvt_i32_f32_e32 v81, v81
	v_sub_f32_e32 v21, v21, v91
	v_dual_sub_f32 v23, v23, v95 :: v_dual_add_f32 v18, v18, v84
	v_exp_f32_e32 v17, v17
	v_rndne_f32_e32 v103, v75
	v_cvt_i32_f32_e32 v83, v83
	v_fmac_f32_e32 v88, 0x32a5705f, v46
	v_dual_sub_f32 v20, v20, v89 :: v_dual_sub_f32 v77, v77, v107
	v_fmac_f32_e32 v106, 0x32a5705f, v40
	v_fmac_f32_e32 v98, 0x32a5705f, v67
	v_exp_f32_e32 v18, v18
	v_ldexp_f32 v16, v16, v81
	v_cmp_ngt_f32_e32 vcc_lo, 0xc2ce8ed0, v42
	v_dual_add_f32 v77, v77, v106 :: v_dual_mul_f32 v74, 0x3fb8aa3b, v68
	v_mul_f32_e32 v79, 0x3fb8aa3b, v41
	v_fma_f32 v92, 0x3fb8aa3b, v48, -v22
	v_rndne_f32_e32 v93, v22
	v_fma_f32 v96, 0x3fb8aa3b, v66, -v72
	v_fma_f32 v102, 0x3fb8aa3b, v69, -v75
	v_cvt_i32_f32_e32 v85, v85
	v_dual_fmac_f32 v94, 0x32a5705f, v65 :: v_dual_add_f32 v73, v73, v98
	v_fmac_f32_e32 v90, 0x32a5705f, v47
	v_dual_sub_f32 v75, v75, v103 :: v_dual_add_f32 v20, v20, v88
	v_exp_f32_e32 v19, v19
	v_ldexp_f32 v17, v17, v83
	v_cndmask_b32_e32 v16, 0, v16, vcc_lo
	v_cmp_ngt_f32_e32 vcc_lo, 0xc2ce8ed0, v43
	v_rndne_f32_e32 v111, v79
	v_cvt_i32_f32_e32 v87, v87
	v_fmac_f32_e32 v92, 0x32a5705f, v48
	v_dual_fmac_f32 v96, 0x32a5705f, v66 :: v_dual_cndmask_b32 v17, 0, v17
	v_dual_add_f32 v23, v23, v94 :: v_dual_sub_f32 v22, v22, v93
	v_add_f32_e32 v21, v21, v90
	v_exp_f32_e32 v20, v20
	v_ldexp_f32 v18, v18, v85
	v_cmp_ngt_f32_e32 vcc_lo, 0xc2ce8ed0, v44
	v_rndne_f32_e32 v101, v74
	v_fma_f32 v110, 0x3fb8aa3b, v41, -v79
	v_cvt_i32_f32_e32 v89, v89
	v_dual_sub_f32 v79, v79, v111 :: v_dual_add_f32 v22, v22, v92
	v_exp_f32_e32 v21, v21
	v_ldexp_f32 v19, v19, v87
	v_cndmask_b32_e32 v18, 0, v18, vcc_lo
	v_cmp_ngt_f32_e32 vcc_lo, 0xc2ce8ed0, v45
	v_fma_f32 v100, 0x3fb8aa3b, v68, -v74
	v_cvt_i32_f32_e32 v91, v91
	v_sub_f32_e32 v74, v74, v101
	v_exp_f32_e32 v22, v22
	v_cndmask_b32_e32 v19, 0, v19, vcc_lo
	v_ldexp_f32 v20, v20, v89
	v_cmp_ngt_f32_e32 vcc_lo, 0xc2ce8ed0, v46
	v_fma_f32 v104, 0x3fb8aa3b, v70, -v76
	v_cvt_i32_f32_e32 v93, v93
	v_exp_f32_e32 v23, v23
	v_ldexp_f32 v21, v21, v91
	v_cndmask_b32_e32 v20, 0, v20, vcc_lo
	v_cmp_ngt_f32_e32 vcc_lo, 0xc2ce8ed0, v47
	v_cvt_i32_f32_e32 v95, v95
	v_fmac_f32_e32 v104, 0x32a5705f, v70
	v_ldexp_f32 v22, v22, v93
	v_rndne_f32_e32 v97, v72
	v_cndmask_b32_e32 v21, 0, v21, vcc_lo
	v_cmp_ngt_f32_e32 vcc_lo, 0xc2ce8ed0, v48
	v_ldexp_f32 v23, v23, v95
	v_fmac_f32_e32 v110, 0x32a5705f, v41
	v_fmac_f32_e32 v100, 0x32a5705f, v68
	v_exp_f32_e32 v73, v73
	v_cndmask_b32_e32 v22, 0, v22, vcc_lo
	v_cmp_ngt_f32_e32 vcc_lo, 0xc2ce8ed0, v65
	v_dual_fmac_f32 v102, 0x32a5705f, v69 :: v_dual_add_f32 v79, v79, v110
	v_add_f32_e32 v74, v74, v100
	v_cvt_i32_f32_e32 v99, v99
	v_dual_cndmask_b32 v23, 0, v23 :: v_dual_sub_f32 v72, v72, v97
	s_delay_alu instid0(VALU_DEP_4)
	v_add_f32_e32 v75, v75, v102
	v_cvt_i32_f32_e32 v97, v97
	v_exp_f32_e32 v74, v74
	v_cmp_ngt_f32_e32 vcc_lo, 0xc2ce8ed0, v66
	v_add_f32_e32 v72, v72, v96
	v_cvt_i32_f32_e32 v101, v101
	v_exp_f32_e32 v75, v75
	v_ldexp_f32 v73, v73, v99
	v_rndne_f32_e32 v105, v76
	v_exp_f32_e32 v72, v72
	v_cvt_i32_f32_e32 v103, v103
	v_exp_f32_e32 v77, v77
	v_ldexp_f32 v74, v74, v101
	v_exp_f32_e32 v79, v79
	v_fma_f32 v108, 0x3fb8aa3b, v71, -v78
	v_rndne_f32_e32 v109, v78
	v_ldexp_f32 v75, v75, v103
	v_cvt_i32_f32_e32 v107, v107
	v_cvt_i32_f32_e32 v111, v111
	v_ldexp_f32 v72, v72, v97
	s_delay_alu instid0(TRANS32_DEP_2) | instid1(VALU_DEP_3)
	v_ldexp_f32 v77, v77, v107
	s_delay_alu instid0(TRANS32_DEP_1) | instid1(VALU_DEP_3)
	v_ldexp_f32 v79, v79, v111
	s_delay_alu instid0(VALU_DEP_3)
	v_cndmask_b32_e32 v72, 0, v72, vcc_lo
	v_cmp_ngt_f32_e32 vcc_lo, 0xc2ce8ed0, v67
	v_sub_f32_e32 v78, v78, v109
	v_cvt_i32_f32_e32 v109, v109
	v_cndmask_b32_e32 v73, 0, v73, vcc_lo
	v_cmp_ngt_f32_e32 vcc_lo, 0xc2ce8ed0, v68
	v_cndmask_b32_e32 v74, 0, v74, vcc_lo
	v_cmp_ngt_f32_e32 vcc_lo, 0xc2ce8ed0, v69
	v_sub_f32_e32 v76, v76, v105
	v_cvt_i32_f32_e32 v105, v105
	s_delay_alu instid0(VALU_DEP_2) | instskip(SKIP_1) | instid1(VALU_DEP_2)
	v_dual_cndmask_b32 v75, 0, v75 :: v_dual_add_f32 v76, v76, v104
	v_cmp_ngt_f32_e32 vcc_lo, 0xc2ce8ed0, v70
	v_exp_f32_e32 v76, v76
	s_waitcnt_depctr 0xfff
	v_ldexp_f32 v76, v76, v105
	s_delay_alu instid0(VALU_DEP_1) | instskip(SKIP_2) | instid1(VALU_DEP_1)
	v_cndmask_b32_e32 v76, 0, v76, vcc_lo
	v_cmp_ngt_f32_e32 vcc_lo, 0xc2ce8ed0, v40
	v_dual_fmac_f32 v108, 0x32a5705f, v71 :: v_dual_cndmask_b32 v77, 0, v77
	v_add_f32_e32 v78, v78, v108
	v_cmp_ngt_f32_e32 vcc_lo, 0xc2ce8ed0, v71
	s_delay_alu instid0(VALU_DEP_2) | instskip(SKIP_2) | instid1(VALU_DEP_1)
	v_exp_f32_e32 v78, v78
	s_waitcnt_depctr 0xfff
	v_ldexp_f32 v78, v78, v109
	v_cndmask_b32_e32 v78, 0, v78, vcc_lo
	v_cmp_ngt_f32_e32 vcc_lo, 0xc2ce8ed0, v41
	v_cndmask_b32_e32 v79, 0, v79, vcc_lo
	v_cmp_nlt_f32_e32 vcc_lo, 0x42b17218, v42
	v_cndmask_b32_e32 v42, 0x7f800000, v16, vcc_lo
	v_cmp_nlt_f32_e32 vcc_lo, 0x42b17218, v43
	;; [unrolled: 2-line block ×3, first 2 shown]
	s_delay_alu instid0(VALU_DEP_2)
	v_fmac_f32_e32 v16, v8, v42
	v_cndmask_b32_e32 v43, 0x7f800000, v18, vcc_lo
	v_cmp_nlt_f32_e32 vcc_lo, 0x42b17218, v45
	v_cvt_f16_f32_e32 v8, v42
	v_cndmask_b32_e32 v17, 0x7f800000, v19, vcc_lo
	v_cmp_nlt_f32_e32 vcc_lo, 0x42b17218, v46
	s_delay_alu instid0(VALU_DEP_3) | instskip(SKIP_1) | instid1(VALU_DEP_4)
	v_pk_mul_f16 v63, v8, v63 op_sel_hi:[0,1]
	v_pk_mul_f16 v64, v8, v64 op_sel_hi:[0,1]
	v_dual_mov_b32 v8, v16 :: v_dual_fmac_f32 v17, v9, v43
	v_cvt_f16_f32_e32 v9, v43
	s_delay_alu instid0(VALU_DEP_1) | instskip(SKIP_1) | instid1(VALU_DEP_4)
	v_pk_mul_f16 v61, v9, v61 op_sel_hi:[0,1]
	v_pk_mul_f16 v62, v9, v62 op_sel_hi:[0,1]
	v_dual_mov_b32 v9, v17 :: v_dual_cndmask_b32 v44, 0x7f800000, v20
	v_cmp_nlt_f32_e32 vcc_lo, 0x42b17218, v47
	v_cndmask_b32_e32 v18, 0x7f800000, v21, vcc_lo
	v_cmp_nlt_f32_e32 vcc_lo, 0x42b17218, v48
	s_delay_alu instid0(VALU_DEP_2) | instskip(SKIP_4) | instid1(VALU_DEP_3)
	v_dual_fmac_f32 v18, v10, v44 :: v_dual_cndmask_b32 v45, 0x7f800000, v22
	v_cmp_nlt_f32_e32 vcc_lo, 0x42b17218, v65
	v_cvt_f16_f32_e32 v10, v44
	v_cndmask_b32_e32 v19, 0x7f800000, v23, vcc_lo
	v_cmp_nlt_f32_e32 vcc_lo, 0x42b17218, v66
	v_pk_mul_f16 v59, v10, v59 op_sel_hi:[0,1]
	v_pk_mul_f16 v60, v10, v60 op_sel_hi:[0,1]
	s_delay_alu instid0(VALU_DEP_4)
	v_dual_mov_b32 v10, v18 :: v_dual_fmac_f32 v19, v11, v45
	v_cndmask_b32_e32 v46, 0x7f800000, v72, vcc_lo
	v_cmp_nlt_f32_e32 vcc_lo, 0x42b17218, v67
	v_cvt_f16_f32_e32 v11, v45
	v_cndmask_b32_e32 v20, 0x7f800000, v73, vcc_lo
	v_cmp_nlt_f32_e32 vcc_lo, 0x42b17218, v68
	s_delay_alu instid0(VALU_DEP_3) | instskip(SKIP_1) | instid1(VALU_DEP_4)
	v_pk_mul_f16 v57, v11, v57 op_sel_hi:[0,1]
	v_pk_mul_f16 v58, v11, v58 op_sel_hi:[0,1]
	v_dual_mov_b32 v11, v19 :: v_dual_fmac_f32 v20, v12, v46
	v_cndmask_b32_e32 v47, 0x7f800000, v74, vcc_lo
	v_cmp_nlt_f32_e32 vcc_lo, 0x42b17218, v69
	v_cvt_f16_f32_e32 v12, v46
	v_cndmask_b32_e32 v21, 0x7f800000, v75, vcc_lo
	v_cmp_nlt_f32_e32 vcc_lo, 0x42b17218, v70
	s_delay_alu instid0(VALU_DEP_3) | instskip(SKIP_1) | instid1(VALU_DEP_4)
	v_pk_mul_f16 v55, v12, v55 op_sel_hi:[0,1]
	v_pk_mul_f16 v56, v12, v56 op_sel_hi:[0,1]
	;; [unrolled: 9-line block ×3, first 2 shown]
	v_dual_mov_b32 v13, v21 :: v_dual_fmac_f32 v22, v14, v48
	v_cndmask_b32_e32 v40, 0x7f800000, v78, vcc_lo
	v_cmp_nlt_f32_e32 vcc_lo, 0x42b17218, v41
	v_cvt_f16_f32_e32 v14, v48
	v_cndmask_b32_e32 v23, 0x7f800000, v79, vcc_lo
	s_delay_alu instid0(VALU_DEP_2) | instskip(SKIP_1) | instid1(VALU_DEP_3)
	v_pk_mul_f16 v51, v14, v51 op_sel_hi:[0,1]
	v_pk_mul_f16 v52, v14, v52 op_sel_hi:[0,1]
	v_dual_mov_b32 v14, v22 :: v_dual_fmac_f32 v23, v15, v40
	v_cvt_f16_f32_e32 v15, v40
	s_delay_alu instid0(VALU_DEP_1) | instskip(SKIP_1) | instid1(VALU_DEP_4)
	v_pk_mul_f16 v50, v15, v50 op_sel_hi:[0,1]
	v_pk_mul_f16 v49, v15, v49 op_sel_hi:[0,1]
	v_mov_b32_e32 v15, v23
	s_mov_b32 s3, exec_lo
	v_cmpx_gt_i32_e64 s6, v25
	s_cbranch_execnz .LBB80_80
.LBB80_78:
	s_nop 0
	s_sendmsg sendmsg(MSG_DEALLOC_VGPRS)
	s_endpgm
.LBB80_79:
	s_delay_alu instid0(VALU_DEP_1)
	v_dual_mov_b32 v23, v15 :: v_dual_mov_b32 v22, v14
	v_dual_mov_b32 v21, v13 :: v_dual_mov_b32 v20, v12
	;; [unrolled: 1-line block ×4, first 2 shown]
	s_mov_b32 s3, exec_lo
	v_cmpx_gt_i32_e64 s6, v25
	s_cbranch_execz .LBB80_78
.LBB80_80:
	s_load_b32 s1, s[0:1], 0xd4
	v_mov_b32_e32 v40, 1.0
	s_waitcnt lgkmcnt(0)
	s_cmp_lg_u32 s1, 1
	s_cselect_b32 s4, -1, 0
	s_cmp_eq_u32 s1, 1
	s_cselect_b32 s5, -1, 0
	s_and_b32 vcc_lo, exec_lo, s4
	s_cbranch_vccnz .LBB80_82
; %bb.81:
	v_div_scale_f32 v25, null, v8, v8, 1.0
	s_delay_alu instid0(VALU_DEP_1) | instskip(SKIP_2) | instid1(VALU_DEP_1)
	v_rcp_f32_e32 v40, v25
	s_waitcnt_depctr 0xfff
	v_fma_f32 v41, -v25, v40, 1.0
	v_fmac_f32_e32 v40, v41, v40
	v_div_scale_f32 v41, vcc_lo, 1.0, v8, 1.0
	s_delay_alu instid0(VALU_DEP_1) | instskip(NEXT) | instid1(VALU_DEP_1)
	v_mul_f32_e32 v42, v41, v40
	v_fma_f32 v43, -v25, v42, v41
	s_delay_alu instid0(VALU_DEP_1) | instskip(NEXT) | instid1(VALU_DEP_1)
	v_fmac_f32_e32 v42, v43, v40
	v_fma_f32 v25, -v25, v42, v41
	s_delay_alu instid0(VALU_DEP_1) | instskip(NEXT) | instid1(VALU_DEP_1)
	v_div_fmas_f32 v25, v25, v40, v42
	v_div_fixup_f32 v40, v25, v8, 1.0
.LBB80_82:
	s_mul_i32 s3, s12, s6
	v_cvt_f32_f16_e32 v43, v63
	s_add_i32 s3, s3, s15
	v_cmp_eq_u32_e32 vcc_lo, 0, v39
	v_add_nc_u32_e32 v8, s3, v24
	v_lshrrev_b32_e32 v39, 16, v64
	v_cvt_f32_f16_e32 v44, v64
	v_mov_b32_e32 v42, 0
	s_and_b32 s4, vcc_lo, s4
	v_mul_lo_u32 v8, v8, s7
	v_cvt_f32_f16_e32 v39, v39
	s_delay_alu instid0(VALU_DEP_2) | instskip(NEXT) | instid1(VALU_DEP_1)
	v_add_nc_u32_e32 v41, s2, v8
	v_mad_u64_u32 v[24:25], null, s1, v41, s[14:15]
	v_lshrrev_b32_e32 v25, 16, v63
	s_delay_alu instid0(VALU_DEP_1) | instskip(NEXT) | instid1(VALU_DEP_3)
	v_cvt_f32_f16_e32 v25, v25
	v_lshl_add_u32 v41, v24, 7, v33
	s_delay_alu instid0(VALU_DEP_1)
	v_lshlrev_b64 v[45:46], 2, v[41:42]
	v_mul_f32_e32 v41, v40, v43
	v_mul_f32_e32 v43, v40, v44
	;; [unrolled: 1-line block ×4, first 2 shown]
	v_add_co_u32 v39, s0, s28, v45
	s_delay_alu instid0(VALU_DEP_1)
	v_add_co_ci_u32_e64 v40, s0, s29, v46, s0
	global_store_b128 v[39:40], v[41:44], off
	s_and_saveexec_b32 s0, s4
	s_cbranch_execz .LBB80_84
; %bb.83:
	v_ashrrev_i32_e32 v25, 31, v24
	v_mov_b32_e32 v39, v0
	v_mov_b32_e32 v40, v16
	s_delay_alu instid0(VALU_DEP_3) | instskip(NEXT) | instid1(VALU_DEP_1)
	v_lshlrev_b64 v[24:25], 3, v[24:25]
	v_add_co_u32 v24, vcc_lo, s30, v24
	s_delay_alu instid0(VALU_DEP_2)
	v_add_co_ci_u32_e32 v25, vcc_lo, s31, v25, vcc_lo
	global_store_b64 v[24:25], v[39:40], off
.LBB80_84:
	s_or_b32 exec_lo, exec_lo, s0
	v_cndmask_b32_e64 v24, 0, 1, s5
	v_mov_b32_e32 v0, 1.0
	s_and_not1_b32 vcc_lo, exec_lo, s5
	s_cbranch_vccnz .LBB80_86
; %bb.85:
	v_div_scale_f32 v0, null, v9, v9, 1.0
	s_delay_alu instid0(VALU_DEP_1) | instskip(SKIP_2) | instid1(VALU_DEP_1)
	v_rcp_f32_e32 v16, v0
	s_waitcnt_depctr 0xfff
	v_fma_f32 v25, -v0, v16, 1.0
	v_fmac_f32_e32 v16, v25, v16
	v_div_scale_f32 v25, vcc_lo, 1.0, v9, 1.0
	s_delay_alu instid0(VALU_DEP_1) | instskip(NEXT) | instid1(VALU_DEP_1)
	v_mul_f32_e32 v39, v25, v16
	v_fma_f32 v40, -v0, v39, v25
	s_delay_alu instid0(VALU_DEP_1) | instskip(NEXT) | instid1(VALU_DEP_1)
	v_fmac_f32_e32 v39, v40, v16
	v_fma_f32 v0, -v0, v39, v25
	s_delay_alu instid0(VALU_DEP_1) | instskip(NEXT) | instid1(VALU_DEP_1)
	v_div_fmas_f32 v0, v0, v16, v39
	v_div_fixup_f32 v0, v0, v9, 1.0
.LBB80_86:
	s_add_i32 s0, s2, 1
	v_cvt_f32_f16_e32 v25, v61
	v_add_nc_u32_e32 v16, s0, v8
	v_cvt_f32_f16_e32 v41, v62
	v_mov_b32_e32 v40, 0
	s_delay_alu instid0(VALU_DEP_3) | instskip(NEXT) | instid1(VALU_DEP_3)
	v_mad_u64_u32 v[8:9], null, s1, v16, s[14:15]
	v_mul_f32_e32 v41, v0, v41
	v_lshrrev_b32_e32 v9, 16, v61
	v_lshrrev_b32_e32 v16, 16, v62
	s_delay_alu instid0(VALU_DEP_2) | instskip(SKIP_1) | instid1(VALU_DEP_3)
	v_cvt_f32_f16_e32 v9, v9
	v_lshl_add_u32 v39, v8, 7, v33
	v_cvt_f32_f16_e32 v16, v16
	s_delay_alu instid0(VALU_DEP_2) | instskip(SKIP_2) | instid1(VALU_DEP_4)
	v_lshlrev_b64 v[43:44], 2, v[39:40]
	v_mul_f32_e32 v39, v0, v25
	v_mul_f32_e32 v40, v0, v9
	;; [unrolled: 1-line block ×3, first 2 shown]
	s_delay_alu instid0(VALU_DEP_4)
	v_add_co_u32 v43, vcc_lo, s28, v43
	v_add_co_ci_u32_e32 v44, vcc_lo, s29, v44, vcc_lo
	global_store_b128 v[43:44], v[39:42], off
	s_and_saveexec_b32 s5, s4
	s_cbranch_execz .LBB80_88
; %bb.87:
	v_ashrrev_i32_e32 v9, 31, v8
	v_mov_b32_e32 v16, v1
	s_delay_alu instid0(VALU_DEP_2) | instskip(NEXT) | instid1(VALU_DEP_1)
	v_lshlrev_b64 v[8:9], 3, v[8:9]
	v_add_co_u32 v8, vcc_lo, s30, v8
	s_delay_alu instid0(VALU_DEP_2)
	v_add_co_ci_u32_e32 v9, vcc_lo, s31, v9, vcc_lo
	global_store_b64 v[8:9], v[16:17], off
.LBB80_88:
	s_or_b32 exec_lo, exec_lo, s5
	v_cmp_gt_i32_e32 vcc_lo, s6, v38
	s_and_b32 exec_lo, exec_lo, vcc_lo
	s_cbranch_execz .LBB80_78
; %bb.89:
	v_cmp_ne_u32_e32 vcc_lo, 1, v24
	v_mov_b32_e32 v8, 1.0
	s_cbranch_vccnz .LBB80_91
; %bb.90:
	v_div_scale_f32 v0, null, v10, v10, 1.0
	s_delay_alu instid0(VALU_DEP_1) | instskip(SKIP_2) | instid1(VALU_DEP_1)
	v_rcp_f32_e32 v1, v0
	s_waitcnt_depctr 0xfff
	v_fma_f32 v8, -v0, v1, 1.0
	v_fmac_f32_e32 v1, v8, v1
	v_div_scale_f32 v8, vcc_lo, 1.0, v10, 1.0
	s_delay_alu instid0(VALU_DEP_1) | instskip(NEXT) | instid1(VALU_DEP_1)
	v_mul_f32_e32 v9, v8, v1
	v_fma_f32 v16, -v0, v9, v8
	s_delay_alu instid0(VALU_DEP_1) | instskip(NEXT) | instid1(VALU_DEP_1)
	v_fmac_f32_e32 v9, v16, v1
	v_fma_f32 v0, -v0, v9, v8
	s_delay_alu instid0(VALU_DEP_1) | instskip(NEXT) | instid1(VALU_DEP_1)
	v_div_fmas_f32 v0, v0, v1, v9
	v_div_fixup_f32 v8, v0, v10, 1.0
.LBB80_91:
	v_add_nc_u32_e32 v0, s3, v35
	v_lshrrev_b32_e32 v16, 16, v60
	v_cvt_f32_f16_e32 v17, v59
	v_cvt_f32_f16_e32 v25, v60
	s_delay_alu instid0(VALU_DEP_4) | instskip(NEXT) | instid1(VALU_DEP_4)
	v_mad_u64_u32 v[9:10], null, v0, s7, s[2:3]
	v_cvt_f32_f16_e32 v16, v16
	v_mov_b32_e32 v10, 0
	v_mul_f32_e32 v38, v8, v17
	v_mul_f32_e32 v40, v8, v25
	s_delay_alu instid0(VALU_DEP_4) | instskip(SKIP_2) | instid1(VALU_DEP_1)
	v_mul_f32_e32 v41, v8, v16
	v_mad_u64_u32 v[0:1], null, s1, v9, s[14:15]
	v_lshrrev_b32_e32 v1, 16, v59
	v_cvt_f32_f16_e32 v1, v1
	s_delay_alu instid0(VALU_DEP_3) | instskip(NEXT) | instid1(VALU_DEP_2)
	v_lshl_add_u32 v9, v0, 7, v33
	v_mul_f32_e32 v39, v8, v1
	s_delay_alu instid0(VALU_DEP_2) | instskip(NEXT) | instid1(VALU_DEP_1)
	v_lshlrev_b64 v[9:10], 2, v[9:10]
	v_add_co_u32 v8, vcc_lo, s28, v9
	s_delay_alu instid0(VALU_DEP_2)
	v_add_co_ci_u32_e32 v9, vcc_lo, s29, v10, vcc_lo
	global_store_b128 v[8:9], v[38:41], off
	s_and_saveexec_b32 s5, s4
	s_cbranch_execz .LBB80_93
; %bb.92:
	v_ashrrev_i32_e32 v1, 31, v0
	v_mov_b32_e32 v17, v2
	s_delay_alu instid0(VALU_DEP_2) | instskip(NEXT) | instid1(VALU_DEP_1)
	v_lshlrev_b64 v[0:1], 3, v[0:1]
	v_add_co_u32 v0, vcc_lo, s30, v0
	s_delay_alu instid0(VALU_DEP_2)
	v_add_co_ci_u32_e32 v1, vcc_lo, s31, v1, vcc_lo
	global_store_b64 v[0:1], v[17:18], off
.LBB80_93:
	s_or_b32 exec_lo, exec_lo, s5
	v_cmp_gt_i32_e32 vcc_lo, s6, v37
	s_and_b32 exec_lo, exec_lo, vcc_lo
	s_cbranch_execz .LBB80_78
; %bb.94:
	v_cmp_ne_u32_e32 vcc_lo, 1, v24
	v_mov_b32_e32 v2, 1.0
	s_cbranch_vccnz .LBB80_96
; %bb.95:
	v_div_scale_f32 v0, null, v11, v11, 1.0
	s_delay_alu instid0(VALU_DEP_1) | instskip(SKIP_2) | instid1(VALU_DEP_1)
	v_rcp_f32_e32 v1, v0
	s_waitcnt_depctr 0xfff
	v_fma_f32 v2, -v0, v1, 1.0
	v_fmac_f32_e32 v1, v2, v1
	v_div_scale_f32 v2, vcc_lo, 1.0, v11, 1.0
	s_delay_alu instid0(VALU_DEP_1) | instskip(NEXT) | instid1(VALU_DEP_1)
	v_mul_f32_e32 v8, v2, v1
	v_fma_f32 v9, -v0, v8, v2
	s_delay_alu instid0(VALU_DEP_1) | instskip(NEXT) | instid1(VALU_DEP_1)
	v_fmac_f32_e32 v8, v9, v1
	v_fma_f32 v0, -v0, v8, v2
	s_delay_alu instid0(VALU_DEP_1) | instskip(NEXT) | instid1(VALU_DEP_1)
	v_div_fmas_f32 v0, v0, v1, v8
	v_div_fixup_f32 v2, v0, v11, 1.0
.LBB80_96:
	v_add_nc_u32_e32 v0, s3, v36
	v_lshrrev_b32_e32 v10, 16, v58
	v_cvt_f32_f16_e32 v11, v57
	v_cvt_f32_f16_e32 v18, v58
	s_delay_alu instid0(VALU_DEP_4) | instskip(SKIP_2) | instid1(VALU_DEP_4)
	v_mad_u64_u32 v[8:9], null, v0, s7, s[0:1]
	v_mov_b32_e32 v9, 0
	v_cvt_f32_f16_e32 v25, v10
	v_mul_f32_e32 v10, v2, v18
	s_delay_alu instid0(VALU_DEP_4) | instskip(SKIP_1) | instid1(VALU_DEP_1)
	v_mad_u64_u32 v[0:1], null, s1, v8, s[14:15]
	v_lshrrev_b32_e32 v1, 16, v57
	v_cvt_f32_f16_e32 v1, v1
	s_delay_alu instid0(VALU_DEP_3) | instskip(NEXT) | instid1(VALU_DEP_1)
	v_lshl_add_u32 v8, v0, 7, v33
	v_lshlrev_b64 v[16:17], 2, v[8:9]
	s_delay_alu instid0(VALU_DEP_3) | instskip(SKIP_2) | instid1(VALU_DEP_4)
	v_mul_f32_e32 v9, v2, v1
	v_mul_f32_e32 v8, v2, v11
	;; [unrolled: 1-line block ×3, first 2 shown]
	v_add_co_u32 v1, vcc_lo, s28, v16
	v_add_co_ci_u32_e32 v2, vcc_lo, s29, v17, vcc_lo
	global_store_b128 v[1:2], v[8:11], off
	s_and_saveexec_b32 s5, s4
	s_cbranch_execz .LBB80_98
; %bb.97:
	v_ashrrev_i32_e32 v1, 31, v0
	v_mov_b32_e32 v18, v3
	s_delay_alu instid0(VALU_DEP_2) | instskip(NEXT) | instid1(VALU_DEP_1)
	v_lshlrev_b64 v[0:1], 3, v[0:1]
	v_add_co_u32 v0, vcc_lo, s30, v0
	s_delay_alu instid0(VALU_DEP_2)
	v_add_co_ci_u32_e32 v1, vcc_lo, s31, v1, vcc_lo
	global_store_b64 v[0:1], v[18:19], off
.LBB80_98:
	s_or_b32 exec_lo, exec_lo, s5
	v_cmp_gt_i32_e32 vcc_lo, s6, v34
	s_and_b32 exec_lo, exec_lo, vcc_lo
	s_cbranch_execz .LBB80_78
; %bb.99:
	v_cmp_ne_u32_e32 vcc_lo, 1, v24
	v_mov_b32_e32 v2, 1.0
	s_cbranch_vccnz .LBB80_101
; %bb.100:
	v_div_scale_f32 v0, null, v12, v12, 1.0
	s_delay_alu instid0(VALU_DEP_1) | instskip(SKIP_2) | instid1(VALU_DEP_1)
	v_rcp_f32_e32 v1, v0
	s_waitcnt_depctr 0xfff
	v_fma_f32 v2, -v0, v1, 1.0
	v_fmac_f32_e32 v1, v2, v1
	v_div_scale_f32 v2, vcc_lo, 1.0, v12, 1.0
	s_delay_alu instid0(VALU_DEP_1) | instskip(NEXT) | instid1(VALU_DEP_1)
	v_mul_f32_e32 v3, v2, v1
	v_fma_f32 v8, -v0, v3, v2
	s_delay_alu instid0(VALU_DEP_1) | instskip(NEXT) | instid1(VALU_DEP_1)
	v_fmac_f32_e32 v3, v8, v1
	v_fma_f32 v0, -v0, v3, v2
	s_delay_alu instid0(VALU_DEP_1) | instskip(NEXT) | instid1(VALU_DEP_1)
	v_div_fmas_f32 v0, v0, v1, v3
	v_div_fixup_f32 v2, v0, v12, 1.0
.LBB80_101:
	v_add_nc_u32_e32 v0, s3, v32
	v_lshrrev_b32_e32 v3, 16, v56
	v_cvt_f32_f16_e32 v10, v55
	v_cvt_f32_f16_e32 v11, v56
	s_delay_alu instid0(VALU_DEP_4) | instskip(SKIP_2) | instid1(VALU_DEP_3)
	v_mad_u64_u32 v[8:9], null, v0, s7, s[2:3]
	v_mov_b32_e32 v9, 0
	v_cvt_f32_f16_e32 v3, v3
	v_mad_u64_u32 v[0:1], null, s1, v8, s[14:15]
	v_lshrrev_b32_e32 v1, 16, v55
	s_delay_alu instid0(VALU_DEP_1) | instskip(NEXT) | instid1(VALU_DEP_3)
	v_cvt_f32_f16_e32 v1, v1
	v_lshl_add_u32 v8, v0, 7, v33
	s_delay_alu instid0(VALU_DEP_1) | instskip(NEXT) | instid1(VALU_DEP_3)
	v_lshlrev_b64 v[16:17], 2, v[8:9]
	v_mul_f32_e32 v9, v2, v1
	v_mul_f32_e32 v8, v2, v10
	;; [unrolled: 1-line block ×4, first 2 shown]
	v_add_co_u32 v1, vcc_lo, s28, v16
	v_add_co_ci_u32_e32 v2, vcc_lo, s29, v17, vcc_lo
	global_store_b128 v[1:2], v[8:11], off
	s_and_saveexec_b32 s5, s4
	s_cbranch_execz .LBB80_103
; %bb.102:
	v_ashrrev_i32_e32 v1, 31, v0
	v_mov_b32_e32 v19, v4
	s_delay_alu instid0(VALU_DEP_2) | instskip(NEXT) | instid1(VALU_DEP_1)
	v_lshlrev_b64 v[0:1], 3, v[0:1]
	v_add_co_u32 v0, vcc_lo, s30, v0
	s_delay_alu instid0(VALU_DEP_2)
	v_add_co_ci_u32_e32 v1, vcc_lo, s31, v1, vcc_lo
	global_store_b64 v[0:1], v[19:20], off
.LBB80_103:
	s_or_b32 exec_lo, exec_lo, s5
	v_cmp_gt_i32_e32 vcc_lo, s6, v31
	s_and_b32 exec_lo, exec_lo, vcc_lo
	s_cbranch_execz .LBB80_78
; %bb.104:
	v_cmp_ne_u32_e32 vcc_lo, 1, v24
	v_mov_b32_e32 v2, 1.0
	s_cbranch_vccnz .LBB80_106
; %bb.105:
	v_div_scale_f32 v0, null, v13, v13, 1.0
	s_delay_alu instid0(VALU_DEP_1) | instskip(SKIP_2) | instid1(VALU_DEP_1)
	v_rcp_f32_e32 v1, v0
	s_waitcnt_depctr 0xfff
	v_fma_f32 v2, -v0, v1, 1.0
	v_fmac_f32_e32 v1, v2, v1
	v_div_scale_f32 v2, vcc_lo, 1.0, v13, 1.0
	s_delay_alu instid0(VALU_DEP_1) | instskip(NEXT) | instid1(VALU_DEP_1)
	v_mul_f32_e32 v3, v2, v1
	v_fma_f32 v4, -v0, v3, v2
	s_delay_alu instid0(VALU_DEP_1) | instskip(NEXT) | instid1(VALU_DEP_1)
	v_fmac_f32_e32 v3, v4, v1
	v_fma_f32 v0, -v0, v3, v2
	s_delay_alu instid0(VALU_DEP_1) | instskip(NEXT) | instid1(VALU_DEP_1)
	v_div_fmas_f32 v0, v0, v1, v3
	v_div_fixup_f32 v2, v0, v13, 1.0
.LBB80_106:
	v_lshrrev_b32_e32 v8, 16, v54
	v_cvt_f32_f16_e32 v9, v53
	v_cvt_f32_f16_e32 v10, v54
	s_delay_alu instid0(VALU_DEP_3) | instskip(SKIP_1) | instid1(VALU_DEP_4)
	v_cvt_f32_f16_e32 v11, v8
	v_add_nc_u32_e32 v0, s3, v29
	v_mul_f32_e32 v8, v2, v9
	s_delay_alu instid0(VALU_DEP_4) | instskip(NEXT) | instid1(VALU_DEP_4)
	v_mul_f32_e32 v10, v2, v10
	v_mul_f32_e32 v11, v2, v11
	s_delay_alu instid0(VALU_DEP_4) | instskip(NEXT) | instid1(VALU_DEP_1)
	v_mad_u64_u32 v[3:4], null, v0, s7, s[0:1]
	v_mad_u64_u32 v[0:1], null, s1, v3, s[14:15]
	v_lshrrev_b32_e32 v1, 16, v53
	s_delay_alu instid0(VALU_DEP_1) | instskip(SKIP_1) | instid1(VALU_DEP_4)
	v_cvt_f32_f16_e32 v1, v1
	v_mov_b32_e32 v4, 0
	v_lshl_add_u32 v3, v0, 7, v33
	s_delay_alu instid0(VALU_DEP_3) | instskip(NEXT) | instid1(VALU_DEP_2)
	v_mul_f32_e32 v9, v2, v1
	v_lshlrev_b64 v[3:4], 2, v[3:4]
	s_delay_alu instid0(VALU_DEP_1) | instskip(NEXT) | instid1(VALU_DEP_2)
	v_add_co_u32 v1, vcc_lo, s28, v3
	v_add_co_ci_u32_e32 v2, vcc_lo, s29, v4, vcc_lo
	global_store_b128 v[1:2], v[8:11], off
	s_and_saveexec_b32 s5, s4
	s_cbranch_execz .LBB80_108
; %bb.107:
	v_ashrrev_i32_e32 v1, 31, v0
	v_mov_b32_e32 v20, v5
	s_delay_alu instid0(VALU_DEP_2) | instskip(NEXT) | instid1(VALU_DEP_1)
	v_lshlrev_b64 v[0:1], 3, v[0:1]
	v_add_co_u32 v0, vcc_lo, s30, v0
	s_delay_alu instid0(VALU_DEP_2)
	v_add_co_ci_u32_e32 v1, vcc_lo, s31, v1, vcc_lo
	global_store_b64 v[0:1], v[20:21], off
.LBB80_108:
	s_or_b32 exec_lo, exec_lo, s5
	v_cmp_gt_i32_e32 vcc_lo, s6, v30
	s_and_b32 exec_lo, exec_lo, vcc_lo
	s_cbranch_execz .LBB80_78
; %bb.109:
	v_cmp_ne_u32_e32 vcc_lo, 1, v24
	v_mov_b32_e32 v2, 1.0
	s_cbranch_vccnz .LBB80_111
; %bb.110:
	v_div_scale_f32 v0, null, v14, v14, 1.0
	s_delay_alu instid0(VALU_DEP_1) | instskip(SKIP_2) | instid1(VALU_DEP_1)
	v_rcp_f32_e32 v1, v0
	s_waitcnt_depctr 0xfff
	v_fma_f32 v2, -v0, v1, 1.0
	v_fmac_f32_e32 v1, v2, v1
	v_div_scale_f32 v2, vcc_lo, 1.0, v14, 1.0
	s_delay_alu instid0(VALU_DEP_1) | instskip(NEXT) | instid1(VALU_DEP_1)
	v_mul_f32_e32 v3, v2, v1
	v_fma_f32 v4, -v0, v3, v2
	s_delay_alu instid0(VALU_DEP_1) | instskip(NEXT) | instid1(VALU_DEP_1)
	v_fmac_f32_e32 v3, v4, v1
	v_fma_f32 v0, -v0, v3, v2
	s_delay_alu instid0(VALU_DEP_1) | instskip(NEXT) | instid1(VALU_DEP_1)
	v_div_fmas_f32 v0, v0, v1, v3
	v_div_fixup_f32 v2, v0, v14, 1.0
.LBB80_111:
	v_add_nc_u32_e32 v0, s3, v28
	v_lshrrev_b32_e32 v5, 16, v52
	v_cvt_f32_f16_e32 v9, v52
	v_cvt_f32_f16_e32 v8, v51
	s_delay_alu instid0(VALU_DEP_4) | instskip(NEXT) | instid1(VALU_DEP_4)
	v_mad_u64_u32 v[3:4], null, v0, s7, s[2:3]
	v_cvt_f32_f16_e32 v5, v5
	v_mov_b32_e32 v4, 0
	v_mul_f32_e32 v10, v2, v9
	v_mul_f32_e32 v8, v2, v8
	s_delay_alu instid0(VALU_DEP_4) | instskip(SKIP_2) | instid1(VALU_DEP_1)
	v_mul_f32_e32 v11, v2, v5
	v_mad_u64_u32 v[0:1], null, s1, v3, s[14:15]
	v_lshrrev_b32_e32 v1, 16, v51
	v_cvt_f32_f16_e32 v1, v1
	s_delay_alu instid0(VALU_DEP_3) | instskip(NEXT) | instid1(VALU_DEP_2)
	v_lshl_add_u32 v3, v0, 7, v33
	v_mul_f32_e32 v9, v2, v1
	s_delay_alu instid0(VALU_DEP_2) | instskip(NEXT) | instid1(VALU_DEP_1)
	v_lshlrev_b64 v[3:4], 2, v[3:4]
	v_add_co_u32 v1, vcc_lo, s28, v3
	s_delay_alu instid0(VALU_DEP_2)
	v_add_co_ci_u32_e32 v2, vcc_lo, s29, v4, vcc_lo
	global_store_b128 v[1:2], v[8:11], off
	s_and_saveexec_b32 s2, s4
	s_cbranch_execz .LBB80_113
; %bb.112:
	v_ashrrev_i32_e32 v1, 31, v0
	v_mov_b32_e32 v21, v6
	s_delay_alu instid0(VALU_DEP_2) | instskip(NEXT) | instid1(VALU_DEP_1)
	v_lshlrev_b64 v[0:1], 3, v[0:1]
	v_add_co_u32 v0, vcc_lo, s30, v0
	s_delay_alu instid0(VALU_DEP_2)
	v_add_co_ci_u32_e32 v1, vcc_lo, s31, v1, vcc_lo
	global_store_b64 v[0:1], v[21:22], off
.LBB80_113:
	s_or_b32 exec_lo, exec_lo, s2
	v_cmp_gt_i32_e32 vcc_lo, s6, v27
	s_and_b32 exec_lo, exec_lo, vcc_lo
	s_cbranch_execz .LBB80_78
; %bb.114:
	v_cmp_ne_u32_e32 vcc_lo, 1, v24
	v_mov_b32_e32 v2, 1.0
	s_cbranch_vccnz .LBB80_116
; %bb.115:
	v_div_scale_f32 v0, null, v15, v15, 1.0
	s_delay_alu instid0(VALU_DEP_1) | instskip(SKIP_2) | instid1(VALU_DEP_1)
	v_rcp_f32_e32 v1, v0
	s_waitcnt_depctr 0xfff
	v_fma_f32 v2, -v0, v1, 1.0
	v_fmac_f32_e32 v1, v2, v1
	v_div_scale_f32 v2, vcc_lo, 1.0, v15, 1.0
	s_delay_alu instid0(VALU_DEP_1) | instskip(NEXT) | instid1(VALU_DEP_1)
	v_mul_f32_e32 v3, v2, v1
	v_fma_f32 v4, -v0, v3, v2
	s_delay_alu instid0(VALU_DEP_1) | instskip(NEXT) | instid1(VALU_DEP_1)
	v_fmac_f32_e32 v3, v4, v1
	v_fma_f32 v0, -v0, v3, v2
	s_delay_alu instid0(VALU_DEP_1) | instskip(NEXT) | instid1(VALU_DEP_1)
	v_div_fmas_f32 v0, v0, v1, v3
	v_div_fixup_f32 v2, v0, v15, 1.0
.LBB80_116:
	v_add_nc_u32_e32 v0, s3, v26
	v_cvt_f32_f16_e32 v6, v50
	v_lshrrev_b32_e32 v5, 16, v49
	v_cvt_f32_f16_e32 v10, v49
	s_delay_alu instid0(VALU_DEP_4) | instskip(SKIP_1) | instid1(VALU_DEP_4)
	v_mad_u64_u32 v[3:4], null, v0, s7, s[0:1]
	v_mov_b32_e32 v4, 0
	v_cvt_f32_f16_e32 v11, v5
	s_delay_alu instid0(VALU_DEP_4) | instskip(NEXT) | instid1(VALU_DEP_4)
	v_mul_f32_e32 v5, v2, v10
	v_mad_u64_u32 v[0:1], null, s1, v3, s[14:15]
	v_lshrrev_b32_e32 v1, 16, v50
	s_delay_alu instid0(VALU_DEP_1) | instskip(NEXT) | instid1(VALU_DEP_3)
	v_cvt_f32_f16_e32 v1, v1
	v_lshl_add_u32 v3, v0, 7, v33
	s_delay_alu instid0(VALU_DEP_1) | instskip(SKIP_1) | instid1(VALU_DEP_4)
	v_lshlrev_b64 v[8:9], 2, v[3:4]
	v_mul_f32_e32 v3, v2, v6
	v_mul_f32_e32 v4, v2, v1
	;; [unrolled: 1-line block ×3, first 2 shown]
	s_delay_alu instid0(VALU_DEP_4)
	v_add_co_u32 v1, vcc_lo, s28, v8
	v_add_co_ci_u32_e32 v2, vcc_lo, s29, v9, vcc_lo
	global_store_b128 v[1:2], v[3:6], off
	s_and_b32 exec_lo, exec_lo, s4
	s_cbranch_execz .LBB80_78
; %bb.117:
	v_ashrrev_i32_e32 v1, 31, v0
	v_mov_b32_e32 v22, v7
	s_delay_alu instid0(VALU_DEP_2) | instskip(NEXT) | instid1(VALU_DEP_1)
	v_lshlrev_b64 v[0:1], 3, v[0:1]
	v_add_co_u32 v0, vcc_lo, s30, v0
	s_delay_alu instid0(VALU_DEP_2)
	v_add_co_ci_u32_e32 v1, vcc_lo, s31, v1, vcc_lo
	global_store_b64 v[0:1], v[22:23], off
	s_nop 0
	s_sendmsg sendmsg(MSG_DEALLOC_VGPRS)
	s_endpgm
	.section	.rodata,"a",@progbits
	.p2align	6, 0x0
	.amdhsa_kernel _ZL15flash_attn_tileILi128ELi128ELi32ELi2ELb1EEvPKcS1_S1_S1_S1_PKiPfP15HIP_vector_typeIfLj2EEffffjfiS5_IjLj3EEiiiiiiiiiiiliiliiiiil
		.amdhsa_group_segment_fixed_size 33792
		.amdhsa_private_segment_fixed_size 0
		.amdhsa_kernarg_size 464
		.amdhsa_user_sgpr_count 13
		.amdhsa_user_sgpr_dispatch_ptr 0
		.amdhsa_user_sgpr_queue_ptr 0
		.amdhsa_user_sgpr_kernarg_segment_ptr 1
		.amdhsa_user_sgpr_dispatch_id 0
		.amdhsa_user_sgpr_private_segment_size 0
		.amdhsa_wavefront_size32 1
		.amdhsa_uses_dynamic_stack 0
		.amdhsa_enable_private_segment 0
		.amdhsa_system_sgpr_workgroup_id_x 1
		.amdhsa_system_sgpr_workgroup_id_y 1
		.amdhsa_system_sgpr_workgroup_id_z 1
		.amdhsa_system_sgpr_workgroup_info 0
		.amdhsa_system_vgpr_workitem_id 1
		.amdhsa_next_free_vgpr 217
		.amdhsa_next_free_sgpr 43
		.amdhsa_reserve_vcc 1
		.amdhsa_float_round_mode_32 0
		.amdhsa_float_round_mode_16_64 0
		.amdhsa_float_denorm_mode_32 3
		.amdhsa_float_denorm_mode_16_64 3
		.amdhsa_dx10_clamp 1
		.amdhsa_ieee_mode 1
		.amdhsa_fp16_overflow 0
		.amdhsa_workgroup_processor_mode 1
		.amdhsa_memory_ordered 1
		.amdhsa_forward_progress 0
		.amdhsa_shared_vgpr_count 0
		.amdhsa_exception_fp_ieee_invalid_op 0
		.amdhsa_exception_fp_denorm_src 0
		.amdhsa_exception_fp_ieee_div_zero 0
		.amdhsa_exception_fp_ieee_overflow 0
		.amdhsa_exception_fp_ieee_underflow 0
		.amdhsa_exception_fp_ieee_inexact 0
		.amdhsa_exception_int_div_zero 0
	.end_amdhsa_kernel
	.section	.text._ZL15flash_attn_tileILi128ELi128ELi32ELi2ELb1EEvPKcS1_S1_S1_S1_PKiPfP15HIP_vector_typeIfLj2EEffffjfiS5_IjLj3EEiiiiiiiiiiiliiliiiiil,"axG",@progbits,_ZL15flash_attn_tileILi128ELi128ELi32ELi2ELb1EEvPKcS1_S1_S1_S1_PKiPfP15HIP_vector_typeIfLj2EEffffjfiS5_IjLj3EEiiiiiiiiiiiliiliiiiil,comdat
.Lfunc_end80:
	.size	_ZL15flash_attn_tileILi128ELi128ELi32ELi2ELb1EEvPKcS1_S1_S1_S1_PKiPfP15HIP_vector_typeIfLj2EEffffjfiS5_IjLj3EEiiiiiiiiiiiliiliiiiil, .Lfunc_end80-_ZL15flash_attn_tileILi128ELi128ELi32ELi2ELb1EEvPKcS1_S1_S1_S1_PKiPfP15HIP_vector_typeIfLj2EEffffjfiS5_IjLj3EEiiiiiiiiiiiliiliiiiil
                                        ; -- End function
	.section	.AMDGPU.csdata,"",@progbits
; Kernel info:
; codeLenInByte = 48304
; NumSgprs: 45
; NumVgprs: 217
; ScratchSize: 0
; MemoryBound: 0
; FloatMode: 240
; IeeeMode: 1
; LDSByteSize: 33792 bytes/workgroup (compile time only)
; SGPRBlocks: 5
; VGPRBlocks: 27
; NumSGPRsForWavesPerEU: 45
; NumVGPRsForWavesPerEU: 217
; Occupancy: 6
; WaveLimiterHint : 1
; COMPUTE_PGM_RSRC2:SCRATCH_EN: 0
; COMPUTE_PGM_RSRC2:USER_SGPR: 13
; COMPUTE_PGM_RSRC2:TRAP_HANDLER: 0
; COMPUTE_PGM_RSRC2:TGID_X_EN: 1
; COMPUTE_PGM_RSRC2:TGID_Y_EN: 1
; COMPUTE_PGM_RSRC2:TGID_Z_EN: 1
; COMPUTE_PGM_RSRC2:TIDIG_COMP_CNT: 1
	.section	.text._ZL15flash_attn_tileILi128ELi128ELi16ELi2ELb1EEvPKcS1_S1_S1_S1_PKiPfP15HIP_vector_typeIfLj2EEffffjfiS5_IjLj3EEiiiiiiiiiiiliiliiiiil,"axG",@progbits,_ZL15flash_attn_tileILi128ELi128ELi16ELi2ELb1EEvPKcS1_S1_S1_S1_PKiPfP15HIP_vector_typeIfLj2EEffffjfiS5_IjLj3EEiiiiiiiiiiiliiliiiiil,comdat
	.globl	_ZL15flash_attn_tileILi128ELi128ELi16ELi2ELb1EEvPKcS1_S1_S1_S1_PKiPfP15HIP_vector_typeIfLj2EEffffjfiS5_IjLj3EEiiiiiiiiiiiliiliiiiil ; -- Begin function _ZL15flash_attn_tileILi128ELi128ELi16ELi2ELb1EEvPKcS1_S1_S1_S1_PKiPfP15HIP_vector_typeIfLj2EEffffjfiS5_IjLj3EEiiiiiiiiiiiliiliiiiil
	.p2align	8
	.type	_ZL15flash_attn_tileILi128ELi128ELi16ELi2ELb1EEvPKcS1_S1_S1_S1_PKiPfP15HIP_vector_typeIfLj2EEffffjfiS5_IjLj3EEiiiiiiiiiiiliiliiiiil,@function
_ZL15flash_attn_tileILi128ELi128ELi16ELi2ELb1EEvPKcS1_S1_S1_S1_PKiPfP15HIP_vector_typeIfLj2EEffffjfiS5_IjLj3EEiiiiiiiiiiiliiliiiiil: ; @_ZL15flash_attn_tileILi128ELi128ELi16ELi2ELb1EEvPKcS1_S1_S1_S1_PKiPfP15HIP_vector_typeIfLj2EEffffjfiS5_IjLj3EEiiiiiiiiiiiliiliiiiil
; %bb.0:
	s_clause 0x3
	s_load_b128 s[4:7], s[0:1], 0x5c
	s_load_b64 s[34:35], s[0:1], 0x80
	s_load_b512 s[16:31], s[0:1], 0x0
	s_load_b64 s[38:39], s[0:1], 0xb8
	s_mov_b64 s[36:37], 0
	s_waitcnt lgkmcnt(0)
	s_lshr_b32 s2, s7, 31
	s_delay_alu instid0(SALU_CYCLE_1) | instskip(NEXT) | instid1(SALU_CYCLE_1)
	s_add_i32 s2, s7, s2
	s_ashr_i32 s2, s2, 1
	s_delay_alu instid0(SALU_CYCLE_1) | instskip(SKIP_1) | instid1(VALU_DEP_1)
	v_cvt_f32_u32_e32 v1, s2
	s_sub_i32 s8, 0, s2
	v_rcp_iflag_f32_e32 v1, v1
	s_waitcnt_depctr 0xfff
	v_mul_f32_e32 v1, 0x4f7ffffe, v1
	s_delay_alu instid0(VALU_DEP_1) | instskip(NEXT) | instid1(VALU_DEP_1)
	v_cvt_u32_f32_e32 v1, v1
	v_readfirstlane_b32 s3, v1
	s_delay_alu instid0(VALU_DEP_1) | instskip(NEXT) | instid1(SALU_CYCLE_1)
	s_mul_i32 s8, s8, s3
	s_mul_hi_u32 s8, s3, s8
	s_delay_alu instid0(SALU_CYCLE_1) | instskip(NEXT) | instid1(SALU_CYCLE_1)
	s_add_i32 s3, s3, s8
	s_mul_hi_u32 s3, s15, s3
	s_delay_alu instid0(SALU_CYCLE_1) | instskip(SKIP_2) | instid1(SALU_CYCLE_1)
	s_mul_i32 s8, s3, s2
	s_add_i32 s9, s3, 1
	s_sub_i32 s8, s15, s8
	s_sub_i32 s10, s8, s2
	s_cmp_ge_u32 s8, s2
	s_cselect_b32 s3, s9, s3
	s_cselect_b32 s8, s10, s8
	s_add_i32 s9, s3, 1
	s_cmp_ge_u32 s8, s2
	s_cselect_b32 s12, s9, s3
	s_abs_i32 s3, s35
	s_abs_i32 s11, s7
	v_cvt_f32_u32_e32 v1, s3
	s_sub_i32 s8, 0, s3
	s_lshl_b32 s9, s15, 1
	s_mul_i32 s10, s12, s7
	s_delay_alu instid0(VALU_DEP_1) | instskip(SKIP_2) | instid1(VALU_DEP_1)
	v_rcp_iflag_f32_e32 v1, v1
	s_waitcnt_depctr 0xfff
	v_mul_f32_e32 v1, 0x4f7ffffe, v1
	v_cvt_u32_f32_e32 v1, v1
	s_delay_alu instid0(VALU_DEP_1) | instskip(NEXT) | instid1(VALU_DEP_1)
	v_readfirstlane_b32 s2, v1
	s_mul_i32 s8, s8, s2
	s_delay_alu instid0(SALU_CYCLE_1) | instskip(NEXT) | instid1(SALU_CYCLE_1)
	s_mul_hi_u32 s8, s2, s8
	s_add_i32 s8, s2, s8
	s_sub_i32 s2, s9, s10
	s_mul_hi_u32 s8, s11, s8
	s_xor_b32 s9, s7, s35
	s_mul_i32 s10, s8, s3
	s_ashr_i32 s9, s9, 31
	s_sub_i32 s10, s11, s10
	s_add_i32 s11, s8, 1
	s_sub_i32 s15, s10, s3
	s_cmp_ge_u32 s10, s3
	s_cselect_b32 s8, s11, s8
	s_cselect_b32 s10, s15, s10
	s_add_i32 s11, s8, 1
	s_cmp_ge_u32 s10, s3
	s_cselect_b32 s3, s11, s8
	s_delay_alu instid0(SALU_CYCLE_1) | instskip(NEXT) | instid1(SALU_CYCLE_1)
	s_xor_b32 s3, s3, s9
	s_sub_i32 s35, s3, s9
	s_delay_alu instid0(SALU_CYCLE_1) | instskip(SKIP_2) | instid1(VALU_DEP_1)
	s_abs_i32 s33, s35
	s_cmp_eq_u64 s[22:23], 0
	v_cvt_f32_u32_e32 v1, s33
	v_rcp_iflag_f32_e32 v1, v1
	s_waitcnt_depctr 0xfff
	v_mul_f32_e32 v1, 0x4f7ffffe, v1
	s_delay_alu instid0(VALU_DEP_1) | instskip(NEXT) | instid1(VALU_DEP_1)
	v_cvt_u32_f32_e32 v1, v1
	v_readfirstlane_b32 s40, v1
	s_cbranch_scc1 .LBB81_2
; %bb.1:
	s_abs_i32 s3, s38
	s_abs_i32 s10, s12
	v_cvt_f32_u32_e32 v1, s3
	s_sub_i32 s9, 0, s3
	s_delay_alu instid0(VALU_DEP_1) | instskip(SKIP_2) | instid1(VALU_DEP_1)
	v_rcp_iflag_f32_e32 v1, v1
	s_waitcnt_depctr 0xfff
	v_mul_f32_e32 v1, 0x4f7ffffe, v1
	v_cvt_u32_f32_e32 v1, v1
	s_delay_alu instid0(VALU_DEP_1) | instskip(NEXT) | instid1(VALU_DEP_1)
	v_readfirstlane_b32 s8, v1
	s_mul_i32 s9, s9, s8
	s_delay_alu instid0(SALU_CYCLE_1) | instskip(NEXT) | instid1(SALU_CYCLE_1)
	s_mul_hi_u32 s9, s8, s9
	s_add_i32 s11, s8, s9
	s_load_b64 s[8:9], s[0:1], 0xc8
	s_mul_hi_u32 s11, s10, s11
	s_delay_alu instid0(SALU_CYCLE_1) | instskip(NEXT) | instid1(SALU_CYCLE_1)
	s_mul_i32 s11, s11, s3
	s_sub_i32 s10, s10, s11
	s_ashr_i32 s11, s12, 31
	s_sub_i32 s15, s10, s3
	s_cmp_ge_u32 s10, s3
	s_cselect_b32 s10, s15, s10
	s_delay_alu instid0(SALU_CYCLE_1) | instskip(SKIP_2) | instid1(SALU_CYCLE_1)
	s_sub_i32 s15, s10, s3
	s_cmp_ge_u32 s10, s3
	s_cselect_b32 s3, s15, s10
	s_xor_b32 s3, s3, s11
	s_delay_alu instid0(SALU_CYCLE_1)
	s_sub_i32 s3, s3, s11
	s_waitcnt lgkmcnt(0)
	s_mul_i32 s9, s3, s9
	s_mul_hi_u32 s10, s3, s8
	s_ashr_i32 s11, s3, 31
	s_add_i32 s9, s10, s9
	s_mul_i32 s11, s11, s8
	s_mul_i32 s3, s3, s8
	s_add_i32 s9, s9, s11
	s_add_u32 s36, s22, s3
	s_addc_u32 s37, s23, s9
.LBB81_2:
	v_bfe_u32 v4, v0, 10, 10
	s_lshl_b32 s15, s13, 4
	s_load_b128 s[8:11], s[0:1], 0x70
	v_and_b32_e32 v35, 0x3ff, v0
	s_delay_alu instid0(VALU_DEP_2) | instskip(SKIP_1) | instid1(VALU_DEP_3)
	v_lshlrev_b32_e32 v5, 2, v4
	v_lshlrev_b32_e32 v22, 8, v4
	;; [unrolled: 1-line block ×4, first 2 shown]
	s_delay_alu instid0(VALU_DEP_4) | instskip(SKIP_1) | instid1(VALU_DEP_3)
	v_or_b32_e32 v20, 3, v5
	v_or_b32_e32 v19, 2, v5
	v_add_lshl_u32 v22, v22, v21, 2
	s_delay_alu instid0(VALU_DEP_3) | instskip(NEXT) | instid1(VALU_DEP_3)
	v_lshrrev_b32_e32 v28, 1, v20
	v_lshrrev_b32_e32 v30, 1, v19
	v_lshlrev_b32_e32 v19, 6, v19
	v_lshlrev_b32_e32 v24, 6, v20
	v_add_nc_u32_e32 v23, 0x6800, v22
	v_add_nc_u32_e32 v29, s15, v28
	;; [unrolled: 1-line block ×3, first 2 shown]
	s_waitcnt lgkmcnt(0)
	s_mul_i32 s3, s12, s10
	s_mul_i32 s10, s2, s9
	s_ashr_i32 s11, s3, 31
	v_mul_hi_u32 v3, v29, s4
	v_mul_hi_u32 v2, v31, s4
	s_add_u32 s3, s16, s3
	s_addc_u32 s11, s17, s11
	s_ashr_i32 s16, s10, 31
	s_add_u32 s3, s3, s10
	s_addc_u32 s10, s11, s16
	s_ashr_i32 s11, s8, 31
	v_add_nc_u32_e32 v3, v29, v3
	v_add_nc_u32_e32 v2, v31, v2
	v_alignbit_b32 v11, s11, s8, 2
	s_lshr_b32 s8, s11, 2
	v_add_lshl_u32 v25, v19, v21, 2
	v_lshrrev_b32_e32 v3, s5, v3
	v_lshrrev_b32_e32 v2, s5, v2
	s_delay_alu instid0(VALU_DEP_2) | instskip(NEXT) | instid1(VALU_DEP_2)
	v_mul_lo_u32 v3, v3, s6
	v_mul_lo_u32 v7, v2, s6
	s_delay_alu instid0(VALU_DEP_2) | instskip(NEXT) | instid1(VALU_DEP_2)
	v_sub_nc_u32_e32 v14, v29, v3
	v_sub_nc_u32_e32 v13, v31, v7
	s_delay_alu instid0(VALU_DEP_2) | instskip(SKIP_1) | instid1(VALU_DEP_3)
	v_mad_u64_u32 v[9:10], null, v11, v14, 0
	v_lshlrev_b32_e32 v33, 1, v4
	v_mad_u64_u32 v[7:8], null, v11, v13, 0
	s_delay_alu instid0(VALU_DEP_3) | instskip(NEXT) | instid1(VALU_DEP_3)
	v_mov_b32_e32 v0, v10
	v_add_nc_u32_e32 v34, s15, v33
	s_delay_alu instid0(VALU_DEP_1) | instskip(NEXT) | instid1(VALU_DEP_1)
	v_mul_hi_u32 v1, v34, s4
	v_add_nc_u32_e32 v1, v34, v1
	s_delay_alu instid0(VALU_DEP_1) | instskip(NEXT) | instid1(VALU_DEP_1)
	v_lshrrev_b32_e32 v1, s5, v1
	v_mul_lo_u32 v1, v1, s6
	s_delay_alu instid0(VALU_DEP_1) | instskip(NEXT) | instid1(VALU_DEP_1)
	v_sub_nc_u32_e32 v6, v34, v1
	v_mad_u64_u32 v[1:2], null, v11, v6, 0
	s_delay_alu instid0(VALU_DEP_1) | instskip(NEXT) | instid1(VALU_DEP_1)
	v_mad_u64_u32 v[11:12], null, s8, v6, v[2:3]
	v_dual_mov_b32 v3, v8 :: v_dual_mov_b32 v2, v11
	s_delay_alu instid0(VALU_DEP_1) | instskip(NEXT) | instid1(VALU_DEP_4)
	v_mad_u64_u32 v[10:11], null, s8, v13, v[3:4]
	v_mad_u64_u32 v[11:12], null, s8, v14, v[0:1]
	s_delay_alu instid0(VALU_DEP_3) | instskip(SKIP_2) | instid1(SALU_CYCLE_1)
	v_lshlrev_b64 v[0:1], 2, v[1:2]
	s_ashr_i32 s8, s9, 31
	s_and_b32 s9, s9, -4
	s_add_u32 s9, s3, s9
	s_addc_u32 s8, s10, s8
	s_delay_alu instid0(VALU_DEP_1)
	v_add_co_u32 v2, vcc_lo, s3, v0
	v_add_co_ci_u32_e32 v3, vcc_lo, s10, v1, vcc_lo
	v_mov_b32_e32 v8, v10
	v_mov_b32_e32 v10, v11
	v_add_co_u32 v11, vcc_lo, s9, v0
	v_add_co_ci_u32_e32 v12, vcc_lo, s8, v1, vcc_lo
	v_add_co_u32 v0, vcc_lo, v2, v17
	v_add_co_ci_u32_e32 v1, vcc_lo, 0, v3, vcc_lo
	s_delay_alu instid0(VALU_DEP_4)
	v_add_co_u32 v11, vcc_lo, v11, v17
	v_lshlrev_b64 v[13:14], 2, v[7:8]
	v_add_co_ci_u32_e32 v12, vcc_lo, 0, v12, vcc_lo
	v_lshlrev_b64 v[15:16], 2, v[9:10]
	s_clause 0x1
	global_load_b128 v[0:3], v[0:1], off
	global_load_b128 v[7:10], v[11:12], off
	v_add_co_u32 v11, vcc_lo, s3, v13
	v_add_co_ci_u32_e32 v12, vcc_lo, s10, v14, vcc_lo
	v_add_co_u32 v13, vcc_lo, s9, v15
	v_add_co_ci_u32_e32 v14, vcc_lo, s8, v16, vcc_lo
	s_delay_alu instid0(VALU_DEP_4) | instskip(NEXT) | instid1(VALU_DEP_4)
	v_add_co_u32 v11, vcc_lo, v11, v17
	v_add_co_ci_u32_e32 v12, vcc_lo, 0, v12, vcc_lo
	s_delay_alu instid0(VALU_DEP_4) | instskip(NEXT) | instid1(VALU_DEP_4)
	v_add_co_u32 v15, vcc_lo, v13, v17
	v_add_co_ci_u32_e32 v16, vcc_lo, 0, v14, vcc_lo
	s_clause 0x1
	global_load_b128 v[11:14], v[11:12], off
	global_load_b128 v[15:18], v[15:16], off
	s_load_b32 s3, s[0:1], 0x40
	s_cmp_eq_u64 s[26:27], 0
	s_waitcnt vmcnt(3) lgkmcnt(0)
	v_fma_mixlo_f16 v19, v0, s3, 0
	v_fma_mixlo_f16 v20, v2, s3, 0
	s_waitcnt vmcnt(2)
	v_fma_mixlo_f16 v22, v9, s3, 0
	v_add_lshl_u32 v9, v24, v21, 2
	v_fma_mixlo_f16 v21, v7, s3, 0
	v_fma_mixhi_f16 v19, v1, s3, 0
	v_fma_mixhi_f16 v20, v3, s3, 0
	;; [unrolled: 1-line block ×3, first 2 shown]
	s_delay_alu instid0(VALU_DEP_4)
	v_fma_mixhi_f16 v21, v8, s3, 0
	s_waitcnt vmcnt(1)
	v_fma_mixlo_f16 v1, v13, s3, 0
	v_fma_mixlo_f16 v0, v11, s3, 0
	s_waitcnt vmcnt(0)
	v_fma_mixlo_f16 v3, v17, s3, 0
	v_fma_mixlo_f16 v2, v15, s3, 0
	v_fma_mixhi_f16 v1, v14, s3, 0
	v_fma_mixhi_f16 v0, v12, s3, 0
	s_delay_alu instid0(VALU_DEP_4) | instskip(NEXT) | instid1(VALU_DEP_4)
	v_fma_mixhi_f16 v3, v18, s3, 0
	v_fma_mixhi_f16 v2, v16, s3, 0
	ds_store_2addr_b64 v23, v[19:20], v[21:22] offset1:32
	ds_store_b64 v25, v[0:1] offset:26624
	ds_store_b64 v9, v[2:3] offset:26624
	s_waitcnt lgkmcnt(0)
	s_barrier
	buffer_gl0_inv
	s_cbranch_scc1 .LBB81_4
; %bb.3:
	s_load_b32 s3, s[0:1], 0xd0
	s_mov_b32 s9, 0
	s_waitcnt lgkmcnt(0)
	s_mul_i32 s3, s3, s12
	s_delay_alu instid0(SALU_CYCLE_1) | instskip(NEXT) | instid1(SALU_CYCLE_1)
	s_add_i32 s8, s3, s13
	s_lshl_b64 s[8:9], s[8:9], 2
	s_delay_alu instid0(SALU_CYCLE_1)
	s_add_u32 s8, s26, s8
	s_addc_u32 s9, s27, s9
	s_load_b32 s34, s[8:9], 0x0
.LBB81_4:
	v_mbcnt_lo_u32_b32 v36, -1, 0
	s_lshl_b32 s3, s14, 7
	s_waitcnt lgkmcnt(0)
	s_cmp_lt_i32 s3, s34
	s_cbranch_scc1 .LBB81_6
; %bb.5:
	v_mbcnt_lo_u32_b32 v7, -1, 0
	v_mov_b32_e32 v37, 32
	s_mov_b32 s8, 0
	s_mov_b32 s9, 0xfeffffff
	s_delay_alu instid0(VALU_DEP_2)
	v_xor_b32_e32 v74, 16, v7
	v_xor_b32_e32 v73, 8, v7
	;; [unrolled: 1-line block ×5, first 2 shown]
	s_branch .LBB81_7
.LBB81_6:
	s_mov_b32 s8, -1
                                        ; implicit-def: $sgpr9
                                        ; implicit-def: $vgpr7
                                        ; implicit-def: $vgpr37
                                        ; implicit-def: $vgpr74
                                        ; implicit-def: $vgpr73
                                        ; implicit-def: $vgpr72
                                        ; implicit-def: $vgpr71
                                        ; implicit-def: $vgpr70
.LBB81_7:
	s_delay_alu instid0(SALU_CYCLE_1) | instskip(SKIP_2) | instid1(VALU_DEP_3)
	v_cndmask_b32_e64 v0, 0, 1, s8
	v_dual_mov_b32 v3, s9 :: v_dual_lshlrev_b32 v32, 2, v35
	v_dual_mov_b32 v68, s8 :: v_dual_mov_b32 v1, s9
	v_cmp_ne_u32_e32 vcc_lo, 1, v0
	v_dual_mov_b32 v60, s8 :: v_dual_mov_b32 v69, s8
	v_dual_mov_b32 v2, s9 :: v_dual_mov_b32 v67, s8
	v_dual_mov_b32 v0, s9 :: v_dual_mov_b32 v61, s8
	v_dual_mov_b32 v66, s8 :: v_dual_mov_b32 v59, s8
	v_dual_mov_b32 v58, s8 :: v_dual_mov_b32 v57, s8
	v_dual_mov_b32 v56, s8 :: v_dual_mov_b32 v55, s8
	v_mov_b32_e32 v54, s8
	s_cbranch_vccnz .LBB81_76
; %bb.8:
	s_clause 0x1
	s_load_b128 s[8:11], s[0:1], 0x98
	s_load_b64 s[16:17], s[0:1], 0x8c
	s_sub_i32 s13, 0, s33
	s_abs_i32 s26, s2
	s_mul_i32 s13, s13, s40
	s_ashr_i32 s38, s39, 1
	s_mul_hi_u32 s13, s40, s13
	s_ashr_i32 s27, s2, 31
	s_add_i32 s40, s40, s13
	s_ashr_i32 s35, s35, 31
	s_mul_hi_u32 s39, s26, s40
	s_ashr_i32 s40, s12, 31
	s_load_b64 s[22:23], s[0:1], 0xa8
	s_mul_i32 s41, s39, s33
	v_lshrrev_b32_e32 v0, 3, v35
	v_dual_mov_b32 v54, 0 :: v_dual_and_b32 v11, 28, v32
	v_add3_u32 v12, s15, v33, 1
	s_delay_alu instid0(VALU_DEP_3)
	v_dual_mov_b32 v56, 0 :: v_dual_add_nc_u32 v1, v0, v5
	s_waitcnt lgkmcnt(0)
	s_mul_i32 s9, s12, s9
	s_ashr_i32 s13, s16, 2
	s_mul_hi_u32 s16, s12, s8
	s_mul_i32 s42, s40, s8
	s_add_i32 s9, s16, s9
	s_mul_i32 s8, s12, s8
	s_ashr_i32 s10, s10, 2
	s_add_i32 s9, s9, s42
	s_add_u32 s16, s18, s8
	s_addc_u32 s18, s19, s9
	s_sub_i32 s19, s26, s41
	s_xor_b32 s9, s27, s35
	s_add_i32 s26, s39, 1
	s_sub_i32 s27, s19, s33
	s_cmp_ge_u32 s19, s33
	s_load_b32 s8, s[0:1], 0x54
	s_cselect_b32 s26, s26, s39
	s_cselect_b32 s19, s27, s19
	s_add_i32 s27, s26, 1
	s_cmp_ge_u32 s19, s33
	s_mul_i32 s23, s12, s23
	s_cselect_b32 s19, s27, s26
	s_mul_hi_u32 s26, s12, s22
	s_xor_b32 s19, s19, s9
	s_mul_i32 s40, s40, s22
	s_sub_i32 s19, s19, s9
	v_mul_lo_u32 v0, s13, v1
	s_mul_i32 s9, s19, s17
	s_mul_i32 s19, s19, s11
	s_ashr_i32 s17, s9, 31
	s_add_u32 s9, s16, s9
	s_addc_u32 s16, s18, s17
	s_add_i32 s17, s26, s23
	s_mul_i32 s18, s12, s22
	s_add_i32 s17, s17, s40
	v_lshrrev_b32_e32 v5, 4, v35
	s_add_u32 s18, s20, s18
	v_dual_mov_b32 v65, 0xfeffffff :: v_dual_lshlrev_b32 v2, 2, v11
	s_addc_u32 s17, s21, s17
	v_mul_hi_u32 v3, s4, v12
	s_ashr_i32 s4, s19, 31
	s_add_u32 s11, s18, s19
	s_addc_u32 s17, s17, s4
	s_lshl_b32 s4, s13, 5
	v_dual_mov_b32 v64, 0 :: v_dual_add_nc_u32 v13, v5, v33
	v_mad_u32_u24 v38, 0x90, v1, v2
	v_dual_mov_b32 v37, 32 :: v_dual_add_nc_u32 v2, s4, v0
	s_delay_alu instid0(VALU_DEP_3) | instskip(SKIP_1) | instid1(VALU_DEP_3)
	v_mul_lo_u32 v5, s10, v13
	v_dual_mov_b32 v58, 0 :: v_dual_add_nc_u32 v3, v12, v3
	v_add_nc_u32_e32 v7, s4, v2
	v_mov_b32_e32 v61, 0
	v_and_b32_e32 v53, 60, v32
	s_delay_alu instid0(VALU_DEP_4) | instskip(SKIP_3) | instid1(VALU_DEP_3)
	v_lshrrev_b32_e32 v8, s5, v3
	v_mov_b32_e32 v63, 0xfeffffff
	v_dual_mov_b32 v62, 0 :: v_dual_add_nc_u32 v9, s4, v7
	s_lshl_b32 s4, s10, 4
	v_mul_lo_u32 v14, v8, s6
	v_add_nc_u32_e32 v22, s4, v5
	s_delay_alu instid0(VALU_DEP_3)
	v_ashrrev_i32_e32 v10, 31, v9
	v_ashrrev_i32_e32 v1, 31, v0
	;; [unrolled: 1-line block ×3, first 2 shown]
	v_mul_lo_u32 v44, v6, s38
	v_add_nc_u32_e32 v24, s4, v22
	v_ashrrev_i32_e32 v6, 31, v5
	v_sub_nc_u32_e32 v12, v12, v14
	v_dual_mov_b32 v59, 0 :: v_dual_lshlrev_b32 v14, 2, v53
	s_delay_alu instid0(VALU_DEP_4)
	v_add_nc_u32_e32 v26, s4, v24
	v_ashrrev_i32_e32 v23, 31, v22
	v_ashrrev_i32_e32 v25, 31, v24
	v_lshlrev_b64 v[18:19], 2, v[9:10]
	v_mov_b32_e32 v9, 0
	v_ashrrev_i32_e32 v27, 31, v26
	v_mov_b32_e32 v10, 0xfeffffff
	v_ashrrev_i32_e32 v8, 31, v7
	v_dual_mov_b32 v57, 0 :: v_dual_lshlrev_b32 v4, 10, v4
	v_lshl_or_b32 v46, v13, 8, v14
	v_mul_lo_u32 v45, v12, s38
	v_lshlrev_b64 v[12:13], 2, v[0:1]
	v_lshlrev_b64 v[14:15], 2, v[2:3]
	;; [unrolled: 1-line block ×7, first 2 shown]
	v_dual_mov_b32 v60, 0 :: v_dual_add_nc_u32 v39, 0x1200, v38
	v_dual_mov_b32 v55, 0 :: v_dual_add_nc_u32 v40, 0x2400, v38
	;; [unrolled: 1-line block ×3, first 2 shown]
	v_mul_u32_u24_e32 v42, 0x90, v35
	v_add_nc_u32_e32 v43, 0x6800, v4
	v_add_nc_u32_e32 v47, 0x4800, v4
	v_lshlrev_b32_e32 v48, 3, v35
	v_add_nc_u32_e32 v49, 0x1000, v46
	v_add_nc_u32_e32 v50, 0x2000, v46
	;; [unrolled: 1-line block ×3, first 2 shown]
	v_dual_mov_b32 v11, 0xfeffffff :: v_dual_lshlrev_b32 v52, 2, v11
	v_lshlrev_b32_e32 v53, 2, v53
	s_add_u32 s4, s0, 0xd0
	s_addc_u32 s5, s1, 0
	s_mov_b32 s18, 0xbbbac73d
.LBB81_9:                               ; =>This Inner Loop Header: Depth=1
	s_mul_hi_i32 s21, s3, s13
	s_mul_i32 s20, s3, s13
	v_dual_mov_b32 v70, 0 :: v_dual_mov_b32 v79, 0
	s_lshl_b64 s[20:21], s[20:21], 2
	v_mov_b32_e32 v75, 0
	s_add_u32 s19, s9, s20
	s_addc_u32 s20, s16, s21
	v_add_co_u32 v0, vcc_lo, s19, v12
	v_add_co_ci_u32_e32 v1, vcc_lo, s20, v13, vcc_lo
	v_add_co_u32 v2, vcc_lo, s19, v14
	v_add_co_ci_u32_e32 v3, vcc_lo, s20, v15, vcc_lo
	s_delay_alu instid0(VALU_DEP_4) | instskip(NEXT) | instid1(VALU_DEP_4)
	v_add_co_u32 v0, vcc_lo, v0, v52
	v_add_co_ci_u32_e32 v1, vcc_lo, 0, v1, vcc_lo
	s_delay_alu instid0(VALU_DEP_4) | instskip(NEXT) | instid1(VALU_DEP_4)
	v_add_co_u32 v2, vcc_lo, v2, v52
	v_add_co_ci_u32_e32 v3, vcc_lo, 0, v3, vcc_lo
	v_add_co_u32 v4, vcc_lo, s19, v16
	v_add_co_ci_u32_e32 v5, vcc_lo, s20, v17, vcc_lo
	v_add_co_u32 v6, vcc_lo, s19, v18
	v_add_co_ci_u32_e32 v7, vcc_lo, s20, v19, vcc_lo
	s_delay_alu instid0(VALU_DEP_4) | instskip(NEXT) | instid1(VALU_DEP_4)
	v_add_co_u32 v4, vcc_lo, v4, v52
	v_add_co_ci_u32_e32 v5, vcc_lo, 0, v5, vcc_lo
	s_delay_alu instid0(VALU_DEP_4) | instskip(NEXT) | instid1(VALU_DEP_4)
	v_add_co_u32 v6, vcc_lo, v6, v52
	v_add_co_ci_u32_e32 v7, vcc_lo, 0, v7, vcc_lo
	s_clause 0x3
	global_load_b128 v[66:69], v[0:1], off
	global_load_b128 v[71:74], v[2:3], off
	;; [unrolled: 1-line block ×4, first 2 shown]
	v_dual_mov_b32 v76, 0 :: v_dual_mov_b32 v77, 0
	v_mov_b32_e32 v78, 0
	s_waitcnt vmcnt(3)
	ds_store_b128 v38, v[66:69]
	s_waitcnt vmcnt(2)
	ds_store_b128 v39, v[71:74]
	;; [unrolled: 2-line block ×4, first 2 shown]
	v_mov_b32_e32 v69, 0
	s_waitcnt lgkmcnt(0)
	s_barrier
	buffer_gl0_inv
	ds_load_b128 v[83:86], v42
	ds_load_b128 v[87:90], v43
	ds_load_b128 v[91:94], v43 offset:256
	ds_load_b128 v[103:106], v42 offset:4608
	;; [unrolled: 1-line block ×6, first 2 shown]
	s_waitcnt lgkmcnt(6)
	;;#ASMSTART
	v_dot2_f32_f16 v70, v83, v87, v70
	;;#ASMEND
	;;#ASMSTART
	v_dot2_f32_f16 v70, v84, v88, v70
	;;#ASMEND
	;;#ASMSTART
	v_dot2_f32_f16 v70, v85, v89, v70
	;;#ASMEND
	;;#ASMSTART
	v_dot2_f32_f16 v70, v86, v90, v70
	;;#ASMEND
	s_waitcnt lgkmcnt(5)
	;;#ASMSTART
	v_dot2_f32_f16 v79, v83, v91, v79
	;;#ASMEND
	;;#ASMSTART
	v_dot2_f32_f16 v79, v84, v92, v79
	;;#ASMEND
	;;#ASMSTART
	v_dot2_f32_f16 v79, v85, v93, v79
	;;#ASMEND
	v_mov_b32_e32 v66, 0
	;;#ASMSTART
	v_dot2_f32_f16 v79, v86, v94, v79
	;;#ASMEND
	s_waitcnt lgkmcnt(3)
	;;#ASMSTART
	v_dot2_f32_f16 v75, v83, v95, v75
	;;#ASMEND
	;;#ASMSTART
	v_dot2_f32_f16 v75, v84, v96, v75
	;;#ASMEND
	;; [unrolled: 3-line block ×4, first 2 shown]
	s_waitcnt lgkmcnt(2)
	;;#ASMSTART
	v_dot2_f32_f16 v66, v83, v99, v66
	;;#ASMEND
	;;#ASMSTART
	v_dot2_f32_f16 v66, v84, v100, v66
	;;#ASMEND
	v_dual_mov_b32 v71, 0 :: v_dual_mov_b32 v80, 0
	;;#ASMSTART
	v_dot2_f32_f16 v66, v85, v101, v66
	;;#ASMEND
	;;#ASMSTART
	v_dot2_f32_f16 v66, v86, v102, v66
	;;#ASMEND
	;; [unrolled: 3-line block ×9, first 2 shown]
	v_mov_b32_e32 v67, 0
	;;#ASMSTART
	v_dot2_f32_f16 v80, v106, v94, v80
	;;#ASMEND
	;;#ASMSTART
	v_dot2_f32_f16 v76, v103, v95, v76
	;;#ASMEND
	;;#ASMSTART
	v_dot2_f32_f16 v76, v104, v96, v76
	;;#ASMEND
	;;#ASMSTART
	v_dot2_f32_f16 v76, v105, v97, v76
	;;#ASMEND
	;;#ASMSTART
	v_dot2_f32_f16 v76, v106, v98, v76
	;;#ASMEND
	;;#ASMSTART
	v_dot2_f32_f16 v67, v103, v99, v67
	;;#ASMEND
	;;#ASMSTART
	v_dot2_f32_f16 v67, v104, v100, v67
	;;#ASMEND
	v_dual_mov_b32 v72, 0 :: v_dual_mov_b32 v81, 0
	;;#ASMSTART
	v_dot2_f32_f16 v67, v105, v101, v67
	;;#ASMEND
	;;#ASMSTART
	v_dot2_f32_f16 v67, v106, v102, v67
	;;#ASMEND
	s_waitcnt lgkmcnt(1)
	;;#ASMSTART
	v_dot2_f32_f16 v72, v107, v87, v72
	;;#ASMEND
	;;#ASMSTART
	v_dot2_f32_f16 v72, v108, v88, v72
	;;#ASMEND
	;; [unrolled: 3-line block ×7, first 2 shown]
	v_mov_b32_e32 v68, 0
	;;#ASMSTART
	v_dot2_f32_f16 v81, v110, v94, v81
	;;#ASMEND
	;;#ASMSTART
	v_dot2_f32_f16 v77, v107, v95, v77
	;;#ASMEND
	;; [unrolled: 3-line block ×7, first 2 shown]
	v_dual_mov_b32 v73, 0 :: v_dual_mov_b32 v82, 0
	;;#ASMSTART
	v_dot2_f32_f16 v68, v109, v101, v68
	;;#ASMEND
	;;#ASMSTART
	v_dot2_f32_f16 v68, v110, v102, v68
	;;#ASMEND
	s_waitcnt lgkmcnt(0)
	;;#ASMSTART
	v_dot2_f32_f16 v73, v111, v87, v73
	;;#ASMEND
	;;#ASMSTART
	v_dot2_f32_f16 v73, v112, v88, v73
	;;#ASMEND
	;; [unrolled: 3-line block ×16, first 2 shown]
	ds_load_b128 v[83:86], v42 offset:16
	ds_load_b128 v[87:90], v43 offset:16
	;; [unrolled: 1-line block ×8, first 2 shown]
	s_waitcnt lgkmcnt(6)
	;;#ASMSTART
	v_dot2_f32_f16 v70, v83, v87, v70
	;;#ASMEND
	;;#ASMSTART
	v_dot2_f32_f16 v70, v84, v88, v70
	;;#ASMEND
	;;#ASMSTART
	v_dot2_f32_f16 v70, v85, v89, v70
	;;#ASMEND
	;;#ASMSTART
	v_dot2_f32_f16 v70, v86, v90, v70
	;;#ASMEND
	s_waitcnt lgkmcnt(5)
	;;#ASMSTART
	v_dot2_f32_f16 v79, v83, v91, v79
	;;#ASMEND
	;;#ASMSTART
	v_dot2_f32_f16 v79, v84, v92, v79
	;;#ASMEND
	;;#ASMSTART
	v_dot2_f32_f16 v79, v85, v93, v79
	;;#ASMEND
	;;#ASMSTART
	v_dot2_f32_f16 v79, v86, v94, v79
	;;#ASMEND
	;; [unrolled: 13-line block ×5, first 2 shown]
	;;#ASMSTART
	v_dot2_f32_f16 v80, v103, v91, v80
	;;#ASMEND
	;;#ASMSTART
	v_dot2_f32_f16 v80, v104, v92, v80
	;;#ASMEND
	;; [unrolled: 3-line block ×12, first 2 shown]
	s_waitcnt lgkmcnt(1)
	;;#ASMSTART
	v_dot2_f32_f16 v72, v107, v87, v72
	;;#ASMEND
	;;#ASMSTART
	v_dot2_f32_f16 v72, v108, v88, v72
	;;#ASMEND
	;; [unrolled: 3-line block ×16, first 2 shown]
	s_waitcnt lgkmcnt(0)
	;;#ASMSTART
	v_dot2_f32_f16 v73, v111, v87, v73
	;;#ASMEND
	;;#ASMSTART
	v_dot2_f32_f16 v73, v112, v88, v73
	;;#ASMEND
	;; [unrolled: 3-line block ×16, first 2 shown]
	ds_load_b128 v[83:86], v42 offset:32
	ds_load_b128 v[87:90], v43 offset:32
	;; [unrolled: 1-line block ×8, first 2 shown]
	s_waitcnt lgkmcnt(6)
	;;#ASMSTART
	v_dot2_f32_f16 v70, v83, v87, v70
	;;#ASMEND
	;;#ASMSTART
	v_dot2_f32_f16 v70, v84, v88, v70
	;;#ASMEND
	;;#ASMSTART
	v_dot2_f32_f16 v70, v85, v89, v70
	;;#ASMEND
	;;#ASMSTART
	v_dot2_f32_f16 v70, v86, v90, v70
	;;#ASMEND
	s_waitcnt lgkmcnt(5)
	;;#ASMSTART
	v_dot2_f32_f16 v79, v83, v91, v79
	;;#ASMEND
	;;#ASMSTART
	v_dot2_f32_f16 v79, v84, v92, v79
	;;#ASMEND
	;;#ASMSTART
	v_dot2_f32_f16 v79, v85, v93, v79
	;;#ASMEND
	;;#ASMSTART
	v_dot2_f32_f16 v79, v86, v94, v79
	;;#ASMEND
	;; [unrolled: 13-line block ×5, first 2 shown]
	;;#ASMSTART
	v_dot2_f32_f16 v80, v103, v91, v80
	;;#ASMEND
	;;#ASMSTART
	v_dot2_f32_f16 v80, v104, v92, v80
	;;#ASMEND
	;; [unrolled: 3-line block ×12, first 2 shown]
	s_waitcnt lgkmcnt(1)
	;;#ASMSTART
	v_dot2_f32_f16 v72, v107, v87, v72
	;;#ASMEND
	;;#ASMSTART
	v_dot2_f32_f16 v72, v108, v88, v72
	;;#ASMEND
	;; [unrolled: 3-line block ×16, first 2 shown]
	s_waitcnt lgkmcnt(0)
	;;#ASMSTART
	v_dot2_f32_f16 v73, v111, v87, v73
	;;#ASMEND
	;;#ASMSTART
	v_dot2_f32_f16 v73, v112, v88, v73
	;;#ASMEND
	;; [unrolled: 3-line block ×16, first 2 shown]
	ds_load_b128 v[83:86], v42 offset:48
	ds_load_b128 v[87:90], v43 offset:48
	;; [unrolled: 1-line block ×8, first 2 shown]
	s_waitcnt lgkmcnt(6)
	;;#ASMSTART
	v_dot2_f32_f16 v70, v83, v87, v70
	;;#ASMEND
	;;#ASMSTART
	v_dot2_f32_f16 v70, v84, v88, v70
	;;#ASMEND
	;;#ASMSTART
	v_dot2_f32_f16 v70, v85, v89, v70
	;;#ASMEND
	;;#ASMSTART
	v_dot2_f32_f16 v70, v86, v90, v70
	;;#ASMEND
	s_waitcnt lgkmcnt(5)
	;;#ASMSTART
	v_dot2_f32_f16 v79, v83, v91, v79
	;;#ASMEND
	;;#ASMSTART
	v_dot2_f32_f16 v79, v84, v92, v79
	;;#ASMEND
	;;#ASMSTART
	v_dot2_f32_f16 v79, v85, v93, v79
	;;#ASMEND
	;;#ASMSTART
	v_dot2_f32_f16 v79, v86, v94, v79
	;;#ASMEND
	;; [unrolled: 13-line block ×5, first 2 shown]
	;;#ASMSTART
	v_dot2_f32_f16 v80, v103, v91, v80
	;;#ASMEND
	;;#ASMSTART
	v_dot2_f32_f16 v80, v104, v92, v80
	;;#ASMEND
	;; [unrolled: 3-line block ×12, first 2 shown]
	s_waitcnt lgkmcnt(1)
	;;#ASMSTART
	v_dot2_f32_f16 v72, v107, v87, v72
	;;#ASMEND
	;;#ASMSTART
	v_dot2_f32_f16 v72, v108, v88, v72
	;;#ASMEND
	;; [unrolled: 3-line block ×16, first 2 shown]
	s_waitcnt lgkmcnt(0)
	;;#ASMSTART
	v_dot2_f32_f16 v73, v111, v87, v73
	;;#ASMEND
	;;#ASMSTART
	v_dot2_f32_f16 v73, v112, v88, v73
	;;#ASMEND
	;; [unrolled: 3-line block ×16, first 2 shown]
	ds_load_b128 v[83:86], v42 offset:64
	ds_load_b128 v[87:90], v43 offset:64
	;; [unrolled: 1-line block ×8, first 2 shown]
	s_waitcnt lgkmcnt(6)
	;;#ASMSTART
	v_dot2_f32_f16 v70, v83, v87, v70
	;;#ASMEND
	;;#ASMSTART
	v_dot2_f32_f16 v70, v84, v88, v70
	;;#ASMEND
	;;#ASMSTART
	v_dot2_f32_f16 v70, v85, v89, v70
	;;#ASMEND
	;;#ASMSTART
	v_dot2_f32_f16 v70, v86, v90, v70
	;;#ASMEND
	s_waitcnt lgkmcnt(5)
	;;#ASMSTART
	v_dot2_f32_f16 v79, v83, v91, v79
	;;#ASMEND
	;;#ASMSTART
	v_dot2_f32_f16 v79, v84, v92, v79
	;;#ASMEND
	;;#ASMSTART
	v_dot2_f32_f16 v79, v85, v93, v79
	;;#ASMEND
	;;#ASMSTART
	v_dot2_f32_f16 v79, v86, v94, v79
	;;#ASMEND
	;; [unrolled: 13-line block ×5, first 2 shown]
	;;#ASMSTART
	v_dot2_f32_f16 v80, v103, v91, v80
	;;#ASMEND
	;;#ASMSTART
	v_dot2_f32_f16 v80, v104, v92, v80
	;;#ASMEND
	;; [unrolled: 3-line block ×12, first 2 shown]
	s_waitcnt lgkmcnt(1)
	;;#ASMSTART
	v_dot2_f32_f16 v72, v107, v87, v72
	;;#ASMEND
	;;#ASMSTART
	v_dot2_f32_f16 v72, v108, v88, v72
	;;#ASMEND
	;; [unrolled: 3-line block ×16, first 2 shown]
	s_waitcnt lgkmcnt(0)
	;;#ASMSTART
	v_dot2_f32_f16 v73, v111, v87, v73
	;;#ASMEND
	;;#ASMSTART
	v_dot2_f32_f16 v73, v112, v88, v73
	;;#ASMEND
	;; [unrolled: 3-line block ×16, first 2 shown]
	ds_load_b128 v[83:86], v42 offset:80
	ds_load_b128 v[87:90], v43 offset:80
	;; [unrolled: 1-line block ×8, first 2 shown]
	s_waitcnt lgkmcnt(6)
	;;#ASMSTART
	v_dot2_f32_f16 v70, v83, v87, v70
	;;#ASMEND
	;;#ASMSTART
	v_dot2_f32_f16 v70, v84, v88, v70
	;;#ASMEND
	;;#ASMSTART
	v_dot2_f32_f16 v70, v85, v89, v70
	;;#ASMEND
	;;#ASMSTART
	v_dot2_f32_f16 v70, v86, v90, v70
	;;#ASMEND
	s_waitcnt lgkmcnt(5)
	;;#ASMSTART
	v_dot2_f32_f16 v79, v83, v91, v79
	;;#ASMEND
	;;#ASMSTART
	v_dot2_f32_f16 v79, v84, v92, v79
	;;#ASMEND
	;;#ASMSTART
	v_dot2_f32_f16 v79, v85, v93, v79
	;;#ASMEND
	;;#ASMSTART
	v_dot2_f32_f16 v79, v86, v94, v79
	;;#ASMEND
	s_waitcnt lgkmcnt(4)
	;;#ASMSTART
	v_dot2_f32_f16 v75, v83, v95, v75
	;;#ASMEND
	;;#ASMSTART
	v_dot2_f32_f16 v75, v84, v96, v75
	;;#ASMEND
	;;#ASMSTART
	v_dot2_f32_f16 v75, v85, v97, v75
	;;#ASMEND
	;;#ASMSTART
	v_dot2_f32_f16 v75, v86, v98, v75
	;;#ASMEND
	s_waitcnt lgkmcnt(3)
	;;#ASMSTART
	v_dot2_f32_f16 v66, v83, v99, v66
	;;#ASMEND
	;;#ASMSTART
	v_dot2_f32_f16 v66, v84, v100, v66
	;;#ASMEND
	;;#ASMSTART
	v_dot2_f32_f16 v66, v85, v101, v66
	;;#ASMEND
	;;#ASMSTART
	v_dot2_f32_f16 v66, v86, v102, v66
	;;#ASMEND
	s_waitcnt lgkmcnt(2)
	;;#ASMSTART
	v_dot2_f32_f16 v71, v103, v87, v71
	;;#ASMEND
	;;#ASMSTART
	v_dot2_f32_f16 v71, v104, v88, v71
	;;#ASMEND
	;;#ASMSTART
	v_dot2_f32_f16 v71, v105, v89, v71
	;;#ASMEND
	;;#ASMSTART
	v_dot2_f32_f16 v71, v106, v90, v71
	;;#ASMEND
	;;#ASMSTART
	v_dot2_f32_f16 v80, v103, v91, v80
	;;#ASMEND
	;;#ASMSTART
	v_dot2_f32_f16 v80, v104, v92, v80
	;;#ASMEND
	;; [unrolled: 3-line block ×12, first 2 shown]
	s_waitcnt lgkmcnt(1)
	;;#ASMSTART
	v_dot2_f32_f16 v72, v107, v87, v72
	;;#ASMEND
	;;#ASMSTART
	v_dot2_f32_f16 v72, v108, v88, v72
	;;#ASMEND
	;; [unrolled: 3-line block ×16, first 2 shown]
	s_waitcnt lgkmcnt(0)
	;;#ASMSTART
	v_dot2_f32_f16 v73, v111, v87, v73
	;;#ASMEND
	;;#ASMSTART
	v_dot2_f32_f16 v73, v112, v88, v73
	;;#ASMEND
	;; [unrolled: 3-line block ×16, first 2 shown]
	ds_load_b128 v[83:86], v42 offset:96
	ds_load_b128 v[87:90], v43 offset:96
	;; [unrolled: 1-line block ×8, first 2 shown]
	s_waitcnt lgkmcnt(6)
	;;#ASMSTART
	v_dot2_f32_f16 v70, v83, v87, v70
	;;#ASMEND
	;;#ASMSTART
	v_dot2_f32_f16 v70, v84, v88, v70
	;;#ASMEND
	;;#ASMSTART
	v_dot2_f32_f16 v70, v85, v89, v70
	;;#ASMEND
	;;#ASMSTART
	v_dot2_f32_f16 v70, v86, v90, v70
	;;#ASMEND
	s_waitcnt lgkmcnt(5)
	;;#ASMSTART
	v_dot2_f32_f16 v79, v83, v91, v79
	;;#ASMEND
	;;#ASMSTART
	v_dot2_f32_f16 v79, v84, v92, v79
	;;#ASMEND
	;;#ASMSTART
	v_dot2_f32_f16 v79, v85, v93, v79
	;;#ASMEND
	;;#ASMSTART
	v_dot2_f32_f16 v79, v86, v94, v79
	;;#ASMEND
	s_waitcnt lgkmcnt(4)
	;;#ASMSTART
	v_dot2_f32_f16 v75, v83, v95, v75
	;;#ASMEND
	;;#ASMSTART
	v_dot2_f32_f16 v75, v84, v96, v75
	;;#ASMEND
	;;#ASMSTART
	v_dot2_f32_f16 v75, v85, v97, v75
	;;#ASMEND
	;;#ASMSTART
	v_dot2_f32_f16 v75, v86, v98, v75
	;;#ASMEND
	s_waitcnt lgkmcnt(3)
	;;#ASMSTART
	v_dot2_f32_f16 v66, v83, v99, v66
	;;#ASMEND
	;;#ASMSTART
	v_dot2_f32_f16 v66, v84, v100, v66
	;;#ASMEND
	;;#ASMSTART
	v_dot2_f32_f16 v66, v85, v101, v66
	;;#ASMEND
	;;#ASMSTART
	v_dot2_f32_f16 v66, v86, v102, v66
	;;#ASMEND
	s_waitcnt lgkmcnt(2)
	;;#ASMSTART
	v_dot2_f32_f16 v71, v103, v87, v71
	;;#ASMEND
	;;#ASMSTART
	v_dot2_f32_f16 v71, v104, v88, v71
	;;#ASMEND
	;;#ASMSTART
	v_dot2_f32_f16 v71, v105, v89, v71
	;;#ASMEND
	;;#ASMSTART
	v_dot2_f32_f16 v71, v106, v90, v71
	;;#ASMEND
	;;#ASMSTART
	v_dot2_f32_f16 v80, v103, v91, v80
	;;#ASMEND
	;;#ASMSTART
	v_dot2_f32_f16 v80, v104, v92, v80
	;;#ASMEND
	;; [unrolled: 3-line block ×12, first 2 shown]
	s_waitcnt lgkmcnt(1)
	;;#ASMSTART
	v_dot2_f32_f16 v72, v107, v87, v72
	;;#ASMEND
	;;#ASMSTART
	v_dot2_f32_f16 v72, v108, v88, v72
	;;#ASMEND
	;;#ASMSTART
	v_dot2_f32_f16 v72, v109, v89, v72
	;;#ASMEND
	;;#ASMSTART
	v_dot2_f32_f16 v72, v110, v90, v72
	;;#ASMEND
	;;#ASMSTART
	v_dot2_f32_f16 v81, v107, v91, v81
	;;#ASMEND
	;;#ASMSTART
	v_dot2_f32_f16 v81, v108, v92, v81
	;;#ASMEND
	;;#ASMSTART
	v_dot2_f32_f16 v81, v109, v93, v81
	;;#ASMEND
	;;#ASMSTART
	v_dot2_f32_f16 v81, v110, v94, v81
	;;#ASMEND
	;;#ASMSTART
	v_dot2_f32_f16 v77, v107, v95, v77
	;;#ASMEND
	;;#ASMSTART
	v_dot2_f32_f16 v77, v108, v96, v77
	;;#ASMEND
	;;#ASMSTART
	v_dot2_f32_f16 v77, v109, v97, v77
	;;#ASMEND
	;;#ASMSTART
	v_dot2_f32_f16 v77, v110, v98, v77
	;;#ASMEND
	;;#ASMSTART
	v_dot2_f32_f16 v68, v107, v99, v68
	;;#ASMEND
	;;#ASMSTART
	v_dot2_f32_f16 v68, v108, v100, v68
	;;#ASMEND
	;;#ASMSTART
	v_dot2_f32_f16 v68, v109, v101, v68
	;;#ASMEND
	;;#ASMSTART
	v_dot2_f32_f16 v68, v110, v102, v68
	;;#ASMEND
	s_waitcnt lgkmcnt(0)
	;;#ASMSTART
	v_dot2_f32_f16 v73, v111, v87, v73
	;;#ASMEND
	;;#ASMSTART
	v_dot2_f32_f16 v73, v112, v88, v73
	;;#ASMEND
	;; [unrolled: 3-line block ×16, first 2 shown]
	ds_load_b128 v[83:86], v42 offset:112
	ds_load_b128 v[87:90], v43 offset:112
	;; [unrolled: 1-line block ×8, first 2 shown]
	s_waitcnt lgkmcnt(6)
	;;#ASMSTART
	v_dot2_f32_f16 v70, v83, v87, v70
	;;#ASMEND
	;;#ASMSTART
	v_dot2_f32_f16 v70, v84, v88, v70
	;;#ASMEND
	;;#ASMSTART
	v_dot2_f32_f16 v70, v85, v89, v70
	;;#ASMEND
	;;#ASMSTART
	v_dot2_f32_f16 v70, v86, v90, v70
	;;#ASMEND
	s_waitcnt lgkmcnt(5)
	;;#ASMSTART
	v_dot2_f32_f16 v79, v83, v91, v79
	;;#ASMEND
	;;#ASMSTART
	v_dot2_f32_f16 v79, v84, v92, v79
	;;#ASMEND
	;;#ASMSTART
	v_dot2_f32_f16 v79, v85, v93, v79
	;;#ASMEND
	;;#ASMSTART
	v_dot2_f32_f16 v79, v86, v94, v79
	;;#ASMEND
	;; [unrolled: 13-line block ×5, first 2 shown]
	;;#ASMSTART
	v_dot2_f32_f16 v80, v103, v91, v80
	;;#ASMEND
	;;#ASMSTART
	v_dot2_f32_f16 v80, v104, v92, v80
	;;#ASMEND
	;; [unrolled: 3-line block ×12, first 2 shown]
	s_waitcnt lgkmcnt(1)
	;;#ASMSTART
	v_dot2_f32_f16 v72, v107, v87, v72
	;;#ASMEND
	;;#ASMSTART
	v_dot2_f32_f16 v72, v108, v88, v72
	;;#ASMEND
	;; [unrolled: 3-line block ×16, first 2 shown]
	s_waitcnt lgkmcnt(0)
	;;#ASMSTART
	v_dot2_f32_f16 v73, v111, v87, v73
	;;#ASMEND
	;;#ASMSTART
	v_dot2_f32_f16 v73, v112, v88, v73
	;;#ASMEND
	;; [unrolled: 3-line block ×16, first 2 shown]
	s_barrier
	buffer_gl0_inv
	s_clause 0x3
	global_load_b128 v[83:86], v[0:1], off offset:128
	global_load_b128 v[0:3], v[2:3], off offset:128
	global_load_b128 v[87:90], v[4:5], off offset:128
	global_load_b128 v[4:7], v[6:7], off offset:128
	s_waitcnt vmcnt(3)
	ds_store_b128 v38, v[83:86]
	s_waitcnt vmcnt(2)
	ds_store_b128 v39, v[0:3]
	;; [unrolled: 2-line block ×4, first 2 shown]
	s_waitcnt lgkmcnt(0)
	s_barrier
	buffer_gl0_inv
	ds_load_b128 v[0:3], v42
	ds_load_b128 v[4:7], v43 offset:128
	ds_load_b128 v[83:86], v43 offset:384
	;; [unrolled: 1-line block ×7, first 2 shown]
	s_waitcnt lgkmcnt(6)
	;;#ASMSTART
	v_dot2_f32_f16 v70, v0, v4, v70
	;;#ASMEND
	;;#ASMSTART
	v_dot2_f32_f16 v70, v1, v5, v70
	;;#ASMEND
	;;#ASMSTART
	v_dot2_f32_f16 v70, v2, v6, v70
	;;#ASMEND
	;;#ASMSTART
	v_dot2_f32_f16 v70, v3, v7, v70
	;;#ASMEND
	s_waitcnt lgkmcnt(5)
	;;#ASMSTART
	v_dot2_f32_f16 v79, v0, v83, v79
	;;#ASMEND
	;;#ASMSTART
	v_dot2_f32_f16 v79, v1, v84, v79
	;;#ASMEND
	;;#ASMSTART
	v_dot2_f32_f16 v79, v2, v85, v79
	;;#ASMEND
	;;#ASMSTART
	v_dot2_f32_f16 v79, v3, v86, v79
	;;#ASMEND
	s_waitcnt lgkmcnt(4)
	;;#ASMSTART
	v_dot2_f32_f16 v75, v0, v87, v75
	;;#ASMEND
	;;#ASMSTART
	v_dot2_f32_f16 v75, v1, v88, v75
	;;#ASMEND
	;;#ASMSTART
	v_dot2_f32_f16 v75, v2, v89, v75
	;;#ASMEND
	;;#ASMSTART
	v_dot2_f32_f16 v75, v3, v90, v75
	;;#ASMEND
	s_waitcnt lgkmcnt(3)
	;;#ASMSTART
	v_dot2_f32_f16 v66, v0, v91, v66
	;;#ASMEND
	;;#ASMSTART
	v_dot2_f32_f16 v66, v1, v92, v66
	;;#ASMEND
	;;#ASMSTART
	v_dot2_f32_f16 v66, v2, v93, v66
	;;#ASMEND
	;;#ASMSTART
	v_dot2_f32_f16 v66, v3, v94, v66
	;;#ASMEND
	s_waitcnt lgkmcnt(2)
	;;#ASMSTART
	v_dot2_f32_f16 v71, v95, v4, v71
	;;#ASMEND
	;;#ASMSTART
	v_dot2_f32_f16 v71, v96, v5, v71
	;;#ASMEND
	;;#ASMSTART
	v_dot2_f32_f16 v71, v97, v6, v71
	;;#ASMEND
	;;#ASMSTART
	v_dot2_f32_f16 v71, v98, v7, v71
	;;#ASMEND
	;;#ASMSTART
	v_dot2_f32_f16 v80, v95, v83, v80
	;;#ASMEND
	;;#ASMSTART
	v_dot2_f32_f16 v80, v96, v84, v80
	;;#ASMEND
	;; [unrolled: 3-line block ×12, first 2 shown]
	s_waitcnt lgkmcnt(1)
	;;#ASMSTART
	v_dot2_f32_f16 v72, v99, v4, v72
	;;#ASMEND
	;;#ASMSTART
	v_dot2_f32_f16 v72, v100, v5, v72
	;;#ASMEND
	;; [unrolled: 3-line block ×16, first 2 shown]
	s_waitcnt lgkmcnt(0)
	;;#ASMSTART
	v_dot2_f32_f16 v73, v103, v4, v73
	;;#ASMEND
	;;#ASMSTART
	v_dot2_f32_f16 v73, v104, v5, v73
	;;#ASMEND
	;; [unrolled: 3-line block ×16, first 2 shown]
	ds_load_b128 v[0:3], v42 offset:16
	ds_load_b128 v[4:7], v43 offset:144
	ds_load_b128 v[83:86], v43 offset:400
	ds_load_b128 v[87:90], v43 offset:656
	ds_load_b128 v[91:94], v43 offset:912
	ds_load_b128 v[95:98], v42 offset:4624
	ds_load_b128 v[99:102], v42 offset:9232
	ds_load_b128 v[103:106], v42 offset:13840
	s_waitcnt lgkmcnt(6)
	;;#ASMSTART
	v_dot2_f32_f16 v70, v0, v4, v70
	;;#ASMEND
	;;#ASMSTART
	v_dot2_f32_f16 v70, v1, v5, v70
	;;#ASMEND
	;;#ASMSTART
	v_dot2_f32_f16 v70, v2, v6, v70
	;;#ASMEND
	;;#ASMSTART
	v_dot2_f32_f16 v70, v3, v7, v70
	;;#ASMEND
	s_waitcnt lgkmcnt(5)
	;;#ASMSTART
	v_dot2_f32_f16 v79, v0, v83, v79
	;;#ASMEND
	;;#ASMSTART
	v_dot2_f32_f16 v79, v1, v84, v79
	;;#ASMEND
	;;#ASMSTART
	v_dot2_f32_f16 v79, v2, v85, v79
	;;#ASMEND
	;;#ASMSTART
	v_dot2_f32_f16 v79, v3, v86, v79
	;;#ASMEND
	;; [unrolled: 13-line block ×5, first 2 shown]
	;;#ASMSTART
	v_dot2_f32_f16 v80, v95, v83, v80
	;;#ASMEND
	;;#ASMSTART
	v_dot2_f32_f16 v80, v96, v84, v80
	;;#ASMEND
	;; [unrolled: 3-line block ×12, first 2 shown]
	s_waitcnt lgkmcnt(1)
	;;#ASMSTART
	v_dot2_f32_f16 v72, v99, v4, v72
	;;#ASMEND
	;;#ASMSTART
	v_dot2_f32_f16 v72, v100, v5, v72
	;;#ASMEND
	;; [unrolled: 3-line block ×16, first 2 shown]
	s_waitcnt lgkmcnt(0)
	;;#ASMSTART
	v_dot2_f32_f16 v73, v103, v4, v73
	;;#ASMEND
	;;#ASMSTART
	v_dot2_f32_f16 v73, v104, v5, v73
	;;#ASMEND
	;; [unrolled: 3-line block ×16, first 2 shown]
	ds_load_b128 v[0:3], v42 offset:32
	ds_load_b128 v[4:7], v43 offset:160
	;; [unrolled: 1-line block ×8, first 2 shown]
	s_waitcnt lgkmcnt(6)
	;;#ASMSTART
	v_dot2_f32_f16 v70, v0, v4, v70
	;;#ASMEND
	;;#ASMSTART
	v_dot2_f32_f16 v70, v1, v5, v70
	;;#ASMEND
	;;#ASMSTART
	v_dot2_f32_f16 v70, v2, v6, v70
	;;#ASMEND
	;;#ASMSTART
	v_dot2_f32_f16 v70, v3, v7, v70
	;;#ASMEND
	s_waitcnt lgkmcnt(5)
	;;#ASMSTART
	v_dot2_f32_f16 v79, v0, v83, v79
	;;#ASMEND
	;;#ASMSTART
	v_dot2_f32_f16 v79, v1, v84, v79
	;;#ASMEND
	;;#ASMSTART
	v_dot2_f32_f16 v79, v2, v85, v79
	;;#ASMEND
	;;#ASMSTART
	v_dot2_f32_f16 v79, v3, v86, v79
	;;#ASMEND
	;; [unrolled: 13-line block ×5, first 2 shown]
	;;#ASMSTART
	v_dot2_f32_f16 v80, v95, v83, v80
	;;#ASMEND
	;;#ASMSTART
	v_dot2_f32_f16 v80, v96, v84, v80
	;;#ASMEND
	;; [unrolled: 3-line block ×12, first 2 shown]
	s_waitcnt lgkmcnt(1)
	;;#ASMSTART
	v_dot2_f32_f16 v72, v99, v4, v72
	;;#ASMEND
	;;#ASMSTART
	v_dot2_f32_f16 v72, v100, v5, v72
	;;#ASMEND
	;; [unrolled: 3-line block ×16, first 2 shown]
	s_waitcnt lgkmcnt(0)
	;;#ASMSTART
	v_dot2_f32_f16 v73, v103, v4, v73
	;;#ASMEND
	;;#ASMSTART
	v_dot2_f32_f16 v73, v104, v5, v73
	;;#ASMEND
	;; [unrolled: 3-line block ×16, first 2 shown]
	ds_load_b128 v[0:3], v42 offset:48
	ds_load_b128 v[4:7], v43 offset:176
	;; [unrolled: 1-line block ×8, first 2 shown]
	s_waitcnt lgkmcnt(6)
	;;#ASMSTART
	v_dot2_f32_f16 v70, v0, v4, v70
	;;#ASMEND
	;;#ASMSTART
	v_dot2_f32_f16 v70, v1, v5, v70
	;;#ASMEND
	;;#ASMSTART
	v_dot2_f32_f16 v70, v2, v6, v70
	;;#ASMEND
	;;#ASMSTART
	v_dot2_f32_f16 v70, v3, v7, v70
	;;#ASMEND
	s_waitcnt lgkmcnt(5)
	;;#ASMSTART
	v_dot2_f32_f16 v79, v0, v83, v79
	;;#ASMEND
	;;#ASMSTART
	v_dot2_f32_f16 v79, v1, v84, v79
	;;#ASMEND
	;;#ASMSTART
	v_dot2_f32_f16 v79, v2, v85, v79
	;;#ASMEND
	;;#ASMSTART
	v_dot2_f32_f16 v79, v3, v86, v79
	;;#ASMEND
	;; [unrolled: 13-line block ×5, first 2 shown]
	;;#ASMSTART
	v_dot2_f32_f16 v80, v95, v83, v80
	;;#ASMEND
	;;#ASMSTART
	v_dot2_f32_f16 v80, v96, v84, v80
	;;#ASMEND
	;; [unrolled: 3-line block ×12, first 2 shown]
	s_waitcnt lgkmcnt(1)
	;;#ASMSTART
	v_dot2_f32_f16 v72, v99, v4, v72
	;;#ASMEND
	;;#ASMSTART
	v_dot2_f32_f16 v72, v100, v5, v72
	;;#ASMEND
	;; [unrolled: 3-line block ×16, first 2 shown]
	s_waitcnt lgkmcnt(0)
	;;#ASMSTART
	v_dot2_f32_f16 v73, v103, v4, v73
	;;#ASMEND
	;;#ASMSTART
	v_dot2_f32_f16 v73, v104, v5, v73
	;;#ASMEND
	;; [unrolled: 3-line block ×16, first 2 shown]
	ds_load_b128 v[0:3], v42 offset:64
	ds_load_b128 v[4:7], v43 offset:192
	;; [unrolled: 1-line block ×8, first 2 shown]
	s_waitcnt lgkmcnt(6)
	;;#ASMSTART
	v_dot2_f32_f16 v70, v0, v4, v70
	;;#ASMEND
	;;#ASMSTART
	v_dot2_f32_f16 v70, v1, v5, v70
	;;#ASMEND
	;;#ASMSTART
	v_dot2_f32_f16 v70, v2, v6, v70
	;;#ASMEND
	;;#ASMSTART
	v_dot2_f32_f16 v70, v3, v7, v70
	;;#ASMEND
	s_waitcnt lgkmcnt(5)
	;;#ASMSTART
	v_dot2_f32_f16 v79, v0, v83, v79
	;;#ASMEND
	;;#ASMSTART
	v_dot2_f32_f16 v79, v1, v84, v79
	;;#ASMEND
	;;#ASMSTART
	v_dot2_f32_f16 v79, v2, v85, v79
	;;#ASMEND
	;;#ASMSTART
	v_dot2_f32_f16 v79, v3, v86, v79
	;;#ASMEND
	;; [unrolled: 13-line block ×5, first 2 shown]
	;;#ASMSTART
	v_dot2_f32_f16 v80, v95, v83, v80
	;;#ASMEND
	;;#ASMSTART
	v_dot2_f32_f16 v80, v96, v84, v80
	;;#ASMEND
	;; [unrolled: 3-line block ×12, first 2 shown]
	s_waitcnt lgkmcnt(1)
	;;#ASMSTART
	v_dot2_f32_f16 v72, v99, v4, v72
	;;#ASMEND
	;;#ASMSTART
	v_dot2_f32_f16 v72, v100, v5, v72
	;;#ASMEND
	;; [unrolled: 3-line block ×16, first 2 shown]
	s_waitcnt lgkmcnt(0)
	;;#ASMSTART
	v_dot2_f32_f16 v73, v103, v4, v73
	;;#ASMEND
	;;#ASMSTART
	v_dot2_f32_f16 v73, v104, v5, v73
	;;#ASMEND
	;; [unrolled: 3-line block ×16, first 2 shown]
	ds_load_b128 v[0:3], v42 offset:80
	ds_load_b128 v[4:7], v43 offset:208
	;; [unrolled: 1-line block ×8, first 2 shown]
	s_waitcnt lgkmcnt(6)
	;;#ASMSTART
	v_dot2_f32_f16 v70, v0, v4, v70
	;;#ASMEND
	;;#ASMSTART
	v_dot2_f32_f16 v70, v1, v5, v70
	;;#ASMEND
	;;#ASMSTART
	v_dot2_f32_f16 v70, v2, v6, v70
	;;#ASMEND
	;;#ASMSTART
	v_dot2_f32_f16 v70, v3, v7, v70
	;;#ASMEND
	s_waitcnt lgkmcnt(5)
	;;#ASMSTART
	v_dot2_f32_f16 v79, v0, v83, v79
	;;#ASMEND
	;;#ASMSTART
	v_dot2_f32_f16 v79, v1, v84, v79
	;;#ASMEND
	;;#ASMSTART
	v_dot2_f32_f16 v79, v2, v85, v79
	;;#ASMEND
	;;#ASMSTART
	v_dot2_f32_f16 v79, v3, v86, v79
	;;#ASMEND
	;; [unrolled: 13-line block ×5, first 2 shown]
	;;#ASMSTART
	v_dot2_f32_f16 v80, v95, v83, v80
	;;#ASMEND
	;;#ASMSTART
	v_dot2_f32_f16 v80, v96, v84, v80
	;;#ASMEND
	;; [unrolled: 3-line block ×12, first 2 shown]
	s_waitcnt lgkmcnt(1)
	;;#ASMSTART
	v_dot2_f32_f16 v72, v99, v4, v72
	;;#ASMEND
	;;#ASMSTART
	v_dot2_f32_f16 v72, v100, v5, v72
	;;#ASMEND
	;; [unrolled: 3-line block ×16, first 2 shown]
	s_waitcnt lgkmcnt(0)
	;;#ASMSTART
	v_dot2_f32_f16 v73, v103, v4, v73
	;;#ASMEND
	;;#ASMSTART
	v_dot2_f32_f16 v73, v104, v5, v73
	;;#ASMEND
	;; [unrolled: 3-line block ×16, first 2 shown]
	ds_load_b128 v[0:3], v42 offset:96
	ds_load_b128 v[4:7], v43 offset:224
	;; [unrolled: 1-line block ×8, first 2 shown]
	s_waitcnt lgkmcnt(6)
	;;#ASMSTART
	v_dot2_f32_f16 v70, v0, v4, v70
	;;#ASMEND
	;;#ASMSTART
	v_dot2_f32_f16 v70, v1, v5, v70
	;;#ASMEND
	;;#ASMSTART
	v_dot2_f32_f16 v70, v2, v6, v70
	;;#ASMEND
	;;#ASMSTART
	v_dot2_f32_f16 v70, v3, v7, v70
	;;#ASMEND
	s_waitcnt lgkmcnt(5)
	;;#ASMSTART
	v_dot2_f32_f16 v79, v0, v83, v79
	;;#ASMEND
	;;#ASMSTART
	v_dot2_f32_f16 v79, v1, v84, v79
	;;#ASMEND
	;;#ASMSTART
	v_dot2_f32_f16 v79, v2, v85, v79
	;;#ASMEND
	;;#ASMSTART
	v_dot2_f32_f16 v79, v3, v86, v79
	;;#ASMEND
	;; [unrolled: 13-line block ×5, first 2 shown]
	;;#ASMSTART
	v_dot2_f32_f16 v80, v95, v83, v80
	;;#ASMEND
	;;#ASMSTART
	v_dot2_f32_f16 v80, v96, v84, v80
	;;#ASMEND
	;;#ASMSTART
	v_dot2_f32_f16 v80, v97, v85, v80
	;;#ASMEND
	;;#ASMSTART
	v_dot2_f32_f16 v80, v98, v86, v80
	;;#ASMEND
	;;#ASMSTART
	v_dot2_f32_f16 v76, v95, v87, v76
	;;#ASMEND
	;;#ASMSTART
	v_dot2_f32_f16 v76, v96, v88, v76
	;;#ASMEND
	;;#ASMSTART
	v_dot2_f32_f16 v76, v97, v89, v76
	;;#ASMEND
	;;#ASMSTART
	v_dot2_f32_f16 v76, v98, v90, v76
	;;#ASMEND
	;;#ASMSTART
	v_dot2_f32_f16 v67, v95, v91, v67
	;;#ASMEND
	;;#ASMSTART
	v_dot2_f32_f16 v67, v96, v92, v67
	;;#ASMEND
	;;#ASMSTART
	v_dot2_f32_f16 v67, v97, v93, v67
	;;#ASMEND
	;;#ASMSTART
	v_dot2_f32_f16 v67, v98, v94, v67
	;;#ASMEND
	s_waitcnt lgkmcnt(1)
	;;#ASMSTART
	v_dot2_f32_f16 v72, v99, v4, v72
	;;#ASMEND
	;;#ASMSTART
	v_dot2_f32_f16 v72, v100, v5, v72
	;;#ASMEND
	;; [unrolled: 3-line block ×16, first 2 shown]
	s_waitcnt lgkmcnt(0)
	;;#ASMSTART
	v_dot2_f32_f16 v73, v103, v4, v73
	;;#ASMEND
	;;#ASMSTART
	v_dot2_f32_f16 v73, v104, v5, v73
	;;#ASMEND
	;; [unrolled: 3-line block ×16, first 2 shown]
	ds_load_b128 v[0:3], v42 offset:112
	ds_load_b128 v[4:7], v43 offset:240
	;; [unrolled: 1-line block ×8, first 2 shown]
	s_waitcnt lgkmcnt(6)
	;;#ASMSTART
	v_dot2_f32_f16 v70, v0, v4, v70
	;;#ASMEND
	;;#ASMSTART
	v_dot2_f32_f16 v70, v1, v5, v70
	;;#ASMEND
	;;#ASMSTART
	v_dot2_f32_f16 v70, v2, v6, v70
	;;#ASMEND
	;;#ASMSTART
	v_dot2_f32_f16 v70, v3, v7, v70
	;;#ASMEND
	s_waitcnt lgkmcnt(5)
	;;#ASMSTART
	v_dot2_f32_f16 v79, v0, v83, v79
	;;#ASMEND
	;;#ASMSTART
	v_dot2_f32_f16 v79, v1, v84, v79
	;;#ASMEND
	;;#ASMSTART
	v_dot2_f32_f16 v79, v2, v85, v79
	;;#ASMEND
	;;#ASMSTART
	v_dot2_f32_f16 v79, v3, v86, v79
	;;#ASMEND
	;; [unrolled: 13-line block ×5, first 2 shown]
	;;#ASMSTART
	v_dot2_f32_f16 v80, v95, v83, v80
	;;#ASMEND
	;;#ASMSTART
	v_dot2_f32_f16 v80, v96, v84, v80
	;;#ASMEND
	;; [unrolled: 3-line block ×12, first 2 shown]
	s_waitcnt lgkmcnt(1)
	;;#ASMSTART
	v_dot2_f32_f16 v72, v99, v4, v72
	;;#ASMEND
	;;#ASMSTART
	v_dot2_f32_f16 v72, v100, v5, v72
	;;#ASMEND
	;; [unrolled: 3-line block ×16, first 2 shown]
	s_waitcnt lgkmcnt(0)
	;;#ASMSTART
	v_dot2_f32_f16 v73, v103, v4, v73
	;;#ASMEND
	;;#ASMSTART
	v_dot2_f32_f16 v73, v104, v5, v73
	;;#ASMEND
	;;#ASMSTART
	v_dot2_f32_f16 v73, v105, v6, v73
	;;#ASMEND
	;;#ASMSTART
	v_dot2_f32_f16 v73, v106, v7, v73
	;;#ASMEND
	;;#ASMSTART
	v_dot2_f32_f16 v82, v103, v83, v82
	;;#ASMEND
	;;#ASMSTART
	v_dot2_f32_f16 v82, v104, v84, v82
	;;#ASMEND
	;;#ASMSTART
	v_dot2_f32_f16 v82, v105, v85, v82
	;;#ASMEND
	;;#ASMSTART
	v_dot2_f32_f16 v82, v106, v86, v82
	;;#ASMEND
	;;#ASMSTART
	v_dot2_f32_f16 v78, v103, v87, v78
	;;#ASMEND
	v_cmp_ngt_f32_e64 s19, 0x3f200000, |v70|
	;;#ASMSTART
	v_dot2_f32_f16 v78, v104, v88, v78
	;;#ASMEND
	;;#ASMSTART
	v_dot2_f32_f16 v78, v105, v89, v78
	;;#ASMEND
	;; [unrolled: 3-line block ×7, first 2 shown]
                                        ; implicit-def: $vgpr2
	s_and_saveexec_b32 s20, s19
	s_delay_alu instid0(SALU_CYCLE_1)
	s_xor_b32 s19, exec_lo, s20
	s_cbranch_execz .LBB81_11
; %bb.10:                               ;   in Loop: Header=BB81_9 Depth=1
	v_add_f32_e64 v0, |v70|, |v70|
	s_delay_alu instid0(VALU_DEP_1) | instskip(SKIP_1) | instid1(VALU_DEP_2)
	v_mul_f32_e32 v1, 0x3fb8aa3b, v0
	v_cmp_ngt_f32_e32 vcc_lo, 0xc2ce8ed0, v0
	v_rndne_f32_e32 v2, v1
	v_fma_f32 v3, 0x3fb8aa3b, v0, -v1
	s_delay_alu instid0(VALU_DEP_2) | instskip(NEXT) | instid1(VALU_DEP_2)
	v_sub_f32_e32 v1, v1, v2
	v_fmac_f32_e32 v3, 0x32a5705f, v0
	v_cvt_i32_f32_e32 v2, v2
	s_delay_alu instid0(VALU_DEP_2) | instskip(NEXT) | instid1(VALU_DEP_1)
	v_add_f32_e32 v1, v1, v3
	v_exp_f32_e32 v1, v1
	s_waitcnt_depctr 0xfff
	v_ldexp_f32 v1, v1, v2
	s_delay_alu instid0(VALU_DEP_1) | instskip(SKIP_1) | instid1(VALU_DEP_2)
	v_cndmask_b32_e32 v1, 0, v1, vcc_lo
	v_cmp_nlt_f32_e32 vcc_lo, 0x42b17218, v0
	v_cndmask_b32_e32 v0, 0x7f800000, v1, vcc_lo
	s_delay_alu instid0(VALU_DEP_1) | instskip(NEXT) | instid1(VALU_DEP_1)
	v_add_f32_e32 v0, 1.0, v0
	v_rcp_f32_e32 v0, v0
	s_waitcnt_depctr 0xfff
	v_fma_f32 v2, v0, -2.0, 1.0
.LBB81_11:                              ;   in Loop: Header=BB81_9 Depth=1
	s_and_not1_saveexec_b32 s19, s19
; %bb.12:                               ;   in Loop: Header=BB81_9 Depth=1
	v_mul_f32_e32 v0, v70, v70
	s_delay_alu instid0(VALU_DEP_1) | instskip(NEXT) | instid1(VALU_DEP_1)
	v_fmaak_f32 v1, s18, v0, 0x3ca908c9
	v_fmaak_f32 v1, v0, v1, 0xbd5c1c4e
	s_delay_alu instid0(VALU_DEP_1) | instskip(NEXT) | instid1(VALU_DEP_1)
	v_fmaak_f32 v1, v0, v1, 0x3e088382
	v_fmaak_f32 v1, v0, v1, 0xbeaaaa99
	s_delay_alu instid0(VALU_DEP_1) | instskip(NEXT) | instid1(VALU_DEP_1)
	v_mul_f32_e64 v1, |v70|, v1
	v_fma_f32 v2, v0, v1, |v70|
; %bb.13:                               ;   in Loop: Header=BB81_9 Depth=1
	s_or_b32 exec_lo, exec_lo, s19
	v_add_nc_u32_e32 v90, s3, v35
	v_cmp_ngt_f32_e64 s19, 0x3f200000, |v71|
                                        ; implicit-def: $vgpr3
	s_delay_alu instid0(VALU_DEP_2) | instskip(NEXT) | instid1(VALU_DEP_1)
	v_add_nc_u32_e32 v0, v90, v44
	v_ashrrev_i32_e32 v1, 31, v0
	s_delay_alu instid0(VALU_DEP_1) | instskip(NEXT) | instid1(VALU_DEP_1)
	v_lshlrev_b64 v[0:1], 1, v[0:1]
	v_add_co_u32 v0, vcc_lo, s36, v0
	s_delay_alu instid0(VALU_DEP_2) | instskip(SKIP_2) | instid1(SALU_CYCLE_1)
	v_add_co_ci_u32_e32 v1, vcc_lo, s37, v1, vcc_lo
	flat_load_u16 v86, v[0:1]
	s_and_saveexec_b32 s20, s19
	s_xor_b32 s19, exec_lo, s20
	s_cbranch_execz .LBB81_15
; %bb.14:                               ;   in Loop: Header=BB81_9 Depth=1
	v_add_f32_e64 v3, |v71|, |v71|
	s_delay_alu instid0(VALU_DEP_1) | instskip(SKIP_1) | instid1(VALU_DEP_2)
	v_mul_f32_e32 v4, 0x3fb8aa3b, v3
	v_cmp_ngt_f32_e32 vcc_lo, 0xc2ce8ed0, v3
	v_rndne_f32_e32 v5, v4
	v_fma_f32 v6, 0x3fb8aa3b, v3, -v4
	s_delay_alu instid0(VALU_DEP_2) | instskip(NEXT) | instid1(VALU_DEP_2)
	v_sub_f32_e32 v4, v4, v5
	v_fmac_f32_e32 v6, 0x32a5705f, v3
	v_cvt_i32_f32_e32 v5, v5
	s_delay_alu instid0(VALU_DEP_2) | instskip(NEXT) | instid1(VALU_DEP_1)
	v_add_f32_e32 v4, v4, v6
	v_exp_f32_e32 v4, v4
	s_waitcnt_depctr 0xfff
	v_ldexp_f32 v4, v4, v5
	s_delay_alu instid0(VALU_DEP_1) | instskip(SKIP_1) | instid1(VALU_DEP_2)
	v_cndmask_b32_e32 v4, 0, v4, vcc_lo
	v_cmp_nlt_f32_e32 vcc_lo, 0x42b17218, v3
	v_cndmask_b32_e32 v3, 0x7f800000, v4, vcc_lo
	s_delay_alu instid0(VALU_DEP_1) | instskip(NEXT) | instid1(VALU_DEP_1)
	v_add_f32_e32 v3, 1.0, v3
	v_rcp_f32_e32 v3, v3
	s_waitcnt_depctr 0xfff
	v_fma_f32 v3, v3, -2.0, 1.0
.LBB81_15:                              ;   in Loop: Header=BB81_9 Depth=1
	s_and_not1_saveexec_b32 s19, s19
; %bb.16:                               ;   in Loop: Header=BB81_9 Depth=1
	v_mul_f32_e32 v3, v71, v71
	s_delay_alu instid0(VALU_DEP_1) | instskip(NEXT) | instid1(VALU_DEP_1)
	v_fmaak_f32 v4, s18, v3, 0x3ca908c9
	v_fmaak_f32 v4, v3, v4, 0xbd5c1c4e
	s_delay_alu instid0(VALU_DEP_1) | instskip(NEXT) | instid1(VALU_DEP_1)
	v_fmaak_f32 v4, v3, v4, 0x3e088382
	v_fmaak_f32 v4, v3, v4, 0xbeaaaa99
	s_delay_alu instid0(VALU_DEP_1) | instskip(NEXT) | instid1(VALU_DEP_1)
	v_mul_f32_e64 v4, |v71|, v4
	v_fma_f32 v3, v3, v4, |v71|
; %bb.17:                               ;   in Loop: Header=BB81_9 Depth=1
	s_or_b32 exec_lo, exec_lo, s19
	flat_load_u16 v91, v[0:1] offset:64
	v_cmp_ngt_f32_e64 s19, 0x3f200000, |v72|
                                        ; implicit-def: $vgpr6
	s_delay_alu instid0(VALU_DEP_1) | instskip(NEXT) | instid1(SALU_CYCLE_1)
	s_and_saveexec_b32 s20, s19
	s_xor_b32 s19, exec_lo, s20
	s_cbranch_execz .LBB81_19
; %bb.18:                               ;   in Loop: Header=BB81_9 Depth=1
	v_add_f32_e64 v4, |v72|, |v72|
	s_delay_alu instid0(VALU_DEP_1) | instskip(SKIP_1) | instid1(VALU_DEP_2)
	v_mul_f32_e32 v5, 0x3fb8aa3b, v4
	v_cmp_ngt_f32_e32 vcc_lo, 0xc2ce8ed0, v4
	v_rndne_f32_e32 v6, v5
	v_fma_f32 v7, 0x3fb8aa3b, v4, -v5
	s_delay_alu instid0(VALU_DEP_2) | instskip(NEXT) | instid1(VALU_DEP_2)
	v_sub_f32_e32 v5, v5, v6
	v_fmac_f32_e32 v7, 0x32a5705f, v4
	v_cvt_i32_f32_e32 v6, v6
	s_delay_alu instid0(VALU_DEP_2) | instskip(NEXT) | instid1(VALU_DEP_1)
	v_add_f32_e32 v5, v5, v7
	v_exp_f32_e32 v5, v5
	s_waitcnt_depctr 0xfff
	v_ldexp_f32 v5, v5, v6
	s_delay_alu instid0(VALU_DEP_1) | instskip(SKIP_1) | instid1(VALU_DEP_2)
	v_cndmask_b32_e32 v5, 0, v5, vcc_lo
	v_cmp_nlt_f32_e32 vcc_lo, 0x42b17218, v4
	v_cndmask_b32_e32 v4, 0x7f800000, v5, vcc_lo
	s_delay_alu instid0(VALU_DEP_1) | instskip(NEXT) | instid1(VALU_DEP_1)
	v_add_f32_e32 v4, 1.0, v4
	v_rcp_f32_e32 v4, v4
	s_waitcnt_depctr 0xfff
	v_fma_f32 v6, v4, -2.0, 1.0
.LBB81_19:                              ;   in Loop: Header=BB81_9 Depth=1
	s_and_not1_saveexec_b32 s19, s19
; %bb.20:                               ;   in Loop: Header=BB81_9 Depth=1
	v_mul_f32_e32 v4, v72, v72
	s_delay_alu instid0(VALU_DEP_1) | instskip(NEXT) | instid1(VALU_DEP_1)
	v_fmaak_f32 v5, s18, v4, 0x3ca908c9
	v_fmaak_f32 v5, v4, v5, 0xbd5c1c4e
	s_delay_alu instid0(VALU_DEP_1) | instskip(NEXT) | instid1(VALU_DEP_1)
	v_fmaak_f32 v5, v4, v5, 0x3e088382
	v_fmaak_f32 v5, v4, v5, 0xbeaaaa99
	s_delay_alu instid0(VALU_DEP_1) | instskip(NEXT) | instid1(VALU_DEP_1)
	v_mul_f32_e64 v5, |v72|, v5
	v_fma_f32 v6, v4, v5, |v72|
; %bb.21:                               ;   in Loop: Header=BB81_9 Depth=1
	s_or_b32 exec_lo, exec_lo, s19
	flat_load_u16 v92, v[0:1] offset:128
	v_cmp_ngt_f32_e64 s19, 0x3f200000, |v73|
                                        ; implicit-def: $vgpr7
	s_delay_alu instid0(VALU_DEP_1) | instskip(NEXT) | instid1(SALU_CYCLE_1)
	s_and_saveexec_b32 s20, s19
	s_xor_b32 s19, exec_lo, s20
	s_cbranch_execz .LBB81_23
; %bb.22:                               ;   in Loop: Header=BB81_9 Depth=1
	v_add_f32_e64 v4, |v73|, |v73|
	s_delay_alu instid0(VALU_DEP_1) | instskip(SKIP_1) | instid1(VALU_DEP_2)
	v_mul_f32_e32 v5, 0x3fb8aa3b, v4
	v_cmp_ngt_f32_e32 vcc_lo, 0xc2ce8ed0, v4
	v_rndne_f32_e32 v7, v5
	v_fma_f32 v74, 0x3fb8aa3b, v4, -v5
	s_delay_alu instid0(VALU_DEP_1) | instskip(SKIP_1) | instid1(VALU_DEP_2)
	v_dual_sub_f32 v5, v5, v7 :: v_dual_fmac_f32 v74, 0x32a5705f, v4
	v_cvt_i32_f32_e32 v7, v7
	v_add_f32_e32 v5, v5, v74
	s_delay_alu instid0(VALU_DEP_1) | instskip(SKIP_2) | instid1(VALU_DEP_1)
	v_exp_f32_e32 v5, v5
	s_waitcnt_depctr 0xfff
	v_ldexp_f32 v5, v5, v7
	v_cndmask_b32_e32 v5, 0, v5, vcc_lo
	v_cmp_nlt_f32_e32 vcc_lo, 0x42b17218, v4
	s_delay_alu instid0(VALU_DEP_2) | instskip(NEXT) | instid1(VALU_DEP_1)
	v_cndmask_b32_e32 v4, 0x7f800000, v5, vcc_lo
	v_add_f32_e32 v4, 1.0, v4
	s_delay_alu instid0(VALU_DEP_1)
	v_rcp_f32_e32 v4, v4
	s_waitcnt_depctr 0xfff
	v_fma_f32 v7, v4, -2.0, 1.0
.LBB81_23:                              ;   in Loop: Header=BB81_9 Depth=1
	s_and_not1_saveexec_b32 s19, s19
; %bb.24:                               ;   in Loop: Header=BB81_9 Depth=1
	v_mul_f32_e32 v4, v73, v73
	s_delay_alu instid0(VALU_DEP_1) | instskip(NEXT) | instid1(VALU_DEP_1)
	v_fmaak_f32 v5, s18, v4, 0x3ca908c9
	v_fmaak_f32 v5, v4, v5, 0xbd5c1c4e
	s_delay_alu instid0(VALU_DEP_1) | instskip(NEXT) | instid1(VALU_DEP_1)
	v_fmaak_f32 v5, v4, v5, 0x3e088382
	v_fmaak_f32 v5, v4, v5, 0xbeaaaa99
	s_delay_alu instid0(VALU_DEP_1) | instskip(NEXT) | instid1(VALU_DEP_1)
	v_mul_f32_e64 v5, |v73|, v5
	v_fma_f32 v7, v4, v5, |v73|
; %bb.25:                               ;   in Loop: Header=BB81_9 Depth=1
	s_or_b32 exec_lo, exec_lo, s19
	flat_load_u16 v0, v[0:1] offset:192
	v_bfi_b32 v1, 0x7fffffff, v2, v70
	v_bfi_b32 v2, 0x7fffffff, v3, v71
	;; [unrolled: 1-line block ×3, first 2 shown]
	v_xor_b32_e32 v74, 16, v36
	v_xor_b32_e32 v73, 8, v36
	s_waitcnt vmcnt(3) lgkmcnt(3)
	v_fma_mix_f32 v4, v1, s8, v86 op_sel_hi:[0,0,1]
	s_waitcnt vmcnt(2) lgkmcnt(2)
	v_fma_mix_f32 v5, v2, s8, v91 op_sel_hi:[0,0,1]
	v_bfi_b32 v1, 0x7fffffff, v6, v72
	v_cmp_gt_i32_e32 vcc_lo, 32, v74
	v_xor_b32_e32 v72, 4, v36
	s_delay_alu instid0(VALU_DEP_4)
	v_dual_add_f32 v2, 0x40051340, v4 :: v_dual_add_f32 v7, 0x40051340, v5
	s_waitcnt vmcnt(1) lgkmcnt(1)
	v_fma_mix_f32 v6, v1, s8, v92 op_sel_hi:[0,0,1]
	v_xor_b32_e32 v71, 2, v36
	v_xor_b32_e32 v70, 1, v36
	v_cmp_ngt_f32_e64 s19, 0x3f200000, |v79|
	v_max3_f32 v1, v65, v2, v7
	s_waitcnt vmcnt(0) lgkmcnt(0)
	v_fma_mix_f32 v83, v3, s8, v0 op_sel_hi:[0,0,1]
	v_add_f32_e32 v2, 0x40051340, v6
	v_cndmask_b32_e32 v3, v36, v74, vcc_lo
	v_cmp_gt_i32_e32 vcc_lo, 32, v73
	s_delay_alu instid0(VALU_DEP_4) | instskip(NEXT) | instid1(VALU_DEP_3)
	v_add_f32_e32 v7, 0x40051340, v83
	v_dual_cndmask_b32 v3, v36, v73 :: v_dual_lshlrev_b32 v88, 2, v3
	v_cmp_gt_i32_e32 vcc_lo, 32, v72
	s_delay_alu instid0(VALU_DEP_3)
	v_max3_f32 v1, v1, v2, v7
	ds_bpermute_b32 v2, v88, v1
	s_waitcnt lgkmcnt(0)
	v_max_f32_e32 v2, v2, v2
	v_dual_cndmask_b32 v3, v36, v72 :: v_dual_lshlrev_b32 v84, 2, v3
	v_cmp_gt_i32_e32 vcc_lo, 32, v71
	s_delay_alu instid0(VALU_DEP_3) | instskip(NEXT) | instid1(VALU_DEP_3)
	v_max_f32_e32 v1, v1, v2
	v_lshlrev_b32_e32 v7, 2, v3
	ds_bpermute_b32 v2, v84, v1
	s_waitcnt lgkmcnt(0)
	v_max_f32_e32 v2, v2, v2
	s_delay_alu instid0(VALU_DEP_1)
	v_max_f32_e32 v1, v1, v2
	ds_bpermute_b32 v2, v7, v1
	v_cndmask_b32_e32 v3, v36, v71, vcc_lo
	v_cmp_gt_i32_e32 vcc_lo, 32, v70
	v_cndmask_b32_e32 v85, v36, v70, vcc_lo
	s_waitcnt lgkmcnt(0)
	s_delay_alu instid0(VALU_DEP_3) | instskip(NEXT) | instid1(VALU_DEP_1)
	v_dual_max_f32 v2, v2, v2 :: v_dual_lshlrev_b32 v3, 2, v3
	v_max_f32_e32 v1, v1, v2
	ds_bpermute_b32 v2, v3, v1
	s_waitcnt lgkmcnt(0)
	v_dual_max_f32 v87, v2, v2 :: v_dual_lshlrev_b32 v2, 2, v85
	s_delay_alu instid0(VALU_DEP_1) | instskip(SKIP_2) | instid1(SALU_CYCLE_1)
	v_max_f32_e32 v85, v1, v87
                                        ; implicit-def: $vgpr1
	ds_bpermute_b32 v89, v2, v85
	s_and_saveexec_b32 s20, s19
	s_xor_b32 s19, exec_lo, s20
	s_cbranch_execz .LBB81_27
; %bb.26:                               ;   in Loop: Header=BB81_9 Depth=1
	v_add_f32_e64 v1, |v79|, |v79|
	s_delay_alu instid0(VALU_DEP_1) | instskip(SKIP_1) | instid1(VALU_DEP_2)
	v_mul_f32_e32 v87, 0x3fb8aa3b, v1
	v_cmp_ngt_f32_e32 vcc_lo, 0xc2ce8ed0, v1
	v_rndne_f32_e32 v93, v87
	v_fma_f32 v94, 0x3fb8aa3b, v1, -v87
	s_delay_alu instid0(VALU_DEP_2) | instskip(NEXT) | instid1(VALU_DEP_2)
	v_sub_f32_e32 v87, v87, v93
	v_fmac_f32_e32 v94, 0x32a5705f, v1
	v_cvt_i32_f32_e32 v93, v93
	s_delay_alu instid0(VALU_DEP_2) | instskip(NEXT) | instid1(VALU_DEP_1)
	v_add_f32_e32 v87, v87, v94
	v_exp_f32_e32 v87, v87
	s_waitcnt_depctr 0xfff
	v_ldexp_f32 v87, v87, v93
	s_delay_alu instid0(VALU_DEP_1) | instskip(SKIP_1) | instid1(VALU_DEP_2)
	v_cndmask_b32_e32 v87, 0, v87, vcc_lo
	v_cmp_nlt_f32_e32 vcc_lo, 0x42b17218, v1
	v_cndmask_b32_e32 v1, 0x7f800000, v87, vcc_lo
	s_delay_alu instid0(VALU_DEP_1) | instskip(NEXT) | instid1(VALU_DEP_1)
	v_add_f32_e32 v1, 1.0, v1
	v_rcp_f32_e32 v1, v1
	s_waitcnt_depctr 0xfff
	v_fma_f32 v1, v1, -2.0, 1.0
.LBB81_27:                              ;   in Loop: Header=BB81_9 Depth=1
	s_and_not1_saveexec_b32 s19, s19
; %bb.28:                               ;   in Loop: Header=BB81_9 Depth=1
	v_mul_f32_e32 v1, v79, v79
	s_delay_alu instid0(VALU_DEP_1) | instskip(NEXT) | instid1(VALU_DEP_1)
	v_fmaak_f32 v87, s18, v1, 0x3ca908c9
	v_fmaak_f32 v87, v1, v87, 0xbd5c1c4e
	s_delay_alu instid0(VALU_DEP_1) | instskip(NEXT) | instid1(VALU_DEP_1)
	v_fmaak_f32 v87, v1, v87, 0x3e088382
	v_fmaak_f32 v87, v1, v87, 0xbeaaaa99
	s_delay_alu instid0(VALU_DEP_1) | instskip(NEXT) | instid1(VALU_DEP_1)
	v_mul_f32_e64 v87, |v79|, v87
	v_fma_f32 v1, v1, v87, |v79|
; %bb.29:                               ;   in Loop: Header=BB81_9 Depth=1
	s_or_b32 exec_lo, exec_lo, s19
	v_cmp_ngt_f32_e64 s19, 0x3f200000, |v80|
                                        ; implicit-def: $vgpr93
	s_delay_alu instid0(VALU_DEP_1) | instskip(NEXT) | instid1(SALU_CYCLE_1)
	s_and_saveexec_b32 s20, s19
	s_xor_b32 s19, exec_lo, s20
	s_cbranch_execz .LBB81_31
; %bb.30:                               ;   in Loop: Header=BB81_9 Depth=1
	v_add_f32_e64 v87, |v80|, |v80|
	s_delay_alu instid0(VALU_DEP_1) | instskip(SKIP_1) | instid1(VALU_DEP_2)
	v_mul_f32_e32 v93, 0x3fb8aa3b, v87
	v_cmp_ngt_f32_e32 vcc_lo, 0xc2ce8ed0, v87
	v_rndne_f32_e32 v94, v93
	v_fma_f32 v95, 0x3fb8aa3b, v87, -v93
	s_delay_alu instid0(VALU_DEP_2) | instskip(NEXT) | instid1(VALU_DEP_2)
	v_sub_f32_e32 v93, v93, v94
	v_fmac_f32_e32 v95, 0x32a5705f, v87
	v_cvt_i32_f32_e32 v94, v94
	s_delay_alu instid0(VALU_DEP_2) | instskip(NEXT) | instid1(VALU_DEP_1)
	v_add_f32_e32 v93, v93, v95
	v_exp_f32_e32 v93, v93
	s_waitcnt_depctr 0xfff
	v_ldexp_f32 v93, v93, v94
	s_delay_alu instid0(VALU_DEP_1) | instskip(SKIP_1) | instid1(VALU_DEP_2)
	v_cndmask_b32_e32 v93, 0, v93, vcc_lo
	v_cmp_nlt_f32_e32 vcc_lo, 0x42b17218, v87
	v_cndmask_b32_e32 v87, 0x7f800000, v93, vcc_lo
	s_delay_alu instid0(VALU_DEP_1) | instskip(NEXT) | instid1(VALU_DEP_1)
	v_add_f32_e32 v87, 1.0, v87
	v_rcp_f32_e32 v87, v87
	s_waitcnt_depctr 0xfff
	v_fma_f32 v93, v87, -2.0, 1.0
.LBB81_31:                              ;   in Loop: Header=BB81_9 Depth=1
	s_and_not1_saveexec_b32 s19, s19
; %bb.32:                               ;   in Loop: Header=BB81_9 Depth=1
	v_mul_f32_e32 v87, v80, v80
	s_delay_alu instid0(VALU_DEP_1) | instskip(NEXT) | instid1(VALU_DEP_1)
	v_fmaak_f32 v93, s18, v87, 0x3ca908c9
	v_fmaak_f32 v93, v87, v93, 0xbd5c1c4e
	s_delay_alu instid0(VALU_DEP_1) | instskip(NEXT) | instid1(VALU_DEP_1)
	v_fmaak_f32 v93, v87, v93, 0x3e088382
	v_fmaak_f32 v93, v87, v93, 0xbeaaaa99
	s_delay_alu instid0(VALU_DEP_1) | instskip(NEXT) | instid1(VALU_DEP_1)
	v_mul_f32_e64 v93, |v80|, v93
	v_fma_f32 v93, v87, v93, |v80|
; %bb.33:                               ;   in Loop: Header=BB81_9 Depth=1
	s_or_b32 exec_lo, exec_lo, s19
	v_cmp_ngt_f32_e64 s19, 0x3f200000, |v81|
                                        ; implicit-def: $vgpr94
	s_delay_alu instid0(VALU_DEP_1) | instskip(NEXT) | instid1(SALU_CYCLE_1)
	s_and_saveexec_b32 s20, s19
	s_xor_b32 s19, exec_lo, s20
	s_cbranch_execz .LBB81_35
; %bb.34:                               ;   in Loop: Header=BB81_9 Depth=1
	v_add_f32_e64 v87, |v81|, |v81|
	s_delay_alu instid0(VALU_DEP_1) | instskip(SKIP_1) | instid1(VALU_DEP_2)
	v_mul_f32_e32 v94, 0x3fb8aa3b, v87
	v_cmp_ngt_f32_e32 vcc_lo, 0xc2ce8ed0, v87
	v_rndne_f32_e32 v95, v94
	v_fma_f32 v96, 0x3fb8aa3b, v87, -v94
	s_delay_alu instid0(VALU_DEP_2) | instskip(NEXT) | instid1(VALU_DEP_2)
	v_sub_f32_e32 v94, v94, v95
	v_fmac_f32_e32 v96, 0x32a5705f, v87
	v_cvt_i32_f32_e32 v95, v95
	s_delay_alu instid0(VALU_DEP_2) | instskip(NEXT) | instid1(VALU_DEP_1)
	v_add_f32_e32 v94, v94, v96
	v_exp_f32_e32 v94, v94
	s_waitcnt_depctr 0xfff
	v_ldexp_f32 v94, v94, v95
	s_delay_alu instid0(VALU_DEP_1) | instskip(SKIP_1) | instid1(VALU_DEP_2)
	v_cndmask_b32_e32 v94, 0, v94, vcc_lo
	v_cmp_nlt_f32_e32 vcc_lo, 0x42b17218, v87
	v_cndmask_b32_e32 v87, 0x7f800000, v94, vcc_lo
	s_delay_alu instid0(VALU_DEP_1) | instskip(NEXT) | instid1(VALU_DEP_1)
	v_add_f32_e32 v87, 1.0, v87
	v_rcp_f32_e32 v87, v87
	s_waitcnt_depctr 0xfff
	v_fma_f32 v94, v87, -2.0, 1.0
.LBB81_35:                              ;   in Loop: Header=BB81_9 Depth=1
	s_and_not1_saveexec_b32 s19, s19
; %bb.36:                               ;   in Loop: Header=BB81_9 Depth=1
	v_mul_f32_e32 v87, v81, v81
	s_delay_alu instid0(VALU_DEP_1) | instskip(NEXT) | instid1(VALU_DEP_1)
	v_fmaak_f32 v94, s18, v87, 0x3ca908c9
	v_fmaak_f32 v94, v87, v94, 0xbd5c1c4e
	s_delay_alu instid0(VALU_DEP_1) | instskip(NEXT) | instid1(VALU_DEP_1)
	v_fmaak_f32 v94, v87, v94, 0x3e088382
	v_fmaak_f32 v94, v87, v94, 0xbeaaaa99
	s_delay_alu instid0(VALU_DEP_1) | instskip(NEXT) | instid1(VALU_DEP_1)
	v_mul_f32_e64 v94, |v81|, v94
	v_fma_f32 v94, v87, v94, |v81|
; %bb.37:                               ;   in Loop: Header=BB81_9 Depth=1
	s_or_b32 exec_lo, exec_lo, s19
	v_cmp_ngt_f32_e64 s19, 0x3f200000, |v82|
                                        ; implicit-def: $vgpr95
	s_delay_alu instid0(VALU_DEP_1) | instskip(NEXT) | instid1(SALU_CYCLE_1)
	s_and_saveexec_b32 s20, s19
	s_xor_b32 s19, exec_lo, s20
	s_cbranch_execz .LBB81_39
; %bb.38:                               ;   in Loop: Header=BB81_9 Depth=1
	v_add_f32_e64 v87, |v82|, |v82|
	s_delay_alu instid0(VALU_DEP_1) | instskip(SKIP_1) | instid1(VALU_DEP_2)
	v_mul_f32_e32 v95, 0x3fb8aa3b, v87
	v_cmp_ngt_f32_e32 vcc_lo, 0xc2ce8ed0, v87
	v_rndne_f32_e32 v96, v95
	v_fma_f32 v97, 0x3fb8aa3b, v87, -v95
	s_delay_alu instid0(VALU_DEP_2) | instskip(NEXT) | instid1(VALU_DEP_2)
	v_sub_f32_e32 v95, v95, v96
	v_fmac_f32_e32 v97, 0x32a5705f, v87
	v_cvt_i32_f32_e32 v96, v96
	s_delay_alu instid0(VALU_DEP_2) | instskip(NEXT) | instid1(VALU_DEP_1)
	v_add_f32_e32 v95, v95, v97
	v_exp_f32_e32 v95, v95
	s_waitcnt_depctr 0xfff
	v_ldexp_f32 v95, v95, v96
	s_delay_alu instid0(VALU_DEP_1) | instskip(SKIP_1) | instid1(VALU_DEP_2)
	v_cndmask_b32_e32 v95, 0, v95, vcc_lo
	v_cmp_nlt_f32_e32 vcc_lo, 0x42b17218, v87
	v_cndmask_b32_e32 v87, 0x7f800000, v95, vcc_lo
	s_delay_alu instid0(VALU_DEP_1) | instskip(NEXT) | instid1(VALU_DEP_1)
	v_add_f32_e32 v87, 1.0, v87
	v_rcp_f32_e32 v87, v87
	s_waitcnt_depctr 0xfff
	v_fma_f32 v95, v87, -2.0, 1.0
.LBB81_39:                              ;   in Loop: Header=BB81_9 Depth=1
	s_and_not1_saveexec_b32 s19, s19
; %bb.40:                               ;   in Loop: Header=BB81_9 Depth=1
	v_mul_f32_e32 v87, v82, v82
	s_delay_alu instid0(VALU_DEP_1) | instskip(NEXT) | instid1(VALU_DEP_1)
	v_fmaak_f32 v95, s18, v87, 0x3ca908c9
	v_fmaak_f32 v95, v87, v95, 0xbd5c1c4e
	s_delay_alu instid0(VALU_DEP_1) | instskip(NEXT) | instid1(VALU_DEP_1)
	v_fmaak_f32 v95, v87, v95, 0x3e088382
	v_fmaak_f32 v95, v87, v95, 0xbeaaaa99
	s_delay_alu instid0(VALU_DEP_1) | instskip(NEXT) | instid1(VALU_DEP_1)
	v_mul_f32_e64 v95, |v82|, v95
	v_fma_f32 v95, v87, v95, |v82|
; %bb.41:                               ;   in Loop: Header=BB81_9 Depth=1
	s_or_b32 exec_lo, exec_lo, s19
	v_cvt_f32_f16_e32 v87, v86
	v_bfi_b32 v1, 0x7fffffff, v1, v79
	v_cvt_f32_f16_e32 v86, v91
	v_bfi_b32 v91, 0x7fffffff, v93, v80
	v_cvt_f32_f16_e32 v80, v92
	v_cvt_f32_f16_e32 v79, v0
	v_fmac_f32_e32 v87, s8, v1
	v_bfi_b32 v0, 0x7fffffff, v94, v81
	v_fmac_f32_e32 v86, s8, v91
	v_bfi_b32 v1, 0x7fffffff, v95, v82
	v_cmp_ngt_f32_e64 s19, 0x3f200000, |v75|
	s_delay_alu instid0(VALU_DEP_4) | instskip(NEXT) | instid1(VALU_DEP_3)
	v_dual_add_f32 v81, 0x40051340, v87 :: v_dual_fmac_f32 v80, s8, v0
	v_dual_add_f32 v0, 0x40051340, v86 :: v_dual_fmac_f32 v79, s8, v1
	s_delay_alu instid0(VALU_DEP_2) | instskip(NEXT) | instid1(VALU_DEP_2)
	v_add_f32_e32 v1, 0x40051340, v80
	v_max3_f32 v0, v63, v81, v0
	s_delay_alu instid0(VALU_DEP_3) | instskip(NEXT) | instid1(VALU_DEP_1)
	v_add_f32_e32 v81, 0x40051340, v79
	v_max3_f32 v0, v0, v1, v81
                                        ; implicit-def: $vgpr81
	ds_bpermute_b32 v1, v88, v0
	s_waitcnt lgkmcnt(0)
	v_max_f32_e32 v1, v1, v1
	s_delay_alu instid0(VALU_DEP_1) | instskip(SKIP_3) | instid1(VALU_DEP_1)
	v_max_f32_e32 v0, v0, v1
	ds_bpermute_b32 v1, v84, v0
	s_waitcnt lgkmcnt(0)
	v_max_f32_e32 v1, v1, v1
	v_max_f32_e32 v0, v0, v1
	ds_bpermute_b32 v1, v7, v0
	s_waitcnt lgkmcnt(0)
	v_max_f32_e32 v1, v1, v1
	s_delay_alu instid0(VALU_DEP_1) | instskip(SKIP_3) | instid1(VALU_DEP_1)
	v_max_f32_e32 v0, v0, v1
	ds_bpermute_b32 v1, v3, v0
	s_waitcnt lgkmcnt(0)
	v_max_f32_e32 v1, v1, v1
	v_max_f32_e32 v94, v0, v1
	ds_bpermute_b32 v95, v2, v94
	s_and_saveexec_b32 s20, s19
	s_delay_alu instid0(SALU_CYCLE_1)
	s_xor_b32 s19, exec_lo, s20
	s_cbranch_execz .LBB81_43
; %bb.42:                               ;   in Loop: Header=BB81_9 Depth=1
	v_add_f32_e64 v0, |v75|, |v75|
	s_delay_alu instid0(VALU_DEP_1) | instskip(SKIP_1) | instid1(VALU_DEP_2)
	v_mul_f32_e32 v1, 0x3fb8aa3b, v0
	v_cmp_ngt_f32_e32 vcc_lo, 0xc2ce8ed0, v0
	v_rndne_f32_e32 v81, v1
	v_fma_f32 v82, 0x3fb8aa3b, v0, -v1
	s_delay_alu instid0(VALU_DEP_1) | instskip(SKIP_1) | instid1(VALU_DEP_2)
	v_dual_sub_f32 v1, v1, v81 :: v_dual_fmac_f32 v82, 0x32a5705f, v0
	v_cvt_i32_f32_e32 v81, v81
	v_add_f32_e32 v1, v1, v82
	s_delay_alu instid0(VALU_DEP_1) | instskip(SKIP_2) | instid1(VALU_DEP_1)
	v_exp_f32_e32 v1, v1
	s_waitcnt_depctr 0xfff
	v_ldexp_f32 v1, v1, v81
	v_cndmask_b32_e32 v1, 0, v1, vcc_lo
	v_cmp_nlt_f32_e32 vcc_lo, 0x42b17218, v0
	s_delay_alu instid0(VALU_DEP_2) | instskip(NEXT) | instid1(VALU_DEP_1)
	v_cndmask_b32_e32 v0, 0x7f800000, v1, vcc_lo
	v_add_f32_e32 v0, 1.0, v0
	s_delay_alu instid0(VALU_DEP_1)
	v_rcp_f32_e32 v0, v0
	s_waitcnt_depctr 0xfff
	v_fma_f32 v81, v0, -2.0, 1.0
.LBB81_43:                              ;   in Loop: Header=BB81_9 Depth=1
	s_and_not1_saveexec_b32 s19, s19
; %bb.44:                               ;   in Loop: Header=BB81_9 Depth=1
	v_mul_f32_e32 v0, v75, v75
	s_delay_alu instid0(VALU_DEP_1) | instskip(NEXT) | instid1(VALU_DEP_1)
	v_fmaak_f32 v1, s18, v0, 0x3ca908c9
	v_fmaak_f32 v1, v0, v1, 0xbd5c1c4e
	s_delay_alu instid0(VALU_DEP_1) | instskip(NEXT) | instid1(VALU_DEP_1)
	v_fmaak_f32 v1, v0, v1, 0x3e088382
	v_fmaak_f32 v1, v0, v1, 0xbeaaaa99
	s_delay_alu instid0(VALU_DEP_1) | instskip(NEXT) | instid1(VALU_DEP_1)
	v_mul_f32_e64 v1, |v75|, v1
	v_fma_f32 v81, v0, v1, |v75|
; %bb.45:                               ;   in Loop: Header=BB81_9 Depth=1
	s_or_b32 exec_lo, exec_lo, s19
	v_add_nc_u32_e32 v0, v90, v45
	v_cmp_ngt_f32_e64 s19, 0x3f200000, |v76|
                                        ; implicit-def: $vgpr82
	s_delay_alu instid0(VALU_DEP_2) | instskip(NEXT) | instid1(VALU_DEP_1)
	v_ashrrev_i32_e32 v1, 31, v0
	v_lshlrev_b64 v[0:1], 1, v[0:1]
	s_delay_alu instid0(VALU_DEP_1) | instskip(NEXT) | instid1(VALU_DEP_2)
	v_add_co_u32 v0, vcc_lo, s36, v0
	v_add_co_ci_u32_e32 v1, vcc_lo, s37, v1, vcc_lo
	flat_load_u16 v90, v[0:1]
	s_and_saveexec_b32 s20, s19
	s_delay_alu instid0(SALU_CYCLE_1)
	s_xor_b32 s19, exec_lo, s20
	s_cbranch_execz .LBB81_47
; %bb.46:                               ;   in Loop: Header=BB81_9 Depth=1
	v_add_f32_e64 v82, |v76|, |v76|
	s_delay_alu instid0(VALU_DEP_1) | instskip(SKIP_1) | instid1(VALU_DEP_2)
	v_mul_f32_e32 v91, 0x3fb8aa3b, v82
	v_cmp_ngt_f32_e32 vcc_lo, 0xc2ce8ed0, v82
	v_rndne_f32_e32 v92, v91
	v_fma_f32 v93, 0x3fb8aa3b, v82, -v91
	s_delay_alu instid0(VALU_DEP_2) | instskip(NEXT) | instid1(VALU_DEP_2)
	v_sub_f32_e32 v91, v91, v92
	v_fmac_f32_e32 v93, 0x32a5705f, v82
	v_cvt_i32_f32_e32 v92, v92
	s_delay_alu instid0(VALU_DEP_2) | instskip(NEXT) | instid1(VALU_DEP_1)
	v_add_f32_e32 v91, v91, v93
	v_exp_f32_e32 v91, v91
	s_waitcnt_depctr 0xfff
	v_ldexp_f32 v91, v91, v92
	s_delay_alu instid0(VALU_DEP_1) | instskip(SKIP_1) | instid1(VALU_DEP_2)
	v_cndmask_b32_e32 v91, 0, v91, vcc_lo
	v_cmp_nlt_f32_e32 vcc_lo, 0x42b17218, v82
	v_cndmask_b32_e32 v82, 0x7f800000, v91, vcc_lo
	s_delay_alu instid0(VALU_DEP_1) | instskip(NEXT) | instid1(VALU_DEP_1)
	v_add_f32_e32 v82, 1.0, v82
	v_rcp_f32_e32 v82, v82
	s_waitcnt_depctr 0xfff
	v_fma_f32 v82, v82, -2.0, 1.0
.LBB81_47:                              ;   in Loop: Header=BB81_9 Depth=1
	s_and_not1_saveexec_b32 s19, s19
; %bb.48:                               ;   in Loop: Header=BB81_9 Depth=1
	v_mul_f32_e32 v82, v76, v76
	s_delay_alu instid0(VALU_DEP_1) | instskip(NEXT) | instid1(VALU_DEP_1)
	v_fmaak_f32 v91, s18, v82, 0x3ca908c9
	v_fmaak_f32 v91, v82, v91, 0xbd5c1c4e
	s_delay_alu instid0(VALU_DEP_1) | instskip(NEXT) | instid1(VALU_DEP_1)
	v_fmaak_f32 v91, v82, v91, 0x3e088382
	v_fmaak_f32 v91, v82, v91, 0xbeaaaa99
	s_delay_alu instid0(VALU_DEP_1) | instskip(NEXT) | instid1(VALU_DEP_1)
	v_mul_f32_e64 v91, |v76|, v91
	v_fma_f32 v82, v82, v91, |v76|
; %bb.49:                               ;   in Loop: Header=BB81_9 Depth=1
	s_or_b32 exec_lo, exec_lo, s19
	flat_load_u16 v91, v[0:1] offset:64
	v_cmp_ngt_f32_e64 s19, 0x3f200000, |v77|
                                        ; implicit-def: $vgpr92
	s_delay_alu instid0(VALU_DEP_1) | instskip(NEXT) | instid1(SALU_CYCLE_1)
	s_and_saveexec_b32 s20, s19
	s_xor_b32 s19, exec_lo, s20
	s_cbranch_execz .LBB81_51
; %bb.50:                               ;   in Loop: Header=BB81_9 Depth=1
	v_add_f32_e64 v92, |v77|, |v77|
	s_delay_alu instid0(VALU_DEP_1) | instskip(SKIP_1) | instid1(VALU_DEP_2)
	v_mul_f32_e32 v93, 0x3fb8aa3b, v92
	v_cmp_ngt_f32_e32 vcc_lo, 0xc2ce8ed0, v92
	v_rndne_f32_e32 v96, v93
	v_fma_f32 v97, 0x3fb8aa3b, v92, -v93
	s_delay_alu instid0(VALU_DEP_2) | instskip(NEXT) | instid1(VALU_DEP_2)
	v_sub_f32_e32 v93, v93, v96
	v_fmac_f32_e32 v97, 0x32a5705f, v92
	v_cvt_i32_f32_e32 v96, v96
	s_delay_alu instid0(VALU_DEP_2) | instskip(NEXT) | instid1(VALU_DEP_1)
	v_add_f32_e32 v93, v93, v97
	v_exp_f32_e32 v93, v93
	s_waitcnt_depctr 0xfff
	v_ldexp_f32 v93, v93, v96
	s_delay_alu instid0(VALU_DEP_1) | instskip(SKIP_1) | instid1(VALU_DEP_2)
	v_cndmask_b32_e32 v93, 0, v93, vcc_lo
	v_cmp_nlt_f32_e32 vcc_lo, 0x42b17218, v92
	v_cndmask_b32_e32 v92, 0x7f800000, v93, vcc_lo
	s_delay_alu instid0(VALU_DEP_1) | instskip(NEXT) | instid1(VALU_DEP_1)
	v_add_f32_e32 v92, 1.0, v92
	v_rcp_f32_e32 v92, v92
	s_waitcnt_depctr 0xfff
	v_fma_f32 v92, v92, -2.0, 1.0
.LBB81_51:                              ;   in Loop: Header=BB81_9 Depth=1
	s_and_not1_saveexec_b32 s19, s19
; %bb.52:                               ;   in Loop: Header=BB81_9 Depth=1
	v_mul_f32_e32 v92, v77, v77
	s_delay_alu instid0(VALU_DEP_1) | instskip(NEXT) | instid1(VALU_DEP_1)
	v_fmaak_f32 v93, s18, v92, 0x3ca908c9
	v_fmaak_f32 v93, v92, v93, 0xbd5c1c4e
	s_delay_alu instid0(VALU_DEP_1) | instskip(NEXT) | instid1(VALU_DEP_1)
	v_fmaak_f32 v93, v92, v93, 0x3e088382
	v_fmaak_f32 v93, v92, v93, 0xbeaaaa99
	s_delay_alu instid0(VALU_DEP_1) | instskip(NEXT) | instid1(VALU_DEP_1)
	v_mul_f32_e64 v93, |v77|, v93
	v_fma_f32 v92, v92, v93, |v77|
; %bb.53:                               ;   in Loop: Header=BB81_9 Depth=1
	s_or_b32 exec_lo, exec_lo, s19
	flat_load_u16 v96, v[0:1] offset:128
	v_cmp_ngt_f32_e64 s19, 0x3f200000, |v78|
                                        ; implicit-def: $vgpr93
	s_delay_alu instid0(VALU_DEP_1) | instskip(NEXT) | instid1(SALU_CYCLE_1)
	s_and_saveexec_b32 s20, s19
	s_xor_b32 s19, exec_lo, s20
	s_cbranch_execz .LBB81_55
; %bb.54:                               ;   in Loop: Header=BB81_9 Depth=1
	v_add_f32_e64 v93, |v78|, |v78|
	s_delay_alu instid0(VALU_DEP_1) | instskip(SKIP_1) | instid1(VALU_DEP_2)
	v_mul_f32_e32 v97, 0x3fb8aa3b, v93
	v_cmp_ngt_f32_e32 vcc_lo, 0xc2ce8ed0, v93
	v_rndne_f32_e32 v98, v97
	v_fma_f32 v99, 0x3fb8aa3b, v93, -v97
	s_delay_alu instid0(VALU_DEP_2) | instskip(NEXT) | instid1(VALU_DEP_2)
	v_sub_f32_e32 v97, v97, v98
	v_fmac_f32_e32 v99, 0x32a5705f, v93
	v_cvt_i32_f32_e32 v98, v98
	s_delay_alu instid0(VALU_DEP_2) | instskip(NEXT) | instid1(VALU_DEP_1)
	v_add_f32_e32 v97, v97, v99
	v_exp_f32_e32 v97, v97
	s_waitcnt_depctr 0xfff
	v_ldexp_f32 v97, v97, v98
	s_delay_alu instid0(VALU_DEP_1) | instskip(SKIP_1) | instid1(VALU_DEP_2)
	v_cndmask_b32_e32 v97, 0, v97, vcc_lo
	v_cmp_nlt_f32_e32 vcc_lo, 0x42b17218, v93
	v_cndmask_b32_e32 v93, 0x7f800000, v97, vcc_lo
	s_delay_alu instid0(VALU_DEP_1) | instskip(NEXT) | instid1(VALU_DEP_1)
	v_add_f32_e32 v93, 1.0, v93
	v_rcp_f32_e32 v93, v93
	s_waitcnt_depctr 0xfff
	v_fma_f32 v93, v93, -2.0, 1.0
.LBB81_55:                              ;   in Loop: Header=BB81_9 Depth=1
	s_and_not1_saveexec_b32 s19, s19
; %bb.56:                               ;   in Loop: Header=BB81_9 Depth=1
	v_mul_f32_e32 v93, v78, v78
	s_delay_alu instid0(VALU_DEP_1) | instskip(NEXT) | instid1(VALU_DEP_1)
	v_fmaak_f32 v97, s18, v93, 0x3ca908c9
	v_fmaak_f32 v97, v93, v97, 0xbd5c1c4e
	s_delay_alu instid0(VALU_DEP_1) | instskip(NEXT) | instid1(VALU_DEP_1)
	v_fmaak_f32 v97, v93, v97, 0x3e088382
	v_fmaak_f32 v97, v93, v97, 0xbeaaaa99
	s_delay_alu instid0(VALU_DEP_1) | instskip(NEXT) | instid1(VALU_DEP_1)
	v_mul_f32_e64 v97, |v78|, v97
	v_fma_f32 v93, v93, v97, |v78|
; %bb.57:                               ;   in Loop: Header=BB81_9 Depth=1
	s_or_b32 exec_lo, exec_lo, s19
	flat_load_u16 v0, v[0:1] offset:192
	v_bfi_b32 v1, 0x7fffffff, v81, v75
	v_bfi_b32 v75, 0x7fffffff, v82, v76
	v_cmp_ngt_f32_e64 s19, 0x3f200000, |v66|
	s_waitcnt vmcnt(3) lgkmcnt(3)
	s_delay_alu instid0(VALU_DEP_3) | instskip(SKIP_4) | instid1(VALU_DEP_3)
	v_fma_mix_f32 v81, v1, s8, v90 op_sel_hi:[0,0,1]
	s_waitcnt vmcnt(2) lgkmcnt(2)
	v_fma_mix_f32 v82, v75, s8, v91 op_sel_hi:[0,0,1]
	v_bfi_b32 v1, 0x7fffffff, v92, v77
	v_bfi_b32 v75, 0x7fffffff, v93, v78
	v_dual_add_f32 v77, 0x40051340, v81 :: v_dual_add_f32 v78, 0x40051340, v82
	s_waitcnt vmcnt(1) lgkmcnt(1)
	s_delay_alu instid0(VALU_DEP_3) | instskip(NEXT) | instid1(VALU_DEP_2)
	v_fma_mix_f32 v76, v1, s8, v96 op_sel_hi:[0,0,1]
	v_max3_f32 v1, v11, v77, v78
	s_waitcnt vmcnt(0) lgkmcnt(0)
	v_fma_mix_f32 v75, v75, s8, v0 op_sel_hi:[0,0,1]
	s_delay_alu instid0(VALU_DEP_1) | instskip(NEXT) | instid1(VALU_DEP_1)
	v_dual_add_f32 v77, 0x40051340, v76 :: v_dual_add_f32 v78, 0x40051340, v75
	v_max3_f32 v1, v1, v77, v78
	ds_bpermute_b32 v77, v88, v1
	s_waitcnt lgkmcnt(0)
	v_max_f32_e32 v77, v77, v77
	s_delay_alu instid0(VALU_DEP_1) | instskip(SKIP_3) | instid1(VALU_DEP_1)
	v_max_f32_e32 v1, v1, v77
	ds_bpermute_b32 v77, v84, v1
	s_waitcnt lgkmcnt(0)
	v_max_f32_e32 v77, v77, v77
	v_max_f32_e32 v1, v1, v77
	ds_bpermute_b32 v77, v7, v1
	s_waitcnt lgkmcnt(0)
	v_max_f32_e32 v77, v77, v77
	s_delay_alu instid0(VALU_DEP_1) | instskip(SKIP_3) | instid1(VALU_DEP_1)
	v_max_f32_e32 v1, v1, v77
	ds_bpermute_b32 v77, v3, v1
	s_waitcnt lgkmcnt(0)
	v_max_f32_e32 v77, v77, v77
	v_max_f32_e32 v77, v1, v77
                                        ; implicit-def: $vgpr1
	ds_bpermute_b32 v78, v2, v77
	s_and_saveexec_b32 s20, s19
	s_delay_alu instid0(SALU_CYCLE_1)
	s_xor_b32 s19, exec_lo, s20
	s_cbranch_execz .LBB81_59
; %bb.58:                               ;   in Loop: Header=BB81_9 Depth=1
	v_add_f32_e64 v1, |v66|, |v66|
	s_delay_alu instid0(VALU_DEP_1) | instskip(SKIP_1) | instid1(VALU_DEP_2)
	v_mul_f32_e32 v92, 0x3fb8aa3b, v1
	v_cmp_ngt_f32_e32 vcc_lo, 0xc2ce8ed0, v1
	v_rndne_f32_e32 v93, v92
	v_fma_f32 v97, 0x3fb8aa3b, v1, -v92
	s_delay_alu instid0(VALU_DEP_2) | instskip(NEXT) | instid1(VALU_DEP_2)
	v_sub_f32_e32 v92, v92, v93
	v_fmac_f32_e32 v97, 0x32a5705f, v1
	v_cvt_i32_f32_e32 v93, v93
	s_delay_alu instid0(VALU_DEP_2) | instskip(NEXT) | instid1(VALU_DEP_1)
	v_add_f32_e32 v92, v92, v97
	v_exp_f32_e32 v92, v92
	s_waitcnt_depctr 0xfff
	v_ldexp_f32 v92, v92, v93
	s_delay_alu instid0(VALU_DEP_1) | instskip(SKIP_1) | instid1(VALU_DEP_2)
	v_cndmask_b32_e32 v92, 0, v92, vcc_lo
	v_cmp_nlt_f32_e32 vcc_lo, 0x42b17218, v1
	v_cndmask_b32_e32 v1, 0x7f800000, v92, vcc_lo
	s_delay_alu instid0(VALU_DEP_1) | instskip(NEXT) | instid1(VALU_DEP_1)
	v_add_f32_e32 v1, 1.0, v1
	v_rcp_f32_e32 v1, v1
	s_waitcnt_depctr 0xfff
	v_fma_f32 v1, v1, -2.0, 1.0
.LBB81_59:                              ;   in Loop: Header=BB81_9 Depth=1
	s_and_not1_saveexec_b32 s19, s19
; %bb.60:                               ;   in Loop: Header=BB81_9 Depth=1
	v_mul_f32_e32 v1, v66, v66
	s_delay_alu instid0(VALU_DEP_1) | instskip(NEXT) | instid1(VALU_DEP_1)
	v_fmaak_f32 v92, s18, v1, 0x3ca908c9
	v_fmaak_f32 v92, v1, v92, 0xbd5c1c4e
	s_delay_alu instid0(VALU_DEP_1) | instskip(NEXT) | instid1(VALU_DEP_1)
	v_fmaak_f32 v92, v1, v92, 0x3e088382
	v_fmaak_f32 v92, v1, v92, 0xbeaaaa99
	s_delay_alu instid0(VALU_DEP_1) | instskip(NEXT) | instid1(VALU_DEP_1)
	v_mul_f32_e64 v92, |v66|, v92
	v_fma_f32 v1, v1, v92, |v66|
; %bb.61:                               ;   in Loop: Header=BB81_9 Depth=1
	s_or_b32 exec_lo, exec_lo, s19
	v_cmp_ngt_f32_e64 s19, 0x3f200000, |v67|
                                        ; implicit-def: $vgpr97
	s_delay_alu instid0(VALU_DEP_1) | instskip(NEXT) | instid1(SALU_CYCLE_1)
	s_and_saveexec_b32 s20, s19
	s_xor_b32 s19, exec_lo, s20
	s_cbranch_execz .LBB81_63
; %bb.62:                               ;   in Loop: Header=BB81_9 Depth=1
	v_add_f32_e64 v92, |v67|, |v67|
	s_delay_alu instid0(VALU_DEP_1) | instskip(SKIP_1) | instid1(VALU_DEP_2)
	v_mul_f32_e32 v93, 0x3fb8aa3b, v92
	v_cmp_ngt_f32_e32 vcc_lo, 0xc2ce8ed0, v92
	v_rndne_f32_e32 v97, v93
	v_fma_f32 v98, 0x3fb8aa3b, v92, -v93
	s_delay_alu instid0(VALU_DEP_1) | instskip(SKIP_1) | instid1(VALU_DEP_2)
	v_dual_sub_f32 v93, v93, v97 :: v_dual_fmac_f32 v98, 0x32a5705f, v92
	v_cvt_i32_f32_e32 v97, v97
	v_add_f32_e32 v93, v93, v98
	s_delay_alu instid0(VALU_DEP_1) | instskip(SKIP_2) | instid1(VALU_DEP_1)
	v_exp_f32_e32 v93, v93
	s_waitcnt_depctr 0xfff
	v_ldexp_f32 v93, v93, v97
	v_cndmask_b32_e32 v93, 0, v93, vcc_lo
	v_cmp_nlt_f32_e32 vcc_lo, 0x42b17218, v92
	s_delay_alu instid0(VALU_DEP_2) | instskip(NEXT) | instid1(VALU_DEP_1)
	v_cndmask_b32_e32 v92, 0x7f800000, v93, vcc_lo
	v_add_f32_e32 v92, 1.0, v92
	s_delay_alu instid0(VALU_DEP_1)
	v_rcp_f32_e32 v92, v92
	s_waitcnt_depctr 0xfff
	v_fma_f32 v97, v92, -2.0, 1.0
.LBB81_63:                              ;   in Loop: Header=BB81_9 Depth=1
	s_and_not1_saveexec_b32 s19, s19
; %bb.64:                               ;   in Loop: Header=BB81_9 Depth=1
	v_mul_f32_e32 v92, v67, v67
	s_delay_alu instid0(VALU_DEP_1) | instskip(NEXT) | instid1(VALU_DEP_1)
	v_fmaak_f32 v93, s18, v92, 0x3ca908c9
	v_fmaak_f32 v93, v92, v93, 0xbd5c1c4e
	s_delay_alu instid0(VALU_DEP_1) | instskip(NEXT) | instid1(VALU_DEP_1)
	v_fmaak_f32 v93, v92, v93, 0x3e088382
	v_fmaak_f32 v93, v92, v93, 0xbeaaaa99
	s_delay_alu instid0(VALU_DEP_1) | instskip(NEXT) | instid1(VALU_DEP_1)
	v_mul_f32_e64 v93, |v67|, v93
	v_fma_f32 v97, v92, v93, |v67|
; %bb.65:                               ;   in Loop: Header=BB81_9 Depth=1
	s_or_b32 exec_lo, exec_lo, s19
	v_cmp_ngt_f32_e64 s19, 0x3f200000, |v68|
                                        ; implicit-def: $vgpr98
	s_delay_alu instid0(VALU_DEP_1) | instskip(NEXT) | instid1(SALU_CYCLE_1)
	s_and_saveexec_b32 s20, s19
	s_xor_b32 s19, exec_lo, s20
	s_cbranch_execz .LBB81_67
; %bb.66:                               ;   in Loop: Header=BB81_9 Depth=1
	v_add_f32_e64 v92, |v68|, |v68|
	s_delay_alu instid0(VALU_DEP_1) | instskip(SKIP_1) | instid1(VALU_DEP_2)
	v_mul_f32_e32 v93, 0x3fb8aa3b, v92
	v_cmp_ngt_f32_e32 vcc_lo, 0xc2ce8ed0, v92
	v_rndne_f32_e32 v98, v93
	v_fma_f32 v99, 0x3fb8aa3b, v92, -v93
	s_delay_alu instid0(VALU_DEP_2) | instskip(NEXT) | instid1(VALU_DEP_2)
	v_sub_f32_e32 v93, v93, v98
	v_fmac_f32_e32 v99, 0x32a5705f, v92
	v_cvt_i32_f32_e32 v98, v98
	s_delay_alu instid0(VALU_DEP_2) | instskip(NEXT) | instid1(VALU_DEP_1)
	v_add_f32_e32 v93, v93, v99
	v_exp_f32_e32 v93, v93
	s_waitcnt_depctr 0xfff
	v_ldexp_f32 v93, v93, v98
	s_delay_alu instid0(VALU_DEP_1) | instskip(SKIP_1) | instid1(VALU_DEP_2)
	v_cndmask_b32_e32 v93, 0, v93, vcc_lo
	v_cmp_nlt_f32_e32 vcc_lo, 0x42b17218, v92
	v_cndmask_b32_e32 v92, 0x7f800000, v93, vcc_lo
	s_delay_alu instid0(VALU_DEP_1) | instskip(NEXT) | instid1(VALU_DEP_1)
	v_add_f32_e32 v92, 1.0, v92
	v_rcp_f32_e32 v92, v92
	s_waitcnt_depctr 0xfff
	v_fma_f32 v98, v92, -2.0, 1.0
.LBB81_67:                              ;   in Loop: Header=BB81_9 Depth=1
	s_and_not1_saveexec_b32 s19, s19
; %bb.68:                               ;   in Loop: Header=BB81_9 Depth=1
	v_mul_f32_e32 v92, v68, v68
	s_delay_alu instid0(VALU_DEP_1) | instskip(NEXT) | instid1(VALU_DEP_1)
	v_fmaak_f32 v93, s18, v92, 0x3ca908c9
	v_fmaak_f32 v93, v92, v93, 0xbd5c1c4e
	s_delay_alu instid0(VALU_DEP_1) | instskip(NEXT) | instid1(VALU_DEP_1)
	v_fmaak_f32 v93, v92, v93, 0x3e088382
	v_fmaak_f32 v93, v92, v93, 0xbeaaaa99
	s_delay_alu instid0(VALU_DEP_1) | instskip(NEXT) | instid1(VALU_DEP_1)
	v_mul_f32_e64 v93, |v68|, v93
	v_fma_f32 v98, v92, v93, |v68|
; %bb.69:                               ;   in Loop: Header=BB81_9 Depth=1
	s_or_b32 exec_lo, exec_lo, s19
	v_cmp_ngt_f32_e64 s19, 0x3f200000, |v69|
                                        ; implicit-def: $vgpr99
	s_delay_alu instid0(VALU_DEP_1) | instskip(NEXT) | instid1(SALU_CYCLE_1)
	s_and_saveexec_b32 s20, s19
	s_xor_b32 s19, exec_lo, s20
	s_cbranch_execz .LBB81_71
; %bb.70:                               ;   in Loop: Header=BB81_9 Depth=1
	v_add_f32_e64 v92, |v69|, |v69|
	s_delay_alu instid0(VALU_DEP_1) | instskip(SKIP_1) | instid1(VALU_DEP_2)
	v_mul_f32_e32 v93, 0x3fb8aa3b, v92
	v_cmp_ngt_f32_e32 vcc_lo, 0xc2ce8ed0, v92
	v_rndne_f32_e32 v99, v93
	v_fma_f32 v100, 0x3fb8aa3b, v92, -v93
	s_delay_alu instid0(VALU_DEP_1) | instskip(SKIP_1) | instid1(VALU_DEP_2)
	v_dual_sub_f32 v93, v93, v99 :: v_dual_fmac_f32 v100, 0x32a5705f, v92
	v_cvt_i32_f32_e32 v99, v99
	v_add_f32_e32 v93, v93, v100
	s_delay_alu instid0(VALU_DEP_1) | instskip(SKIP_2) | instid1(VALU_DEP_1)
	v_exp_f32_e32 v93, v93
	s_waitcnt_depctr 0xfff
	v_ldexp_f32 v93, v93, v99
	v_cndmask_b32_e32 v93, 0, v93, vcc_lo
	v_cmp_nlt_f32_e32 vcc_lo, 0x42b17218, v92
	s_delay_alu instid0(VALU_DEP_2) | instskip(NEXT) | instid1(VALU_DEP_1)
	v_cndmask_b32_e32 v92, 0x7f800000, v93, vcc_lo
	v_add_f32_e32 v92, 1.0, v92
	s_delay_alu instid0(VALU_DEP_1)
	v_rcp_f32_e32 v92, v92
	s_waitcnt_depctr 0xfff
	v_fma_f32 v99, v92, -2.0, 1.0
.LBB81_71:                              ;   in Loop: Header=BB81_9 Depth=1
	s_and_not1_saveexec_b32 s19, s19
; %bb.72:                               ;   in Loop: Header=BB81_9 Depth=1
	v_mul_f32_e32 v92, v69, v69
	s_delay_alu instid0(VALU_DEP_1) | instskip(NEXT) | instid1(VALU_DEP_1)
	v_fmaak_f32 v93, s18, v92, 0x3ca908c9
	v_fmaak_f32 v93, v92, v93, 0xbd5c1c4e
	s_delay_alu instid0(VALU_DEP_1) | instskip(NEXT) | instid1(VALU_DEP_1)
	v_fmaak_f32 v93, v92, v93, 0x3e088382
	v_fmaak_f32 v93, v92, v93, 0xbeaaaa99
	s_delay_alu instid0(VALU_DEP_1) | instskip(NEXT) | instid1(VALU_DEP_1)
	v_mul_f32_e64 v93, |v69|, v93
	v_fma_f32 v99, v92, v93, |v69|
; %bb.73:                               ;   in Loop: Header=BB81_9 Depth=1
	s_or_b32 exec_lo, exec_lo, s19
	v_cvt_f32_f16_e32 v93, v90
	v_bfi_b32 v1, 0x7fffffff, v1, v66
	v_cvt_f32_f16_e32 v92, v91
	v_bfi_b32 v66, 0x7fffffff, v97, v67
	v_cvt_f32_f16_e32 v90, v96
	v_cvt_f32_f16_e32 v91, v0
	v_fmac_f32_e32 v93, s8, v1
	v_bfi_b32 v0, 0x7fffffff, v98, v68
	v_fmac_f32_e32 v92, s8, v66
	v_bfi_b32 v1, 0x7fffffff, v99, v69
	v_max_f32_e32 v69, v85, v85
	s_mul_hi_i32 s21, s3, s10
	v_fmac_f32_e32 v90, s8, v0
	s_mul_i32 s20, s3, s10
	v_fmac_f32_e32 v91, s8, v1
	v_add_f32_e32 v66, 0x40051340, v93
	s_delay_alu instid0(VALU_DEP_3) | instskip(SKIP_1) | instid1(VALU_DEP_3)
	v_dual_add_f32 v0, 0x40051340, v92 :: v_dual_add_f32 v1, 0x40051340, v90
	s_lshl_b64 s[20:21], s[20:21], 2
	v_add_f32_e32 v67, 0x40051340, v91
	s_add_u32 s19, s11, s20
	s_delay_alu instid0(VALU_DEP_2)
	v_max3_f32 v0, v10, v66, v0
	s_addc_u32 s20, s17, s21
	s_waitcnt lgkmcnt(0)
	s_barrier
	buffer_gl0_inv
	v_max3_f32 v66, v0, v1, v67
	v_dual_max_f32 v0, v95, v95 :: v_dual_max_f32 v1, v94, v94
	ds_bpermute_b32 v67, v88, v66
	v_max_f32_e32 v68, v89, v89
	v_max_f32_e32 v1, v1, v0
	s_delay_alu instid0(VALU_DEP_1) | instskip(SKIP_1) | instid1(VALU_DEP_3)
	v_sub_f32_e32 v87, v87, v1
	s_waitcnt lgkmcnt(0)
	v_dual_max_f32 v67, v67, v67 :: v_dual_max_f32 v0, v69, v68
	v_add_co_u32 v68, vcc_lo, s19, v20
	v_add_co_ci_u32_e32 v69, vcc_lo, s20, v21, vcc_lo
	s_delay_alu instid0(VALU_DEP_3)
	v_max_f32_e32 v95, v66, v67
	v_add_co_u32 v85, vcc_lo, s19, v22
	v_add_co_ci_u32_e32 v88, vcc_lo, s20, v23, vcc_lo
	ds_bpermute_b32 v98, v84, v95
	v_add_co_u32 v89, vcc_lo, s19, v24
	v_add_co_ci_u32_e32 v94, vcc_lo, s20, v25, vcc_lo
	v_add_co_u32 v96, vcc_lo, s19, v26
	v_add_co_ci_u32_e32 v97, vcc_lo, s20, v27, vcc_lo
	v_sub_f32_e32 v110, v65, v0
	v_sub_f32_e32 v112, v4, v0
	v_add_co_u32 v4, vcc_lo, v68, v53
	v_sub_f32_e32 v6, v6, v0
	v_sub_f32_e32 v111, v5, v0
	v_add_co_ci_u32_e32 v5, vcc_lo, 0, v69, vcc_lo
	v_add_co_u32 v65, vcc_lo, v85, v53
	s_delay_alu instid0(VALU_DEP_4)
	v_mul_f32_e32 v114, 0x3fb8aa3b, v6
	v_add_co_ci_u32_e32 v66, vcc_lo, 0, v88, vcc_lo
	s_waitcnt lgkmcnt(0)
	v_dual_mul_f32 v88, 0x3fb8aa3b, v87 :: v_dual_max_f32 v69, v98, v98
	v_add_co_u32 v67, vcc_lo, v89, v53
	v_add_co_ci_u32_e32 v68, vcc_lo, 0, v94, vcc_lo
	s_delay_alu instid0(VALU_DEP_3)
	v_max_f32_e32 v69, v95, v69
	v_sub_f32_e32 v113, v83, v0
	v_add_co_u32 v83, vcc_lo, v96, v53
	v_add_co_ci_u32_e32 v84, vcc_lo, 0, v97, vcc_lo
	s_clause 0x3
	global_load_b128 v[94:97], v[4:5], off
	global_load_b128 v[98:101], v[65:66], off
	;; [unrolled: 1-line block ×4, first 2 shown]
	ds_bpermute_b32 v4, v7, v69
	v_mul_f32_e32 v85, 0x3fb8aa3b, v111
	v_mul_f32_e32 v89, 0x3fb8aa3b, v112
	v_fma_f32 v67, 0x3fb8aa3b, v87, -v88
	v_rndne_f32_e32 v68, v88
	v_sub_f32_e32 v80, v80, v1
	v_fma_f32 v65, 0x3fb8aa3b, v111, -v85
	v_rndne_f32_e32 v66, v85
	v_fma_f32 v83, 0x3fb8aa3b, v112, -v89
	v_rndne_f32_e32 v84, v89
	v_fmac_f32_e32 v67, 0x32a5705f, v87
	v_fmac_f32_e32 v65, 0x32a5705f, v111
	v_dual_sub_f32 v85, v85, v66 :: v_dual_sub_f32 v88, v88, v68
	v_fmac_f32_e32 v83, 0x32a5705f, v112
	v_sub_f32_e32 v89, v89, v84
	v_cvt_i32_f32_e32 v66, v66
	s_delay_alu instid0(VALU_DEP_4)
	v_add_f32_e32 v65, v85, v65
	v_add_f32_e32 v67, v88, v67
	v_cvt_i32_f32_e32 v68, v68
	s_waitcnt lgkmcnt(0)
	v_dual_max_f32 v4, v4, v4 :: v_dual_mul_f32 v7, 0x3fb8aa3b, v110
	v_exp_f32_e32 v65, v65
	v_exp_f32_e32 v67, v67
	v_cmp_ngt_f32_e32 vcc_lo, 0xc2ce8ed0, v111
	s_delay_alu instid0(VALU_DEP_2)
	v_max_f32_e32 v4, v69, v4
	v_add_f32_e32 v69, v89, v83
	v_fma_f32 v115, 0x3fb8aa3b, v6, -v114
	v_rndne_f32_e32 v116, v114
	v_cvt_i32_f32_e32 v84, v84
	ds_bpermute_b32 v3, v3, v4
	v_exp_f32_e32 v69, v69
	v_ldexp_f32 v65, v65, v66
	v_ldexp_f32 v66, v67, v68
	v_sub_f32_e32 v63, v63, v1
	v_dual_fmac_f32 v115, 0x32a5705f, v6 :: v_dual_sub_f32 v114, v114, v116
	s_delay_alu instid0(VALU_DEP_4) | instskip(SKIP_3) | instid1(TRANS32_DEP_1)
	v_cndmask_b32_e32 v65, 0, v65, vcc_lo
	v_cmp_ngt_f32_e32 vcc_lo, 0xc2ce8ed0, v87
	v_cvt_i32_f32_e32 v85, v116
	v_fma_f32 v119, 0x3fb8aa3b, v110, -v7
	v_ldexp_f32 v67, v69, v84
	v_dual_add_f32 v83, v114, v115 :: v_dual_cndmask_b32 v66, 0, v66
	v_mul_f32_e32 v5, 0x3fb8aa3b, v113
	v_cmp_ngt_f32_e32 vcc_lo, 0xc2ce8ed0, v112
	v_rndne_f32_e32 v120, v7
	s_delay_alu instid0(VALU_DEP_4)
	v_exp_f32_e32 v83, v83
	s_or_b32 s19, s3, 64
	v_fma_f32 v117, 0x3fb8aa3b, v113, -v5
	s_waitcnt lgkmcnt(0)
	v_max_f32_e32 v3, v3, v3
	v_cndmask_b32_e32 v67, 0, v67, vcc_lo
	v_cmp_nlt_f32_e32 vcc_lo, 0x42b17218, v111
	v_rndne_f32_e32 v118, v5
	v_fmac_f32_e32 v117, 0x32a5705f, v113
	v_max_f32_e32 v3, v4, v3
	v_dual_sub_f32 v7, v7, v120 :: v_dual_cndmask_b32 v4, 0x7f800000, v65
	v_cmp_nlt_f32_e32 vcc_lo, 0x42b17218, v87
	v_sub_f32_e32 v5, v5, v118
	v_ldexp_f32 v68, v83, v85
	ds_bpermute_b32 v69, v2, v3
	v_sub_f32_e32 v83, v86, v1
	v_cndmask_b32_e32 v65, 0x7f800000, v66, vcc_lo
	v_cmp_nlt_f32_e32 vcc_lo, 0x42b17218, v112
	v_add_f32_e32 v5, v5, v117
	v_cvt_f16_f32_e32 v84, v4
	s_mul_hi_i32 s21, s19, s10
	s_mul_i32 s20, s19, s10
	v_cndmask_b32_e32 v2, 0x7f800000, v67, vcc_lo
	v_cmp_ngt_f32_e32 vcc_lo, 0xc2ce8ed0, v6
	v_exp_f32_e32 v5, v5
	s_lshl_b64 s[20:21], s[20:21], 2
	s_delay_alu instid0(VALU_DEP_2)
	v_add_f32_e32 v67, v2, v4
	v_cndmask_b32_e32 v66, 0, v68, vcc_lo
	v_cmp_nlt_f32_e32 vcc_lo, 0x42b17218, v6
	v_cvt_i32_f32_e32 v68, v118
	s_add_u32 s19, s11, s20
	s_addc_u32 s20, s17, s21
	v_cndmask_b32_e32 v6, 0x7f800000, v66, vcc_lo
	s_waitcnt_depctr 0xfff
	v_ldexp_f32 v4, v5, v68
	v_cvt_i32_f32_e32 v66, v120
	v_cmp_ngt_f32_e32 vcc_lo, 0xc2ce8ed0, v113
	v_add_f32_e32 v5, v6, v67
	v_cvt_f16_f32_e32 v86, v6
	v_mul_f32_e32 v6, 0x3fb8aa3b, v80
	v_dual_fmac_f32 v119, 0x32a5705f, v110 :: v_dual_cndmask_b32 v4, 0, v4
	v_cmp_ngt_f32_e32 vcc_lo, 0xc2ce8ed0, v110
	s_delay_alu instid0(VALU_DEP_2) | instskip(NEXT) | instid1(VALU_DEP_1)
	v_add_f32_e32 v7, v7, v119
	v_exp_f32_e32 v7, v7
	s_waitcnt_depctr 0xfff
	v_ldexp_f32 v7, v7, v66
	v_mul_f32_e32 v66, 0x3fb8aa3b, v83
	s_delay_alu instid0(VALU_DEP_2) | instskip(SKIP_1) | instid1(VALU_DEP_3)
	v_cndmask_b32_e32 v7, 0, v7, vcc_lo
	v_cmp_nlt_f32_e32 vcc_lo, 0x42b17218, v113
	v_fma_f32 v67, 0x3fb8aa3b, v83, -v66
	v_rndne_f32_e32 v68, v66
	v_cndmask_b32_e32 v4, 0x7f800000, v4, vcc_lo
	v_cmp_nlt_f32_e32 vcc_lo, 0x42b17218, v110
	s_delay_alu instid0(VALU_DEP_4) | instskip(NEXT) | instid1(VALU_DEP_3)
	v_fmac_f32_e32 v67, 0x32a5705f, v83
	v_dual_sub_f32 v85, v66, v68 :: v_dual_add_f32 v66, v4, v5
	v_cndmask_b32_e32 v7, 0x7f800000, v7, vcc_lo
	v_cmp_ngt_f32_e32 vcc_lo, 0xc2ce8ed0, v83
	s_delay_alu instid0(VALU_DEP_3) | instskip(SKIP_1) | instid1(VALU_DEP_4)
	v_add_f32_e32 v5, v85, v67
	v_cvt_f16_f32_e32 v85, v4
	v_cvt_f16_f32_e32 v87, v7
	v_fmac_f32_e32 v66, v64, v7
	s_delay_alu instid0(VALU_DEP_4)
	v_exp_f32_e32 v4, v5
	v_fma_f32 v5, 0x3fb8aa3b, v80, -v6
	v_rndne_f32_e32 v7, v6
	v_pk_mul_f16 v88, v87, v61 op_sel_hi:[0,1]
	v_sub_f32_e32 v61, v79, v1
	v_cvt_i32_f32_e32 v64, v68
	s_delay_alu instid0(VALU_DEP_4) | instskip(SKIP_1) | instid1(VALU_DEP_4)
	v_dual_fmac_f32 v5, 0x32a5705f, v80 :: v_dual_sub_f32 v6, v6, v7
	v_cvt_f16_f32_e32 v79, v2
	v_mul_f32_e32 v67, 0x3fb8aa3b, v61
	s_delay_alu instid0(TRANS32_DEP_1) | instid1(VALU_DEP_4)
	v_ldexp_f32 v2, v4, v64
	v_cvt_i32_f32_e32 v7, v7
	v_add_f32_e32 v4, v6, v5
	v_cvt_f16_f32_e32 v68, v65
	v_fma_f32 v5, 0x3fb8aa3b, v61, -v67
	v_rndne_f32_e32 v6, v67
	v_cndmask_b32_e32 v2, 0, v2, vcc_lo
	v_exp_f32_e32 v4, v4
	v_cmp_nlt_f32_e32 vcc_lo, 0x42b17218, v83
	s_delay_alu instid0(VALU_DEP_3) | instskip(SKIP_3) | instid1(VALU_DEP_4)
	v_dual_fmac_f32 v5, 0x32a5705f, v61 :: v_dual_sub_f32 v64, v67, v6
	v_mul_f32_e32 v67, 0x3fb8aa3b, v63
	v_cndmask_b32_e32 v2, 0x7f800000, v2, vcc_lo
	v_cmp_ngt_f32_e32 vcc_lo, 0xc2ce8ed0, v80
	v_add_f32_e32 v5, v64, v5
	s_delay_alu instid0(VALU_DEP_4) | instskip(SKIP_1) | instid1(TRANS32_DEP_1)
	v_fma_f32 v64, 0x3fb8aa3b, v63, -v67
	v_rndne_f32_e32 v83, v67
	v_ldexp_f32 v4, v4, v7
	v_add_f32_e32 v65, v65, v2
	v_exp_f32_e32 v5, v5
	v_fmac_f32_e32 v64, 0x32a5705f, v63
	v_sub_f32_e32 v7, v67, v83
	v_cvt_f16_f32_e32 v89, v2
	v_cvt_i32_f32_e32 v2, v6
	v_cndmask_b32_e32 v4, 0, v4, vcc_lo
	v_cmp_nlt_f32_e32 vcc_lo, 0x42b17218, v80
	v_dual_add_f32 v6, v7, v64 :: v_dual_max_f32 v7, v78, v78
	v_max_f32_e32 v64, v77, v77
	s_delay_alu instid0(TRANS32_DEP_1) | instskip(SKIP_1) | instid1(VALU_DEP_4)
	v_ldexp_f32 v5, v5, v2
	v_cndmask_b32_e32 v4, 0x7f800000, v4, vcc_lo
	v_exp_f32_e32 v6, v6
	s_delay_alu instid0(VALU_DEP_3) | instskip(SKIP_1) | instid1(VALU_DEP_3)
	v_max_f32_e32 v2, v64, v7
	v_cvt_i32_f32_e32 v64, v83
	v_add_f32_e32 v7, v4, v65
	s_delay_alu instid0(VALU_DEP_3)
	v_sub_f32_e32 v76, v76, v2
	v_cmp_ngt_f32_e32 vcc_lo, 0xc2ce8ed0, v61
	v_sub_f32_e32 v65, v82, v2
	v_sub_f32_e32 v78, v11, v2
	;; [unrolled: 1-line block ×4, first 2 shown]
	v_cndmask_b32_e32 v5, 0, v5, vcc_lo
	v_cmp_nlt_f32_e32 vcc_lo, 0x42b17218, v61
	v_cvt_f16_f32_e32 v61, v4
	v_ldexp_f32 v4, v6, v64
	s_waitcnt lgkmcnt(0)
	v_max_f32_e32 v6, v69, v69
	v_mul_f32_e32 v64, 0x3fb8aa3b, v65
	s_delay_alu instid0(VALU_DEP_2) | instskip(SKIP_2) | instid1(VALU_DEP_4)
	v_dual_mul_f32 v80, 0x3fb8aa3b, v77 :: v_dual_max_f32 v3, v3, v6
	v_cndmask_b32_e32 v5, 0x7f800000, v5, vcc_lo
	v_cmp_ngt_f32_e32 vcc_lo, 0xc2ce8ed0, v63
	v_fma_f32 v6, 0x3fb8aa3b, v65, -v64
	s_delay_alu instid0(VALU_DEP_4)
	v_fma_f32 v81, 0x3fb8aa3b, v77, -v80
	v_sub_f32_e32 v90, v90, v3
	v_dual_add_f32 v67, v5, v7 :: v_dual_cndmask_b32 v4, 0, v4
	v_cmp_nlt_f32_e32 vcc_lo, 0x42b17218, v63
	v_rndne_f32_e32 v7, v64
	v_cvt_f16_f32_e32 v63, v5
	v_fmac_f32_e32 v6, 0x32a5705f, v65
	v_rndne_f32_e32 v82, v80
	v_dual_cndmask_b32 v69, 0x7f800000, v4 :: v_dual_sub_f32 v4, v93, v3
	v_sub_f32_e32 v5, v64, v7
	v_mul_f32_e32 v83, 0x3fb8aa3b, v76
	v_cvt_i32_f32_e32 v7, v7
	s_delay_alu instid0(VALU_DEP_4) | instskip(NEXT) | instid1(VALU_DEP_4)
	v_dual_fmac_f32 v67, v62, v69 :: v_dual_mul_f32 v62, 0x3fb8aa3b, v4
	v_add_f32_e32 v5, v5, v6
	v_fmac_f32_e32 v81, 0x32a5705f, v77
	v_rndne_f32_e32 v93, v83
	v_cmp_ngt_f32_e32 vcc_lo, 0xc2ce8ed0, v65
	v_fma_f32 v6, 0x3fb8aa3b, v4, -v62
	v_rndne_f32_e32 v11, v62
	v_exp_f32_e32 v5, v5
	v_add_nc_u32_e32 v64, v47, v48
	s_delay_alu instid0(VALU_DEP_3) | instskip(NEXT) | instid1(VALU_DEP_3)
	v_fmac_f32_e32 v6, 0x32a5705f, v4
	v_sub_f32_e32 v62, v62, v11
	v_cvt_i32_f32_e32 v11, v11
	s_delay_alu instid0(VALU_DEP_2) | instskip(SKIP_2) | instid1(TRANS32_DEP_1)
	v_add_f32_e32 v6, v62, v6
	v_sub_f32_e32 v62, v80, v82
	v_fma_f32 v80, 0x3fb8aa3b, v76, -v83
	v_ldexp_f32 v5, v5, v7
	s_delay_alu instid0(VALU_DEP_4) | instskip(NEXT) | instid1(VALU_DEP_2)
	v_exp_f32_e32 v6, v6
	v_dual_add_f32 v7, v62, v81 :: v_dual_fmac_f32 v80, 0x32a5705f, v76
	v_sub_f32_e32 v62, v83, v93
	s_delay_alu instid0(VALU_DEP_3) | instskip(SKIP_1) | instid1(VALU_DEP_4)
	v_cndmask_b32_e32 v5, 0, v5, vcc_lo
	v_cmp_nlt_f32_e32 vcc_lo, 0x42b17218, v65
	v_exp_f32_e32 v7, v7
	s_delay_alu instid0(VALU_DEP_3) | instskip(NEXT) | instid1(VALU_DEP_3)
	v_dual_mul_f32 v65, 0x3fb8aa3b, v75 :: v_dual_add_f32 v62, v62, v80
	v_cndmask_b32_e32 v5, 0x7f800000, v5, vcc_lo
	s_delay_alu instid0(TRANS32_DEP_2)
	v_ldexp_f32 v6, v6, v11
	v_cvt_i32_f32_e32 v11, v82
	v_cmp_ngt_f32_e32 vcc_lo, 0xc2ce8ed0, v4
	v_exp_f32_e32 v62, v62
	v_fma_f32 v80, 0x3fb8aa3b, v75, -v65
	v_rndne_f32_e32 v81, v65
	s_delay_alu instid0(TRANS32_DEP_2)
	v_ldexp_f32 v7, v7, v11
	v_cndmask_b32_e32 v6, 0, v6, vcc_lo
	v_cmp_ngt_f32_e32 vcc_lo, 0xc2ce8ed0, v77
	v_cvt_i32_f32_e32 v11, v93
	v_fmac_f32_e32 v80, 0x32a5705f, v75
	v_cndmask_b32_e32 v7, 0, v7, vcc_lo
	v_cmp_nlt_f32_e32 vcc_lo, 0x42b17218, v77
	s_delay_alu instid0(VALU_DEP_4) | instskip(NEXT) | instid1(VALU_DEP_3)
	v_ldexp_f32 v11, v62, v11
	v_dual_sub_f32 v62, v65, v81 :: v_dual_cndmask_b32 v7, 0x7f800000, v7
	v_cmp_ngt_f32_e32 vcc_lo, 0xc2ce8ed0, v76
	s_delay_alu instid0(VALU_DEP_2) | instskip(SKIP_1) | instid1(VALU_DEP_4)
	v_dual_add_f32 v62, v62, v80 :: v_dual_cndmask_b32 v11, 0, v11
	v_cmp_nlt_f32_e32 vcc_lo, 0x42b17218, v4
	v_dual_add_f32 v4, v7, v5 :: v_dual_cndmask_b32 v65, 0x7f800000, v6
	v_cmp_nlt_f32_e32 vcc_lo, 0x42b17218, v76
	s_delay_alu instid0(VALU_DEP_4) | instskip(SKIP_3) | instid1(VALU_DEP_3)
	v_cndmask_b32_e32 v6, 0x7f800000, v11, vcc_lo
	v_exp_f32_e32 v11, v62
	v_mul_f32_e32 v62, 0x3fb8aa3b, v78
	v_cmp_ngt_f32_e32 vcc_lo, 0xc2ce8ed0, v75
	v_add_f32_e32 v77, v6, v4
	v_cvt_i32_f32_e32 v4, v81
	s_delay_alu instid0(VALU_DEP_4)
	v_fma_f32 v80, 0x3fb8aa3b, v78, -v62
	v_rndne_f32_e32 v81, v62
	v_cvt_f16_f32_e32 v83, v6
	s_delay_alu instid0(TRANS32_DEP_1) | instid1(VALU_DEP_4)
	v_ldexp_f32 v4, v11, v4
	s_delay_alu instid0(VALU_DEP_4) | instskip(NEXT) | instid1(VALU_DEP_4)
	v_fmac_f32_e32 v80, 0x32a5705f, v78
	v_sub_f32_e32 v6, v62, v81
	v_cvt_i32_f32_e32 v81, v81
	s_delay_alu instid0(VALU_DEP_4) | instskip(SKIP_1) | instid1(VALU_DEP_4)
	v_cndmask_b32_e32 v4, 0, v4, vcc_lo
	v_cmp_nlt_f32_e32 vcc_lo, 0x42b17218, v75
	v_add_f32_e32 v6, v6, v80
	s_delay_alu instid0(VALU_DEP_3) | instskip(NEXT) | instid1(VALU_DEP_2)
	v_dual_sub_f32 v80, v91, v3 :: v_dual_cndmask_b32 v75, 0x7f800000, v4
	v_exp_f32_e32 v6, v6
	s_delay_alu instid0(VALU_DEP_1) | instskip(NEXT) | instid1(VALU_DEP_1)
	v_mul_f32_e32 v4, 0x3fb8aa3b, v80
	v_rndne_f32_e32 v110, v4
	v_fma_f32 v93, 0x3fb8aa3b, v80, -v4
	s_waitcnt_depctr 0xfff
	v_ldexp_f32 v81, v6, v81
	v_sub_f32_e32 v4, v4, v110
	v_cvt_f16_f32_e32 v76, v5
	v_sub_f32_e32 v5, v92, v3
	v_mul_f32_e32 v91, 0x3fb8aa3b, v90
	v_fmac_f32_e32 v93, 0x32a5705f, v80
	s_delay_alu instid0(VALU_DEP_3) | instskip(NEXT) | instid1(VALU_DEP_3)
	v_mul_f32_e32 v82, 0x3fb8aa3b, v5
	v_rndne_f32_e32 v92, v91
	s_delay_alu instid0(VALU_DEP_3) | instskip(SKIP_1) | instid1(VALU_DEP_4)
	v_add_f32_e32 v4, v4, v93
	v_cmp_ngt_f32_e32 vcc_lo, 0xc2ce8ed0, v5
	v_fma_f32 v11, 0x3fb8aa3b, v5, -v82
	v_rndne_f32_e32 v62, v82
	s_delay_alu instid0(VALU_DEP_4) | instskip(NEXT) | instid1(VALU_DEP_1)
	v_exp_f32_e32 v4, v4
	v_dual_fmac_f32 v11, 0x32a5705f, v5 :: v_dual_sub_f32 v82, v82, v62
	v_cvt_i32_f32_e32 v62, v62
	s_delay_alu instid0(VALU_DEP_2) | instskip(SKIP_2) | instid1(VALU_DEP_3)
	v_add_f32_e32 v11, v82, v11
	v_fma_f32 v82, 0x3fb8aa3b, v90, -v91
	v_sub_f32_e32 v91, v91, v92
	v_exp_f32_e32 v11, v11
	s_delay_alu instid0(VALU_DEP_2) | instskip(NEXT) | instid1(VALU_DEP_1)
	v_fmac_f32_e32 v82, 0x32a5705f, v90
	v_dual_add_f32 v82, v91, v82 :: v_dual_sub_f32 v91, v10, v3
	s_waitcnt_depctr 0xfff
	v_ldexp_f32 v6, v11, v62
	v_exp_f32_e32 v10, v82
	v_cvt_i32_f32_e32 v62, v92
	v_cvt_i32_f32_e32 v82, v110
	v_cvt_f16_f32_e32 v11, v65
	v_cndmask_b32_e32 v6, 0, v6, vcc_lo
	v_cmp_nlt_f32_e32 vcc_lo, 0x42b17218, v5
	s_delay_alu instid0(VALU_DEP_4) | instskip(NEXT) | instid1(VALU_DEP_3)
	v_ldexp_f32 v4, v4, v82
	v_cndmask_b32_e32 v93, 0x7f800000, v6, vcc_lo
	s_delay_alu instid0(TRANS32_DEP_1) | instskip(SKIP_1) | instid1(VALU_DEP_3)
	v_ldexp_f32 v5, v10, v62
	v_cmp_ngt_f32_e32 vcc_lo, 0xc2ce8ed0, v90
	v_add_f32_e32 v65, v65, v93
	s_delay_alu instid0(VALU_DEP_3) | instskip(SKIP_3) | instid1(VALU_DEP_4)
	v_cndmask_b32_e32 v5, 0, v5, vcc_lo
	v_cmp_ngt_f32_e32 vcc_lo, 0xc2ce8ed0, v80
	v_cndmask_b32_e32 v4, 0, v4, vcc_lo
	v_cmp_nlt_f32_e32 vcc_lo, 0x42b17218, v90
	v_cndmask_b32_e32 v82, 0x7f800000, v5, vcc_lo
	v_cmp_nlt_f32_e32 vcc_lo, 0x42b17218, v80
	s_delay_alu instid0(VALU_DEP_2) | instskip(SKIP_2) | instid1(VALU_DEP_3)
	v_dual_add_f32 v65, v82, v65 :: v_dual_cndmask_b32 v80, 0x7f800000, v4
	v_mul_f32_e32 v92, 0x3fb8aa3b, v91
	v_cmp_ngt_f32_e32 vcc_lo, 0xc2ce8ed0, v78
	v_cvt_f16_f32_e32 v90, v80
	s_delay_alu instid0(VALU_DEP_3) | instskip(SKIP_1) | instid1(VALU_DEP_2)
	v_fma_f32 v6, 0x3fb8aa3b, v91, -v92
	v_rndne_f32_e32 v10, v92
	v_fmac_f32_e32 v6, 0x32a5705f, v91
	s_delay_alu instid0(VALU_DEP_2)
	v_sub_f32_e32 v62, v92, v10
	v_cvt_f16_f32_e32 v5, v7
	v_cvt_i32_f32_e32 v110, v10
	v_pack_b32_f16 v10, v86, v61
	v_pack_b32_f16 v61, v85, v63
	v_add_f32_e32 v4, v62, v6
	v_cvt_f16_f32_e32 v6, v93
	v_cvt_f16_f32_e32 v111, v75
	;; [unrolled: 1-line block ×3, first 2 shown]
	v_pack_b32_f16 v5, v5, v11
	v_exp_f32_e32 v92, v4
	v_pack_b32_f16 v4, v79, v68
	v_pack_b32_f16 v7, v76, v6
	;; [unrolled: 1-line block ×3, first 2 shown]
	v_cndmask_b32_e32 v68, 0, v81, vcc_lo
	v_cmp_ngt_f32_e32 vcc_lo, 0xc2ce8ed0, v91
	v_pack_b32_f16 v11, v83, v62
	v_pack_b32_f16 v62, v111, v90
	ds_store_2addr_b64 v64, v[4:5], v[6:7] offset1:32
	ds_store_2addr_b64 v64, v[10:11], v[61:62] offset0:64 offset1:96
	s_waitcnt vmcnt(3)
	ds_store_b128 v46, v[94:97]
	s_waitcnt vmcnt(2)
	ds_store_b128 v49, v[98:101]
	;; [unrolled: 2-line block ×4, first 2 shown]
	v_ldexp_f32 v76, v92, v110
	s_waitcnt lgkmcnt(0)
	s_barrier
	buffer_gl0_inv
	ds_load_2addr_b64 v[4:7], v48 offset1:32
	ds_load_b128 v[61:64], v47
	v_cndmask_b32_e32 v10, 0, v76, vcc_lo
	v_cmp_nlt_f32_e32 vcc_lo, 0x42b17218, v78
	v_cvt_f16_f32_e32 v89, v69
	v_add_f32_e32 v69, v75, v77
	v_cndmask_b32_e32 v11, 0x7f800000, v68, vcc_lo
	v_cmp_nlt_f32_e32 vcc_lo, 0x42b17218, v91
	v_add_f32_e32 v68, v80, v65
	v_pk_mul_f16 v59, v89, v59 op_sel_hi:[0,1]
	v_cndmask_b32_e32 v10, 0x7f800000, v10, vcc_lo
	s_delay_alu instid0(VALU_DEP_1)
	v_fmac_f32_e32 v68, v9, v10
	v_cvt_f16_f32_e32 v65, v10
	v_cvt_f16_f32_e32 v90, v11
	v_fmac_f32_e32 v69, v8, v11
	ds_load_b128 v[8:11], v47 offset:16
	s_waitcnt lgkmcnt(1)
	v_pk_mul_f16 v91, v4, v61 op_sel:[0,1]
	v_pk_mul_f16 v55, v65, v55 op_sel_hi:[0,1]
	v_pk_mul_f16 v54, v65, v54 op_sel_hi:[0,1]
	v_pk_mul_f16 v65, v4, v61 op_sel_hi:[1,0]
	v_pk_mul_f16 v92, v4, v62 op_sel_hi:[1,0]
	ds_load_2addr_b64 v[75:78], v48 offset0:64 offset1:96
	ds_load_b128 v[79:82], v47 offset:32
	ds_load_b128 v[83:86], v47 offset:48
	v_pk_mul_f16 v57, v90, v57 op_sel_hi:[0,1]
	v_pk_fma_f16 v58, v89, v58, v91 op_sel_hi:[0,1,1]
	v_pk_fma_f16 v60, v87, v60, v65 op_sel_hi:[0,1,1]
	;; [unrolled: 1-line block ×3, first 2 shown]
	v_pk_fma_f16 v4, v4, v62, v55 op_sel:[0,1,0]
	v_pk_fma_f16 v55, v5, v61, v88 op_sel_hi:[1,0,1]
	v_pk_fma_f16 v59, v5, v61, v59 op_sel:[0,1,0]
	v_pk_fma_f16 v61, v5, v62, v57 op_sel_hi:[1,0,1]
	;; [unrolled: 2-line block ×5, first 2 shown]
	v_pk_fma_f16 v55, v7, v63, v59 op_sel:[0,1,0]
	ds_load_2addr_b64 v[56:59], v48 offset0:128 offset1:160
	v_pk_fma_f16 v61, v7, v64, v61 op_sel_hi:[1,0,1]
	v_pk_fma_f16 v5, v7, v64, v5 op_sel:[0,1,0]
	s_waitcnt lgkmcnt(3)
	v_pk_fma_f16 v7, v75, v8, v54 op_sel_hi:[1,0,1]
	v_pk_fma_f16 v54, v75, v8, v60 op_sel:[0,1,0]
	v_pk_fma_f16 v60, v75, v9, v62 op_sel_hi:[1,0,1]
	v_pk_fma_f16 v4, v75, v9, v4 op_sel:[0,1,0]
	;; [unrolled: 2-line block ×8, first 2 shown]
	ds_load_2addr_b64 v[4:7], v48 offset0:192 offset1:224
	s_waitcnt lgkmcnt(1)
	v_pk_fma_f16 v9, v56, v79, v9 op_sel_hi:[1,0,1]
	v_pk_fma_f16 v54, v56, v79, v54 op_sel:[0,1,0]
	v_pk_fma_f16 v55, v56, v80, v60 op_sel_hi:[1,0,1]
	v_pk_fma_f16 v56, v56, v80, v61 op_sel:[0,1,0]
	;; [unrolled: 2-line block ×4, first 2 shown]
	v_add_nc_u32_e32 v57, 0x800, v48
	v_pk_fma_f16 v65, v58, v81, v9 op_sel_hi:[1,0,1]
	v_pk_fma_f16 v54, v58, v81, v54 op_sel:[0,1,0]
	v_pk_fma_f16 v55, v58, v82, v55 op_sel_hi:[1,0,1]
	v_pk_fma_f16 v56, v58, v82, v56 op_sel:[0,1,0]
	;; [unrolled: 2-line block ×3, first 2 shown]
	v_pk_fma_f16 v76, v59, v82, v10 op_sel_hi:[1,0,1]
	ds_load_2addr_b64 v[8:11], v57 offset1:32
	ds_load_b128 v[60:63], v47 offset:64
	v_pk_fma_f16 v59, v59, v82, v64 op_sel:[0,1,0]
	s_waitcnt lgkmcnt(2)
	v_pk_fma_f16 v64, v4, v83, v65 op_sel_hi:[1,0,1]
	v_pk_fma_f16 v54, v4, v83, v54 op_sel:[0,1,0]
	v_pk_fma_f16 v55, v4, v84, v55 op_sel_hi:[1,0,1]
	v_pk_fma_f16 v4, v4, v84, v56 op_sel:[0,1,0]
	;; [unrolled: 2-line block ×6, first 2 shown]
	v_pk_fma_f16 v6, v7, v85, v56 op_sel_hi:[1,0,1]
	ds_load_2addr_b64 v[75:78], v57 offset0:64 offset1:96
	ds_load_b128 v[79:82], v47 offset:80
	v_pk_fma_f16 v56, v7, v85, v58 op_sel:[0,1,0]
	v_pk_fma_f16 v58, v7, v86, v65 op_sel_hi:[1,0,1]
	v_pk_fma_f16 v5, v7, v86, v5 op_sel:[0,1,0]
	s_waitcnt lgkmcnt(2)
	v_pk_fma_f16 v7, v8, v60, v59 op_sel_hi:[1,0,1]
	v_pk_fma_f16 v54, v8, v60, v54 op_sel:[0,1,0]
	v_pk_fma_f16 v55, v8, v61, v55 op_sel_hi:[1,0,1]
	v_pk_fma_f16 v4, v8, v61, v4 op_sel:[0,1,0]
	;; [unrolled: 2-line block ×6, first 2 shown]
	v_pk_fma_f16 v65, v11, v62, v6 op_sel_hi:[1,0,1]
	ds_load_2addr_b64 v[4:7], v57 offset0:128 offset1:160
	ds_load_b128 v[58:61], v47 offset:96
	v_pk_fma_f16 v8, v11, v62, v8 op_sel:[0,1,0]
	v_pk_fma_f16 v56, v11, v63, v56 op_sel_hi:[1,0,1]
	v_pk_fma_f16 v9, v11, v63, v9 op_sel:[0,1,0]
	s_waitcnt lgkmcnt(2)
	v_pk_fma_f16 v11, v75, v79, v64 op_sel_hi:[1,0,1]
	v_pk_fma_f16 v54, v75, v79, v54 op_sel:[0,1,0]
	v_pk_fma_f16 v55, v75, v80, v55 op_sel_hi:[1,0,1]
	v_pk_fma_f16 v10, v75, v80, v10 op_sel:[0,1,0]
	;; [unrolled: 2-line block ×8, first 2 shown]
	ds_load_2addr_b64 v[8:11], v57 offset0:192 offset1:224
	ds_load_b128 v[62:65], v47 offset:112
	s_waitcnt lgkmcnt(2)
	v_pk_fma_f16 v75, v4, v58, v75 op_sel_hi:[1,0,1]
	v_pk_fma_f16 v54, v4, v58, v54 op_sel:[0,1,0]
	v_pk_fma_f16 v55, v4, v59, v55 op_sel_hi:[1,0,1]
	v_pk_fma_f16 v4, v4, v59, v76 op_sel:[0,1,0]
	;; [unrolled: 2-line block ×3, first 2 shown]
	v_add_nc_u32_e32 v58, 0x1000, v48
	v_pk_fma_f16 v56, v5, v59, v56 op_sel_hi:[1,0,1]
	v_pk_fma_f16 v5, v5, v59, v78 op_sel:[0,1,0]
	v_pk_fma_f16 v59, v6, v60, v75 op_sel_hi:[1,0,1]
	v_pk_fma_f16 v54, v6, v60, v54 op_sel:[0,1,0]
	;; [unrolled: 2-line block ×4, first 2 shown]
	ds_load_2addr_b64 v[75:78], v58 offset1:32
	ds_load_b128 v[79:82], v47 offset:128
	v_pk_fma_f16 v56, v7, v61, v56 op_sel_hi:[1,0,1]
	v_pk_fma_f16 v5, v7, v61, v5 op_sel:[0,1,0]
	s_waitcnt lgkmcnt(2)
	v_pk_fma_f16 v7, v8, v62, v59 op_sel_hi:[1,0,1]
	v_pk_fma_f16 v54, v8, v62, v54 op_sel:[0,1,0]
	v_pk_fma_f16 v55, v8, v63, v55 op_sel_hi:[1,0,1]
	v_pk_fma_f16 v4, v8, v63, v4 op_sel:[0,1,0]
	;; [unrolled: 2-line block ×3, first 2 shown]
	ds_load_2addr_b64 v[59:62], v58 offset0:64 offset1:96
	ds_load_b128 v[83:86], v47 offset:144
	v_pk_fma_f16 v56, v9, v63, v56 op_sel_hi:[1,0,1]
	v_pk_fma_f16 v5, v9, v63, v5 op_sel:[0,1,0]
	v_pk_fma_f16 v9, v10, v64, v54 op_sel:[0,1,0]
	v_pk_fma_f16 v54, v10, v65, v55 op_sel_hi:[1,0,1]
	v_pk_fma_f16 v6, v11, v64, v6 op_sel_hi:[1,0,1]
	;; [unrolled: 1-line block ×3, first 2 shown]
	v_pk_fma_f16 v4, v10, v65, v4 op_sel:[0,1,0]
	v_pk_fma_f16 v8, v11, v64, v8 op_sel:[0,1,0]
	v_pk_fma_f16 v10, v11, v65, v56 op_sel_hi:[1,0,1]
	v_pk_fma_f16 v5, v11, v65, v5 op_sel:[0,1,0]
	s_waitcnt lgkmcnt(2)
	v_pk_fma_f16 v11, v75, v80, v54 op_sel_hi:[1,0,1]
	v_pk_fma_f16 v6, v76, v79, v6 op_sel_hi:[1,0,1]
	ds_load_2addr_b64 v[87:90], v58 offset0:128 offset1:160
	ds_load_b128 v[91:94], v47 offset:160
	v_pk_fma_f16 v7, v75, v79, v7 op_sel_hi:[1,0,1]
	v_pk_fma_f16 v9, v75, v79, v9 op_sel:[0,1,0]
	v_pk_fma_f16 v4, v75, v80, v4 op_sel:[0,1,0]
	;; [unrolled: 1-line block ×3, first 2 shown]
	v_pk_fma_f16 v10, v76, v80, v10 op_sel_hi:[1,0,1]
	v_pk_fma_f16 v5, v76, v80, v5 op_sel:[0,1,0]
	v_pk_fma_f16 v11, v77, v82, v11 op_sel_hi:[1,0,1]
	v_pk_fma_f16 v6, v78, v81, v6 op_sel_hi:[1,0,1]
	;; [unrolled: 1-line block ×3, first 2 shown]
	v_pk_fma_f16 v9, v77, v81, v9 op_sel:[0,1,0]
	v_pk_fma_f16 v4, v77, v82, v4 op_sel:[0,1,0]
	;; [unrolled: 1-line block ×3, first 2 shown]
	v_pk_fma_f16 v10, v78, v82, v10 op_sel_hi:[1,0,1]
	v_pk_fma_f16 v5, v78, v82, v5 op_sel:[0,1,0]
	s_waitcnt lgkmcnt(2)
	v_pk_fma_f16 v11, v59, v84, v11 op_sel_hi:[1,0,1]
	v_pk_fma_f16 v6, v60, v83, v6 op_sel_hi:[1,0,1]
	;; [unrolled: 1-line block ×3, first 2 shown]
	v_pk_fma_f16 v9, v59, v83, v9 op_sel:[0,1,0]
	v_pk_fma_f16 v4, v59, v84, v4 op_sel:[0,1,0]
	;; [unrolled: 1-line block ×3, first 2 shown]
	v_pk_fma_f16 v55, v60, v84, v10 op_sel_hi:[1,0,1]
	v_pk_fma_f16 v56, v60, v84, v5 op_sel:[0,1,0]
	v_pk_fma_f16 v63, v61, v86, v11 op_sel_hi:[1,0,1]
	v_pk_fma_f16 v64, v62, v85, v6 op_sel_hi:[1,0,1]
	;; [unrolled: 1-line block ×3, first 2 shown]
	v_pk_fma_f16 v60, v61, v85, v9 op_sel:[0,1,0]
	v_pk_fma_f16 v61, v61, v86, v4 op_sel:[0,1,0]
	ds_load_2addr_b64 v[4:7], v58 offset0:192 offset1:224
	ds_load_b128 v[8:11], v47 offset:176
	v_pk_fma_f16 v54, v62, v85, v54 op_sel:[0,1,0]
	v_pk_fma_f16 v55, v62, v86, v55 op_sel_hi:[1,0,1]
	v_pk_fma_f16 v56, v62, v86, v56 op_sel:[0,1,0]
	s_waitcnt lgkmcnt(2)
	v_pk_fma_f16 v62, v87, v92, v63 op_sel_hi:[1,0,1]
	v_pk_fma_f16 v63, v88, v91, v64 op_sel_hi:[1,0,1]
	v_add_co_u32 v64, vcc_lo, s19, v20
	v_add_co_ci_u32_e32 v65, vcc_lo, s20, v21, vcc_lo
	v_add_co_u32 v231, vcc_lo, s19, v22
	v_add_co_ci_u32_e32 v232, vcc_lo, s20, v23, vcc_lo
	s_delay_alu instid0(VALU_DEP_4) | instskip(NEXT) | instid1(VALU_DEP_4)
	v_add_co_u32 v64, vcc_lo, v64, v53
	v_add_co_ci_u32_e32 v65, vcc_lo, 0, v65, vcc_lo
	s_delay_alu instid0(VALU_DEP_4)
	v_add_co_u32 v235, vcc_lo, v231, v53
	v_pk_fma_f16 v59, v87, v91, v59 op_sel_hi:[1,0,1]
	v_add_co_ci_u32_e32 v236, vcc_lo, 0, v232, vcc_lo
	v_add_co_u32 v231, vcc_lo, s19, v24
	v_pk_fma_f16 v60, v87, v91, v60 op_sel:[0,1,0]
	v_pk_fma_f16 v61, v87, v92, v61 op_sel:[0,1,0]
	v_add_co_ci_u32_e32 v232, vcc_lo, s20, v25, vcc_lo
	v_pk_fma_f16 v54, v88, v91, v54 op_sel:[0,1,0]
	v_pk_fma_f16 v55, v88, v92, v55 op_sel_hi:[1,0,1]
	v_pk_fma_f16 v56, v88, v92, v56 op_sel:[0,1,0]
	v_pk_fma_f16 v59, v89, v93, v59 op_sel_hi:[1,0,1]
	v_add_co_u32 v233, vcc_lo, s19, v26
	v_add_co_ci_u32_e32 v234, vcc_lo, s20, v27, vcc_lo
	v_add_co_u32 v239, vcc_lo, v231, v53
	v_pk_fma_f16 v60, v89, v93, v60 op_sel:[0,1,0]
	v_pk_fma_f16 v62, v89, v94, v62 op_sel_hi:[1,0,1]
	v_pk_fma_f16 v61, v89, v94, v61 op_sel:[0,1,0]
	v_pk_fma_f16 v63, v90, v93, v63 op_sel_hi:[1,0,1]
	;; [unrolled: 2-line block ×3, first 2 shown]
	v_pk_fma_f16 v249, v90, v94, v56 op_sel:[0,1,0]
	s_waitcnt lgkmcnt(0)
	v_pk_fma_f16 v250, v4, v8, v59 op_sel_hi:[1,0,1]
	v_add_nc_u32_e32 v59, 0x1800, v48
	v_add_nc_u32_e32 v56, 0x2000, v48
	;; [unrolled: 1-line block ×4, first 2 shown]
	v_add_co_ci_u32_e32 v240, vcc_lo, 0, v232, vcc_lo
	v_add_co_u32 v243, vcc_lo, v233, v53
	v_add_co_ci_u32_e32 v244, vcc_lo, 0, v234, vcc_lo
	v_pk_fma_f16 v251, v4, v8, v60 op_sel:[0,1,0]
	v_pk_fma_f16 v252, v4, v9, v62 op_sel_hi:[1,0,1]
	v_pk_fma_f16 v253, v4, v9, v61 op_sel:[0,1,0]
	v_add_nc_u32_e32 v4, 0x3800, v48
	v_pk_fma_f16 v254, v5, v8, v63 op_sel_hi:[1,0,1]
	ds_load_2addr_b64 v[60:63], v59 offset1:32
	ds_load_2addr_b64 v[75:78], v59 offset0:64 offset1:96
	ds_load_b128 v[79:82], v47 offset:192
	ds_load_b128 v[83:86], v47 offset:208
	ds_load_2addr_b64 v[87:90], v59 offset0:128 offset1:160
	ds_load_2addr_b64 v[91:94], v59 offset0:192 offset1:224
	ds_load_b128 v[95:98], v47 offset:224
	ds_load_b128 v[99:102], v47 offset:240
	ds_load_2addr_b64 v[103:106], v56 offset1:32
	ds_load_2addr_b64 v[107:110], v56 offset0:64 offset1:96
	ds_load_b128 v[111:114], v47 offset:256
	ds_load_b128 v[115:118], v47 offset:272
	ds_load_2addr_b64 v[119:122], v56 offset0:128 offset1:160
	ds_load_2addr_b64 v[123:126], v56 offset0:192 offset1:224
	ds_load_b128 v[127:130], v47 offset:288
	ds_load_b128 v[131:134], v47 offset:304
	;; [unrolled: 8-line block ×5, first 2 shown]
	s_waitcnt lgkmcnt(0)
	s_barrier
	buffer_gl0_inv
	s_clause 0x3
	global_load_b128 v[231:234], v[64:65], off
	global_load_b128 v[235:238], v[235:236], off
	;; [unrolled: 1-line block ×4, first 2 shown]
	v_pk_fma_f16 v8, v5, v8, v247 op_sel:[0,1,0]
	v_pk_fma_f16 v64, v5, v9, v248 op_sel_hi:[1,0,1]
	v_pk_fma_f16 v5, v5, v9, v249 op_sel:[0,1,0]
	v_pk_fma_f16 v9, v6, v10, v250 op_sel_hi:[1,0,1]
	;; [unrolled: 2-line block ×8, first 2 shown]
	v_pk_fma_f16 v8, v61, v79, v8 op_sel:[0,1,0]
	v_pk_fma_f16 v5, v61, v80, v5 op_sel:[0,1,0]
	v_pk_fma_f16 v7, v62, v81, v7 op_sel_hi:[1,0,1]
	v_pk_fma_f16 v6, v62, v82, v6 op_sel:[0,1,0]
	v_pk_fma_f16 v60, v63, v81, v60 op_sel_hi:[1,0,1]
	v_pk_fma_f16 v8, v63, v81, v8 op_sel:[0,1,0]
	v_pk_fma_f16 v5, v63, v82, v5 op_sel:[0,1,0]
	v_pk_fma_f16 v7, v75, v83, v7 op_sel_hi:[1,0,1]
	v_pk_fma_f16 v10, v61, v80, v10 op_sel_hi:[1,0,1]
	v_pk_fma_f16 v9, v62, v81, v9 op_sel:[0,1,0]
	v_pk_fma_f16 v11, v62, v82, v11 op_sel_hi:[1,0,1]
	v_pk_fma_f16 v6, v75, v84, v6 op_sel:[0,1,0]
	v_pk_fma_f16 v60, v76, v83, v60 op_sel_hi:[1,0,1]
	v_pk_fma_f16 v8, v76, v83, v8 op_sel:[0,1,0]
	v_pk_fma_f16 v5, v76, v84, v5 op_sel:[0,1,0]
	v_pk_fma_f16 v7, v77, v85, v7 op_sel_hi:[1,0,1]
	v_pk_fma_f16 v10, v63, v82, v10 op_sel_hi:[1,0,1]
	;; [unrolled: 8-line block ×36, first 2 shown]
	v_pk_fma_f16 v9, v215, v223, v9 op_sel:[0,1,0]
	v_pk_fma_f16 v11, v215, v224, v11 op_sel_hi:[1,0,1]
	v_pk_fma_f16 v64, v217, v226, v6 op_sel:[0,1,0]
	v_pk_fma_f16 v65, v218, v225, v60 op_sel_hi:[1,0,1]
	v_pk_fma_f16 v75, v218, v225, v8 op_sel:[0,1,0]
	v_pk_fma_f16 v76, v218, v226, v5 op_sel:[0,1,0]
	v_pk_fma_f16 v77, v219, v227, v7 op_sel_hi:[1,0,1]
	s_waitcnt vmcnt(3)
	ds_store_b128 v46, v[231:234]
	s_waitcnt vmcnt(2)
	ds_store_b128 v49, v[235:238]
	;; [unrolled: 2-line block ×4, first 2 shown]
	s_waitcnt lgkmcnt(0)
	s_barrier
	buffer_gl0_inv
	ds_load_2addr_b64 v[5:8], v48 offset1:32
	ds_load_b128 v[60:63], v47 offset:512
	v_pk_fma_f16 v10, v216, v224, v10 op_sel_hi:[1,0,1]
	v_pk_fma_f16 v9, v217, v225, v9 op_sel:[0,1,0]
	v_pk_fma_f16 v11, v217, v226, v11 op_sel_hi:[1,0,1]
	v_pk_fma_f16 v75, v220, v227, v75 op_sel:[0,1,0]
	v_pk_fma_f16 v76, v220, v228, v76 op_sel:[0,1,0]
	v_pk_fma_f16 v10, v218, v226, v10 op_sel_hi:[1,0,1]
	v_pk_fma_f16 v9, v219, v227, v9 op_sel:[0,1,0]
	v_pk_fma_f16 v11, v219, v228, v11 op_sel_hi:[1,0,1]
	;; [unrolled: 2-line block ×3, first 2 shown]
	v_pk_fma_f16 v91, v221, v229, v77 op_sel_hi:[1,0,1]
	v_pk_fma_f16 v92, v222, v229, v75 op_sel:[0,1,0]
	v_pk_fma_f16 v93, v222, v230, v76 op_sel:[0,1,0]
	ds_load_b128 v[75:78], v47 offset:528
	ds_load_2addr_b64 v[79:82], v48 offset0:64 offset1:96
	ds_load_b128 v[83:86], v47 offset:544
	ds_load_b128 v[87:90], v47 offset:560
	v_pk_fma_f16 v10, v220, v228, v10 op_sel_hi:[1,0,1]
	v_pk_fma_f16 v9, v221, v229, v9 op_sel:[0,1,0]
	v_pk_fma_f16 v11, v221, v230, v11 op_sel_hi:[1,0,1]
	v_pk_fma_f16 v64, v221, v230, v64 op_sel:[0,1,0]
	v_pk_fma_f16 v65, v222, v229, v65 op_sel_hi:[1,0,1]
	v_pk_fma_f16 v10, v222, v230, v10 op_sel_hi:[1,0,1]
	s_waitcnt lgkmcnt(4)
	v_pk_fma_f16 v91, v5, v60, v91 op_sel_hi:[1,0,1]
	v_pk_fma_f16 v9, v5, v60, v9 op_sel:[0,1,0]
	v_pk_fma_f16 v11, v5, v61, v11 op_sel_hi:[1,0,1]
	v_pk_fma_f16 v5, v5, v61, v64 op_sel:[0,1,0]
	;; [unrolled: 2-line block ×6, first 2 shown]
	v_pk_fma_f16 v7, v8, v62, v64 op_sel_hi:[1,0,1]
	ds_load_2addr_b64 v[91:94], v48 offset0:128 offset1:160
	v_pk_fma_f16 v60, v8, v62, v60 op_sel:[0,1,0]
	v_pk_fma_f16 v10, v8, v63, v10 op_sel_hi:[1,0,1]
	v_pk_fma_f16 v6, v8, v63, v6 op_sel:[0,1,0]
	s_waitcnt lgkmcnt(3)
	v_pk_fma_f16 v8, v79, v75, v61 op_sel_hi:[1,0,1]
	v_pk_fma_f16 v5, v79, v76, v5 op_sel:[0,1,0]
	v_pk_fma_f16 v7, v80, v75, v7 op_sel_hi:[1,0,1]
	v_pk_fma_f16 v9, v79, v75, v9 op_sel:[0,1,0]
	;; [unrolled: 2-line block ×3, first 2 shown]
	v_pk_fma_f16 v61, v80, v76, v6 op_sel:[0,1,0]
	v_pk_fma_f16 v62, v81, v77, v8 op_sel_hi:[1,0,1]
	v_pk_fma_f16 v63, v81, v78, v5 op_sel:[0,1,0]
	v_pk_fma_f16 v64, v82, v77, v7 op_sel_hi:[1,0,1]
	ds_load_2addr_b64 v[5:8], v48 offset0:192 offset1:224
	v_pk_fma_f16 v10, v80, v76, v10 op_sel_hi:[1,0,1]
	v_pk_fma_f16 v9, v81, v77, v9 op_sel:[0,1,0]
	v_pk_fma_f16 v11, v81, v78, v11 op_sel_hi:[1,0,1]
	v_pk_fma_f16 v60, v82, v77, v60 op_sel:[0,1,0]
	v_pk_fma_f16 v61, v82, v78, v61 op_sel:[0,1,0]
	v_pk_fma_f16 v10, v82, v78, v10 op_sel_hi:[1,0,1]
	s_waitcnt lgkmcnt(1)
	v_pk_fma_f16 v62, v91, v83, v62 op_sel_hi:[1,0,1]
	v_pk_fma_f16 v9, v91, v83, v9 op_sel:[0,1,0]
	v_pk_fma_f16 v11, v91, v84, v11 op_sel_hi:[1,0,1]
	v_pk_fma_f16 v63, v91, v84, v63 op_sel:[0,1,0]
	;; [unrolled: 2-line block ×7, first 2 shown]
	ds_load_2addr_b64 v[60:63], v57 offset1:32
	ds_load_b128 v[75:78], v47 offset:576
	v_pk_fma_f16 v10, v94, v86, v10 op_sel_hi:[1,0,1]
	v_pk_fma_f16 v65, v94, v86, v65 op_sel:[0,1,0]
	s_waitcnt lgkmcnt(2)
	v_pk_fma_f16 v79, v5, v87, v79 op_sel_hi:[1,0,1]
	v_pk_fma_f16 v9, v5, v87, v9 op_sel:[0,1,0]
	v_pk_fma_f16 v11, v5, v88, v11 op_sel_hi:[1,0,1]
	v_pk_fma_f16 v5, v5, v88, v80 op_sel:[0,1,0]
	;; [unrolled: 2-line block ×7, first 2 shown]
	ds_load_2addr_b64 v[79:82], v57 offset0:64 offset1:96
	ds_load_b128 v[83:86], v47 offset:592
	v_pk_fma_f16 v10, v8, v90, v10 op_sel_hi:[1,0,1]
	v_pk_fma_f16 v6, v8, v90, v6 op_sel:[0,1,0]
	s_waitcnt lgkmcnt(2)
	v_pk_fma_f16 v8, v60, v75, v65 op_sel_hi:[1,0,1]
	v_pk_fma_f16 v9, v60, v75, v9 op_sel:[0,1,0]
	v_pk_fma_f16 v11, v60, v76, v11 op_sel_hi:[1,0,1]
	v_pk_fma_f16 v5, v60, v76, v5 op_sel:[0,1,0]
	;; [unrolled: 2-line block ×7, first 2 shown]
	ds_load_2addr_b64 v[5:8], v57 offset0:128 offset1:160
	ds_load_b128 v[87:90], v47 offset:608
	v_pk_fma_f16 v10, v63, v78, v10 op_sel_hi:[1,0,1]
	v_pk_fma_f16 v61, v63, v78, v61 op_sel:[0,1,0]
	s_waitcnt lgkmcnt(2)
	v_pk_fma_f16 v63, v79, v83, v64 op_sel_hi:[1,0,1]
	v_pk_fma_f16 v9, v79, v83, v9 op_sel:[0,1,0]
	v_pk_fma_f16 v11, v79, v84, v11 op_sel_hi:[1,0,1]
	v_pk_fma_f16 v62, v79, v84, v62 op_sel:[0,1,0]
	v_pk_fma_f16 v60, v80, v83, v60 op_sel:[0,1,0]
	v_pk_fma_f16 v64, v80, v83, v65 op_sel_hi:[1,0,1]
	v_pk_fma_f16 v10, v80, v84, v10 op_sel_hi:[1,0,1]
	v_pk_fma_f16 v65, v80, v84, v61 op_sel:[0,1,0]
	v_pk_fma_f16 v79, v81, v85, v63 op_sel_hi:[1,0,1]
	v_pk_fma_f16 v9, v81, v85, v9 op_sel:[0,1,0]
	;; [unrolled: 2-line block ×3, first 2 shown]
	v_pk_fma_f16 v81, v82, v85, v60 op_sel:[0,1,0]
	ds_load_2addr_b64 v[60:63], v57 offset0:192 offset1:224
	ds_load_b128 v[75:78], v47 offset:624
	v_pk_fma_f16 v64, v82, v85, v64 op_sel_hi:[1,0,1]
	v_pk_fma_f16 v10, v82, v86, v10 op_sel_hi:[1,0,1]
	v_pk_fma_f16 v57, v82, v86, v65 op_sel:[0,1,0]
	s_waitcnt lgkmcnt(2)
	v_pk_fma_f16 v65, v5, v87, v79 op_sel_hi:[1,0,1]
	v_pk_fma_f16 v9, v5, v87, v9 op_sel:[0,1,0]
	v_pk_fma_f16 v11, v5, v88, v11 op_sel_hi:[1,0,1]
	v_pk_fma_f16 v5, v5, v88, v80 op_sel:[0,1,0]
	;; [unrolled: 2-line block ×7, first 2 shown]
	ds_load_2addr_b64 v[79:82], v58 offset1:32
	ds_load_b128 v[83:86], v47 offset:640
	v_pk_fma_f16 v10, v8, v90, v10 op_sel_hi:[1,0,1]
	v_pk_fma_f16 v6, v8, v90, v6 op_sel:[0,1,0]
	s_waitcnt lgkmcnt(2)
	v_pk_fma_f16 v8, v60, v75, v57 op_sel_hi:[1,0,1]
	v_pk_fma_f16 v9, v60, v75, v9 op_sel:[0,1,0]
	v_pk_fma_f16 v11, v60, v76, v11 op_sel_hi:[1,0,1]
	v_pk_fma_f16 v5, v60, v76, v5 op_sel:[0,1,0]
	v_pk_fma_f16 v7, v61, v75, v7 op_sel_hi:[1,0,1]
	v_pk_fma_f16 v57, v61, v75, v64 op_sel:[0,1,0]
	v_pk_fma_f16 v10, v61, v76, v10 op_sel_hi:[1,0,1]
	v_pk_fma_f16 v60, v61, v76, v6 op_sel:[0,1,0]
	v_pk_fma_f16 v61, v62, v77, v8 op_sel_hi:[1,0,1]
	v_pk_fma_f16 v9, v62, v77, v9 op_sel:[0,1,0]
	v_pk_fma_f16 v11, v62, v78, v11 op_sel_hi:[1,0,1]
	v_pk_fma_f16 v62, v62, v78, v5 op_sel:[0,1,0]
	v_pk_fma_f16 v64, v63, v77, v7 op_sel_hi:[1,0,1]
	ds_load_2addr_b64 v[5:8], v58 offset0:64 offset1:96
	ds_load_b128 v[87:90], v47 offset:656
	v_pk_fma_f16 v57, v63, v77, v57 op_sel:[0,1,0]
	v_pk_fma_f16 v10, v63, v78, v10 op_sel_hi:[1,0,1]
	v_pk_fma_f16 v60, v63, v78, v60 op_sel:[0,1,0]
	s_waitcnt lgkmcnt(2)
	v_pk_fma_f16 v61, v79, v83, v61 op_sel_hi:[1,0,1]
	v_pk_fma_f16 v9, v79, v83, v9 op_sel:[0,1,0]
	v_pk_fma_f16 v11, v79, v84, v11 op_sel_hi:[1,0,1]
	v_pk_fma_f16 v62, v79, v84, v62 op_sel:[0,1,0]
	v_pk_fma_f16 v63, v80, v83, v64 op_sel_hi:[1,0,1]
	v_pk_fma_f16 v57, v80, v83, v57 op_sel:[0,1,0]
	v_pk_fma_f16 v10, v80, v84, v10 op_sel_hi:[1,0,1]
	v_pk_fma_f16 v64, v80, v84, v60 op_sel:[0,1,0]
	v_pk_fma_f16 v65, v81, v85, v61 op_sel_hi:[1,0,1]
	v_pk_fma_f16 v9, v81, v85, v9 op_sel:[0,1,0]
	v_pk_fma_f16 v11, v81, v86, v11 op_sel_hi:[1,0,1]
	v_pk_fma_f16 v79, v81, v86, v62 op_sel:[0,1,0]
	v_pk_fma_f16 v80, v82, v85, v63 op_sel_hi:[1,0,1]
	ds_load_2addr_b64 v[60:63], v58 offset0:128 offset1:160
	ds_load_b128 v[75:78], v47 offset:672
	v_pk_fma_f16 v57, v82, v85, v57 op_sel:[0,1,0]
	;; [unrolled: 19-line block ×3, first 2 shown]
	v_pk_fma_f16 v10, v8, v90, v10 op_sel_hi:[1,0,1]
	v_pk_fma_f16 v6, v8, v90, v6 op_sel:[0,1,0]
	s_waitcnt lgkmcnt(2)
	v_pk_fma_f16 v8, v60, v75, v64 op_sel_hi:[1,0,1]
	v_pk_fma_f16 v9, v60, v75, v9 op_sel:[0,1,0]
	v_pk_fma_f16 v11, v60, v76, v11 op_sel_hi:[1,0,1]
	v_pk_fma_f16 v5, v60, v76, v5 op_sel:[0,1,0]
	;; [unrolled: 2-line block ×6, first 2 shown]
	v_pk_fma_f16 v62, v63, v77, v7 op_sel_hi:[1,0,1]
	ds_load_2addr_b64 v[5:8], v59 offset1:32
	ds_load_b128 v[87:90], v47 offset:704
	v_pk_fma_f16 v57, v63, v77, v57 op_sel:[0,1,0]
	v_pk_fma_f16 v10, v63, v78, v10 op_sel_hi:[1,0,1]
	s_waitcnt lgkmcnt(2)
	v_pk_fma_f16 v60, v79, v83, v60 op_sel_hi:[1,0,1]
	v_pk_fma_f16 v61, v79, v84, v61 op_sel:[0,1,0]
	v_pk_fma_f16 v62, v80, v83, v62 op_sel_hi:[1,0,1]
	v_pk_fma_f16 v58, v63, v78, v58 op_sel:[0,1,0]
	v_pk_fma_f16 v9, v79, v83, v9 op_sel:[0,1,0]
	v_pk_fma_f16 v11, v79, v84, v11 op_sel_hi:[1,0,1]
	v_pk_fma_f16 v57, v80, v83, v57 op_sel:[0,1,0]
	v_pk_fma_f16 v64, v81, v85, v60 op_sel_hi:[1,0,1]
	;; [unrolled: 2-line block ×3, first 2 shown]
	ds_load_2addr_b64 v[60:63], v59 offset0:64 offset1:96
	ds_load_b128 v[75:78], v47 offset:720
	v_pk_fma_f16 v10, v80, v84, v10 op_sel_hi:[1,0,1]
	v_pk_fma_f16 v58, v80, v84, v58 op_sel:[0,1,0]
	v_pk_fma_f16 v9, v81, v85, v9 op_sel:[0,1,0]
	v_pk_fma_f16 v11, v81, v86, v11 op_sel_hi:[1,0,1]
	v_pk_fma_f16 v57, v82, v85, v57 op_sel:[0,1,0]
	v_pk_fma_f16 v10, v82, v86, v10 op_sel_hi:[1,0,1]
	v_pk_fma_f16 v58, v82, v86, v58 op_sel:[0,1,0]
	s_waitcnt lgkmcnt(2)
	v_pk_fma_f16 v64, v5, v87, v64 op_sel_hi:[1,0,1]
	v_pk_fma_f16 v9, v5, v87, v9 op_sel:[0,1,0]
	v_pk_fma_f16 v11, v5, v88, v11 op_sel_hi:[1,0,1]
	v_pk_fma_f16 v5, v5, v88, v65 op_sel:[0,1,0]
	;; [unrolled: 2-line block ×7, first 2 shown]
	ds_load_2addr_b64 v[79:82], v59 offset0:128 offset1:160
	ds_load_b128 v[83:86], v47 offset:736
	v_pk_fma_f16 v10, v8, v90, v10 op_sel_hi:[1,0,1]
	v_pk_fma_f16 v6, v8, v90, v6 op_sel:[0,1,0]
	s_waitcnt lgkmcnt(2)
	v_pk_fma_f16 v8, v60, v75, v58 op_sel_hi:[1,0,1]
	v_pk_fma_f16 v9, v60, v75, v9 op_sel:[0,1,0]
	v_pk_fma_f16 v11, v60, v76, v11 op_sel_hi:[1,0,1]
	v_pk_fma_f16 v5, v60, v76, v5 op_sel:[0,1,0]
	;; [unrolled: 2-line block ×7, first 2 shown]
	ds_load_2addr_b64 v[5:8], v59 offset0:192 offset1:224
	ds_load_b128 v[57:60], v47 offset:752
	v_pk_fma_f16 v10, v63, v78, v10 op_sel_hi:[1,0,1]
	v_pk_fma_f16 v61, v63, v78, v61 op_sel:[0,1,0]
	s_waitcnt lgkmcnt(2)
	v_pk_fma_f16 v63, v79, v83, v64 op_sel_hi:[1,0,1]
	v_pk_fma_f16 v9, v79, v83, v9 op_sel:[0,1,0]
	v_pk_fma_f16 v11, v79, v84, v11 op_sel_hi:[1,0,1]
	v_pk_fma_f16 v62, v79, v84, v62 op_sel:[0,1,0]
	;; [unrolled: 2-line block ×6, first 2 shown]
	v_pk_fma_f16 v83, v82, v85, v64 op_sel_hi:[1,0,1]
	ds_load_2addr_b64 v[61:64], v56 offset1:32
	ds_load_b128 v[75:78], v47 offset:768
	v_pk_fma_f16 v65, v82, v85, v65 op_sel:[0,1,0]
	v_pk_fma_f16 v10, v82, v86, v10 op_sel_hi:[1,0,1]
	v_pk_fma_f16 v79, v82, v86, v79 op_sel:[0,1,0]
	s_waitcnt lgkmcnt(2)
	v_pk_fma_f16 v80, v5, v57, v80 op_sel_hi:[1,0,1]
	v_pk_fma_f16 v9, v5, v57, v9 op_sel:[0,1,0]
	v_pk_fma_f16 v11, v5, v58, v11 op_sel_hi:[1,0,1]
	v_pk_fma_f16 v5, v5, v58, v81 op_sel:[0,1,0]
	;; [unrolled: 2-line block ×6, first 2 shown]
	v_pk_fma_f16 v7, v8, v59, v81 op_sel_hi:[1,0,1]
	ds_load_2addr_b64 v[79:82], v56 offset0:64 offset1:96
	ds_load_b128 v[83:86], v47 offset:784
	v_pk_fma_f16 v57, v8, v59, v57 op_sel:[0,1,0]
	v_pk_fma_f16 v10, v8, v60, v10 op_sel_hi:[1,0,1]
	v_pk_fma_f16 v6, v8, v60, v6 op_sel:[0,1,0]
	s_waitcnt lgkmcnt(2)
	v_pk_fma_f16 v8, v61, v75, v58 op_sel_hi:[1,0,1]
	v_pk_fma_f16 v9, v61, v75, v9 op_sel:[0,1,0]
	v_pk_fma_f16 v11, v61, v76, v11 op_sel_hi:[1,0,1]
	v_pk_fma_f16 v5, v61, v76, v5 op_sel:[0,1,0]
	;; [unrolled: 2-line block ×7, first 2 shown]
	ds_load_2addr_b64 v[5:8], v56 offset0:128 offset1:160
	ds_load_b128 v[57:60], v47 offset:800
	v_pk_fma_f16 v10, v64, v78, v10 op_sel_hi:[1,0,1]
	v_pk_fma_f16 v61, v64, v78, v61 op_sel:[0,1,0]
	s_waitcnt lgkmcnt(2)
	v_pk_fma_f16 v62, v79, v83, v62 op_sel_hi:[1,0,1]
	v_pk_fma_f16 v9, v79, v83, v9 op_sel:[0,1,0]
	v_pk_fma_f16 v11, v79, v84, v11 op_sel_hi:[1,0,1]
	v_pk_fma_f16 v63, v79, v84, v63 op_sel:[0,1,0]
	v_pk_fma_f16 v64, v80, v83, v65 op_sel_hi:[1,0,1]
	v_pk_fma_f16 v65, v80, v83, v75 op_sel:[0,1,0]
	v_pk_fma_f16 v10, v80, v84, v10 op_sel_hi:[1,0,1]
	v_pk_fma_f16 v79, v80, v84, v61 op_sel:[0,1,0]
	v_pk_fma_f16 v80, v81, v85, v62 op_sel_hi:[1,0,1]
	v_pk_fma_f16 v9, v81, v85, v9 op_sel:[0,1,0]
	v_pk_fma_f16 v11, v81, v86, v11 op_sel_hi:[1,0,1]
	v_pk_fma_f16 v81, v81, v86, v63 op_sel:[0,1,0]
	v_pk_fma_f16 v83, v82, v85, v64 op_sel_hi:[1,0,1]
	ds_load_2addr_b64 v[61:64], v56 offset0:192 offset1:224
	ds_load_b128 v[75:78], v47 offset:816
	v_pk_fma_f16 v65, v82, v85, v65 op_sel:[0,1,0]
	v_pk_fma_f16 v10, v82, v86, v10 op_sel_hi:[1,0,1]
	v_pk_fma_f16 v56, v82, v86, v79 op_sel:[0,1,0]
	s_waitcnt lgkmcnt(2)
	v_pk_fma_f16 v79, v5, v57, v80 op_sel_hi:[1,0,1]
	v_pk_fma_f16 v9, v5, v57, v9 op_sel:[0,1,0]
	v_pk_fma_f16 v11, v5, v58, v11 op_sel_hi:[1,0,1]
	v_pk_fma_f16 v5, v5, v58, v81 op_sel:[0,1,0]
	;; [unrolled: 2-line block ×7, first 2 shown]
	ds_load_2addr_b64 v[56:59], v55 offset1:32
	ds_load_b128 v[79:82], v47 offset:832
	v_pk_fma_f16 v10, v8, v60, v10 op_sel_hi:[1,0,1]
	v_pk_fma_f16 v6, v8, v60, v6 op_sel:[0,1,0]
	s_waitcnt lgkmcnt(2)
	v_pk_fma_f16 v8, v61, v75, v65 op_sel_hi:[1,0,1]
	v_pk_fma_f16 v9, v61, v75, v9 op_sel:[0,1,0]
	v_pk_fma_f16 v11, v61, v76, v11 op_sel_hi:[1,0,1]
	v_pk_fma_f16 v5, v61, v76, v5 op_sel:[0,1,0]
	v_pk_fma_f16 v7, v62, v75, v7 op_sel_hi:[1,0,1]
	v_pk_fma_f16 v60, v62, v75, v83 op_sel:[0,1,0]
	v_pk_fma_f16 v10, v62, v76, v10 op_sel_hi:[1,0,1]
	v_pk_fma_f16 v65, v62, v76, v6 op_sel:[0,1,0]
	v_pk_fma_f16 v75, v63, v77, v8 op_sel_hi:[1,0,1]
	v_pk_fma_f16 v9, v63, v77, v9 op_sel:[0,1,0]
	v_pk_fma_f16 v11, v63, v78, v11 op_sel_hi:[1,0,1]
	v_pk_fma_f16 v76, v63, v78, v5 op_sel:[0,1,0]
	v_pk_fma_f16 v83, v64, v77, v7 op_sel_hi:[1,0,1]
	v_pk_fma_f16 v77, v64, v77, v60 op_sel:[0,1,0]
	ds_load_2addr_b64 v[5:8], v55 offset0:64 offset1:96
	ds_load_b128 v[60:63], v47 offset:848
	v_pk_fma_f16 v10, v64, v78, v10 op_sel_hi:[1,0,1]
	v_pk_fma_f16 v64, v64, v78, v65 op_sel:[0,1,0]
	s_waitcnt lgkmcnt(2)
	v_pk_fma_f16 v65, v56, v79, v75 op_sel_hi:[1,0,1]
	v_pk_fma_f16 v9, v56, v79, v9 op_sel:[0,1,0]
	v_pk_fma_f16 v11, v56, v80, v11 op_sel_hi:[1,0,1]
	v_pk_fma_f16 v56, v56, v80, v76 op_sel:[0,1,0]
	v_pk_fma_f16 v75, v57, v79, v83 op_sel_hi:[1,0,1]
	v_pk_fma_f16 v76, v57, v79, v77 op_sel:[0,1,0]
	v_pk_fma_f16 v10, v57, v80, v10 op_sel_hi:[1,0,1]
	v_pk_fma_f16 v57, v57, v80, v64 op_sel:[0,1,0]
	v_pk_fma_f16 v64, v58, v81, v65 op_sel_hi:[1,0,1]
	v_pk_fma_f16 v9, v58, v81, v9 op_sel:[0,1,0]
	v_pk_fma_f16 v11, v58, v82, v11 op_sel_hi:[1,0,1]
	v_pk_fma_f16 v56, v58, v82, v56 op_sel:[0,1,0]
	v_pk_fma_f16 v58, v59, v81, v75 op_sel_hi:[1,0,1]
	v_pk_fma_f16 v65, v59, v81, v76 op_sel:[0,1,0]
	ds_load_2addr_b64 v[75:78], v55 offset0:128 offset1:160
	ds_load_b128 v[83:86], v47 offset:864
	v_pk_fma_f16 v10, v59, v82, v10 op_sel_hi:[1,0,1]
	v_pk_fma_f16 v57, v59, v82, v57 op_sel:[0,1,0]
	s_waitcnt lgkmcnt(2)
	v_pk_fma_f16 v59, v5, v60, v64 op_sel_hi:[1,0,1]
	v_pk_fma_f16 v9, v5, v60, v9 op_sel:[0,1,0]
	v_pk_fma_f16 v11, v5, v61, v11 op_sel_hi:[1,0,1]
	v_pk_fma_f16 v5, v5, v61, v56 op_sel:[0,1,0]
	v_pk_fma_f16 v56, v6, v60, v58 op_sel_hi:[1,0,1]
	v_pk_fma_f16 v58, v6, v60, v65 op_sel:[0,1,0]
	v_pk_fma_f16 v10, v6, v61, v10 op_sel_hi:[1,0,1]
	v_pk_fma_f16 v6, v6, v61, v57 op_sel:[0,1,0]
	v_pk_fma_f16 v64, v7, v62, v59 op_sel_hi:[1,0,1]
	v_pk_fma_f16 v9, v7, v62, v9 op_sel:[0,1,0]
	v_pk_fma_f16 v11, v7, v63, v11 op_sel_hi:[1,0,1]
	v_pk_fma_f16 v5, v7, v63, v5 op_sel:[0,1,0]
	v_pk_fma_f16 v7, v8, v62, v56 op_sel_hi:[1,0,1]
	v_pk_fma_f16 v65, v8, v62, v58 op_sel:[0,1,0]
	ds_load_2addr_b64 v[55:58], v55 offset0:192 offset1:224
	ds_load_b128 v[59:62], v47 offset:880
	v_pk_fma_f16 v10, v8, v63, v10 op_sel_hi:[1,0,1]
	v_pk_fma_f16 v6, v8, v63, v6 op_sel:[0,1,0]
	s_waitcnt lgkmcnt(2)
	v_pk_fma_f16 v8, v75, v83, v64 op_sel_hi:[1,0,1]
	v_pk_fma_f16 v9, v75, v83, v9 op_sel:[0,1,0]
	v_pk_fma_f16 v11, v75, v84, v11 op_sel_hi:[1,0,1]
	v_pk_fma_f16 v5, v75, v84, v5 op_sel:[0,1,0]
	;; [unrolled: 2-line block ×6, first 2 shown]
	v_pk_fma_f16 v76, v78, v85, v7 op_sel_hi:[1,0,1]
	ds_load_2addr_b64 v[5:8], v54 offset1:32
	ds_load_b128 v[79:82], v47 offset:896
	v_pk_fma_f16 v63, v78, v85, v63 op_sel:[0,1,0]
	v_pk_fma_f16 v10, v78, v86, v10 op_sel_hi:[1,0,1]
	v_pk_fma_f16 v64, v78, v86, v64 op_sel:[0,1,0]
	s_waitcnt lgkmcnt(2)
	v_pk_fma_f16 v65, v55, v59, v65 op_sel_hi:[1,0,1]
	v_pk_fma_f16 v9, v55, v59, v9 op_sel:[0,1,0]
	v_pk_fma_f16 v11, v55, v60, v11 op_sel_hi:[1,0,1]
	v_pk_fma_f16 v55, v55, v60, v75 op_sel:[0,1,0]
	;; [unrolled: 2-line block ×6, first 2 shown]
	v_pk_fma_f16 v57, v58, v61, v75 op_sel_hi:[1,0,1]
	ds_load_2addr_b64 v[75:78], v54 offset0:64 offset1:96
	ds_load_b128 v[83:86], v47 offset:912
	v_pk_fma_f16 v59, v58, v61, v59 op_sel:[0,1,0]
	v_pk_fma_f16 v10, v58, v62, v10 op_sel_hi:[1,0,1]
	v_pk_fma_f16 v56, v58, v62, v56 op_sel:[0,1,0]
	s_waitcnt lgkmcnt(2)
	v_pk_fma_f16 v58, v5, v79, v60 op_sel_hi:[1,0,1]
	v_pk_fma_f16 v9, v5, v79, v9 op_sel:[0,1,0]
	v_pk_fma_f16 v11, v5, v80, v11 op_sel_hi:[1,0,1]
	v_pk_fma_f16 v5, v5, v80, v55 op_sel:[0,1,0]
	;; [unrolled: 2-line block ×7, first 2 shown]
	ds_load_2addr_b64 v[55:58], v54 offset0:128 offset1:160
	ds_load_b128 v[59:62], v47 offset:928
	v_pk_fma_f16 v10, v8, v82, v10 op_sel_hi:[1,0,1]
	v_pk_fma_f16 v6, v8, v82, v6 op_sel:[0,1,0]
	s_waitcnt lgkmcnt(2)
	v_pk_fma_f16 v8, v75, v83, v63 op_sel_hi:[1,0,1]
	v_pk_fma_f16 v5, v75, v84, v5 op_sel:[0,1,0]
	v_pk_fma_f16 v7, v76, v83, v7 op_sel_hi:[1,0,1]
	v_pk_fma_f16 v9, v75, v83, v9 op_sel:[0,1,0]
	;; [unrolled: 2-line block ×5, first 2 shown]
	v_pk_fma_f16 v76, v78, v85, v7 op_sel_hi:[1,0,1]
	ds_load_2addr_b64 v[5:8], v54 offset0:192 offset1:224
	ds_load_b128 v[79:82], v47 offset:944
	v_pk_fma_f16 v9, v77, v85, v9 op_sel:[0,1,0]
	v_pk_fma_f16 v11, v77, v86, v11 op_sel_hi:[1,0,1]
	v_pk_fma_f16 v63, v78, v85, v63 op_sel:[0,1,0]
	v_pk_fma_f16 v10, v78, v86, v10 op_sel_hi:[1,0,1]
	v_pk_fma_f16 v54, v78, v86, v64 op_sel:[0,1,0]
	s_waitcnt lgkmcnt(2)
	v_pk_fma_f16 v64, v55, v59, v65 op_sel_hi:[1,0,1]
	v_pk_fma_f16 v9, v55, v59, v9 op_sel:[0,1,0]
	v_pk_fma_f16 v11, v55, v60, v11 op_sel_hi:[1,0,1]
	v_pk_fma_f16 v55, v55, v60, v75 op_sel:[0,1,0]
	v_pk_fma_f16 v65, v56, v59, v76 op_sel_hi:[1,0,1]
	v_pk_fma_f16 v59, v56, v59, v63 op_sel:[0,1,0]
	v_pk_fma_f16 v10, v56, v60, v10 op_sel_hi:[1,0,1]
	v_pk_fma_f16 v60, v56, v60, v54 op_sel:[0,1,0]
	v_pk_fma_f16 v63, v57, v61, v64 op_sel_hi:[1,0,1]
	v_pk_fma_f16 v9, v57, v61, v9 op_sel:[0,1,0]
	v_pk_fma_f16 v11, v57, v62, v11 op_sel_hi:[1,0,1]
	v_pk_fma_f16 v64, v57, v62, v55 op_sel:[0,1,0]
	v_pk_fma_f16 v65, v58, v61, v65 op_sel_hi:[1,0,1]
	v_pk_fma_f16 v59, v58, v61, v59 op_sel:[0,1,0]
	ds_load_2addr_b64 v[54:57], v4 offset1:32
	ds_load_b128 v[75:78], v47 offset:960
	v_pk_fma_f16 v10, v58, v62, v10 op_sel_hi:[1,0,1]
	v_pk_fma_f16 v58, v58, v62, v60 op_sel:[0,1,0]
	s_waitcnt lgkmcnt(2)
	v_pk_fma_f16 v60, v5, v79, v63 op_sel_hi:[1,0,1]
	v_pk_fma_f16 v9, v5, v79, v9 op_sel:[0,1,0]
	v_pk_fma_f16 v11, v5, v80, v11 op_sel_hi:[1,0,1]
	v_pk_fma_f16 v5, v5, v80, v64 op_sel:[0,1,0]
	;; [unrolled: 2-line block ×7, first 2 shown]
	ds_load_2addr_b64 v[58:61], v4 offset0:64 offset1:96
	ds_load_b128 v[62:65], v47 offset:976
	v_pk_fma_f16 v10, v8, v82, v10 op_sel_hi:[1,0,1]
	v_pk_fma_f16 v6, v8, v82, v6 op_sel:[0,1,0]
	s_waitcnt lgkmcnt(2)
	v_pk_fma_f16 v8, v54, v75, v79 op_sel_hi:[1,0,1]
	v_pk_fma_f16 v9, v54, v75, v9 op_sel:[0,1,0]
	v_pk_fma_f16 v11, v54, v76, v11 op_sel_hi:[1,0,1]
	v_pk_fma_f16 v5, v54, v76, v5 op_sel:[0,1,0]
	;; [unrolled: 2-line block ×7, first 2 shown]
	ds_load_2addr_b64 v[5:8], v4 offset0:128 offset1:160
	ds_load_b128 v[79:82], v47 offset:992
	v_pk_fma_f16 v10, v57, v78, v10 op_sel_hi:[1,0,1]
	v_pk_fma_f16 v55, v57, v78, v55 op_sel:[0,1,0]
	s_waitcnt lgkmcnt(2)
	v_pk_fma_f16 v57, v58, v62, v75 op_sel_hi:[1,0,1]
	v_pk_fma_f16 v9, v58, v62, v9 op_sel:[0,1,0]
	v_pk_fma_f16 v11, v58, v63, v11 op_sel_hi:[1,0,1]
	v_pk_fma_f16 v56, v58, v63, v56 op_sel:[0,1,0]
	v_pk_fma_f16 v58, v59, v62, v76 op_sel_hi:[1,0,1]
	v_pk_fma_f16 v54, v59, v62, v54 op_sel:[0,1,0]
	v_pk_fma_f16 v10, v59, v63, v10 op_sel_hi:[1,0,1]
	v_pk_fma_f16 v55, v59, v63, v55 op_sel:[0,1,0]
	v_pk_fma_f16 v57, v60, v64, v57 op_sel_hi:[1,0,1]
	v_pk_fma_f16 v9, v60, v64, v9 op_sel:[0,1,0]
	v_pk_fma_f16 v11, v60, v65, v11 op_sel_hi:[1,0,1]
	v_pk_fma_f16 v56, v60, v65, v56 op_sel:[0,1,0]
	v_pk_fma_f16 v58, v61, v64, v58 op_sel_hi:[1,0,1]
	v_pk_fma_f16 v54, v61, v64, v54 op_sel:[0,1,0]
	v_pk_fma_f16 v10, v61, v65, v10 op_sel_hi:[1,0,1]
	v_pk_fma_f16 v55, v61, v65, v55 op_sel:[0,1,0]
	ds_load_b128 v[60:63], v47 offset:1008
	ds_load_2addr_b64 v[75:78], v4 offset0:192 offset1:224
	s_waitcnt lgkmcnt(0)
	s_barrier
	buffer_gl0_inv
	s_load_b32 s19, s[4:5], 0x4
	v_pk_fma_f16 v57, v5, v79, v57 op_sel_hi:[1,0,1]
	v_pk_fma_f16 v4, v5, v79, v9 op_sel:[0,1,0]
	v_pk_fma_f16 v9, v5, v80, v11 op_sel_hi:[1,0,1]
	v_pk_fma_f16 v5, v5, v80, v56 op_sel:[0,1,0]
	;; [unrolled: 2-line block ×12, first 2 shown]
	s_waitcnt lgkmcnt(0)
	s_lshl_b32 s19, s19, 7
	v_pk_fma_f16 v60, v77, v62, v8 op_sel_hi:[1,0,1]
	v_pk_fma_f16 v58, v77, v62, v4 op_sel:[0,1,0]
	v_pk_fma_f16 v56, v77, v63, v9 op_sel_hi:[1,0,1]
	v_pk_fma_f16 v55, v77, v63, v5 op_sel:[0,1,0]
	;; [unrolled: 2-line block ×4, first 2 shown]
	s_add_i32 s3, s19, s3
	s_delay_alu instid0(SALU_CYCLE_1)
	s_cmp_ge_i32 s3, s34
	s_cbranch_scc1 .LBB81_75
; %bb.74:                               ;   in Loop: Header=BB81_9 Depth=1
	v_dual_mov_b32 v65, v0 :: v_dual_mov_b32 v10, v3
	v_dual_mov_b32 v63, v1 :: v_dual_mov_b32 v64, v66
	;; [unrolled: 1-line block ×4, first 2 shown]
	s_branch .LBB81_9
.LBB81_75:
	v_mov_b32_e32 v7, v36
.LBB81_76:
	v_cmp_lt_i32_e32 vcc_lo, v74, v37
	s_cmp_lg_u64 s[24:25], 0
	s_cselect_b32 s3, -1, 0
	s_cmp_eq_u32 s14, 0
	v_cndmask_b32_e32 v4, v7, v74, vcc_lo
	v_cmp_lt_i32_e32 vcc_lo, v73, v37
	s_cselect_b32 s4, -1, 0
	s_delay_alu instid0(SALU_CYCLE_1) | instskip(SKIP_2) | instid1(VALU_DEP_2)
	s_and_b32 s3, s4, s3
	v_cndmask_b32_e32 v9, v7, v73, vcc_lo
	v_cmp_lt_i32_e32 vcc_lo, v72, v37
	v_lshlrev_b32_e32 v9, 2, v9
	v_lshlrev_b32_e32 v4, 2, v4
	v_cndmask_b32_e32 v13, v7, v72, vcc_lo
	v_cmp_lt_i32_e32 vcc_lo, v71, v37
	ds_bpermute_b32 v5, v4, v66
	v_lshlrev_b32_e32 v13, 2, v13
	s_waitcnt lgkmcnt(0)
	v_add_f32_e32 v5, v66, v5
	ds_bpermute_b32 v6, v4, v67
	ds_bpermute_b32 v8, v4, v69
	;; [unrolled: 1-line block ×4, first 2 shown]
	s_waitcnt lgkmcnt(3)
	v_add_f32_e32 v6, v67, v6
	s_waitcnt lgkmcnt(2)
	v_add_f32_e32 v8, v69, v8
	s_waitcnt lgkmcnt(0)
	v_dual_add_f32 v4, v68, v4 :: v_dual_add_f32 v5, v5, v10
	ds_bpermute_b32 v11, v9, v6
	ds_bpermute_b32 v12, v9, v8
	;; [unrolled: 1-line block ×3, first 2 shown]
	s_waitcnt lgkmcnt(2)
	v_add_f32_e32 v6, v6, v11
	s_waitcnt lgkmcnt(1)
	v_add_f32_e32 v8, v8, v12
	;; [unrolled: 2-line block ×3, first 2 shown]
	ds_bpermute_b32 v9, v13, v5
	ds_bpermute_b32 v10, v13, v6
	;; [unrolled: 1-line block ×4, first 2 shown]
	v_cndmask_b32_e32 v13, v7, v71, vcc_lo
	v_cmp_lt_i32_e32 vcc_lo, v70, v37
	s_delay_alu instid0(VALU_DEP_2) | instskip(SKIP_2) | instid1(VALU_DEP_1)
	v_lshlrev_b32_e32 v13, 2, v13
	v_cndmask_b32_e32 v7, v7, v70, vcc_lo
	s_and_b32 vcc_lo, exec_lo, s3
	v_lshlrev_b32_e32 v7, 2, v7
	s_waitcnt lgkmcnt(2)
	v_dual_add_f32 v5, v5, v9 :: v_dual_add_f32 v6, v6, v10
	s_waitcnt lgkmcnt(1)
	v_add_f32_e32 v8, v8, v11
	s_waitcnt lgkmcnt(0)
	v_add_f32_e32 v4, v4, v12
	ds_bpermute_b32 v9, v13, v5
	ds_bpermute_b32 v10, v13, v6
	;; [unrolled: 1-line block ×4, first 2 shown]
	s_waitcnt lgkmcnt(2)
	v_dual_add_f32 v5, v5, v9 :: v_dual_add_f32 v6, v6, v10
	s_waitcnt lgkmcnt(0)
	v_add_f32_e32 v9, v4, v12
	ds_bpermute_b32 v4, v7, v5
	ds_bpermute_b32 v10, v7, v6
	v_add_f32_e32 v8, v8, v11
	s_waitcnt lgkmcnt(0)
	v_dual_add_f32 v4, v5, v4 :: v_dual_add_f32 v5, v6, v10
	ds_bpermute_b32 v11, v7, v8
	ds_bpermute_b32 v7, v7, v9
	s_waitcnt lgkmcnt(1)
	v_add_f32_e32 v6, v8, v11
	s_waitcnt lgkmcnt(0)
	v_add_f32_e32 v7, v9, v7
	s_cbranch_vccz .LBB81_79
; %bb.77:
	s_ashr_i32 s3, s2, 31
	v_dual_mov_b32 v8, 0 :: v_dual_max_f32 v9, v1, v1
	s_lshl_b64 s[4:5], s[2:3], 2
	v_max_f32_e32 v15, v3, v3
	s_add_u32 s4, s24, s4
	s_addc_u32 s5, s25, s5
	global_load_b64 v[12:13], v8, s[4:5]
	s_waitcnt vmcnt(0)
	v_dual_max_f32 v8, v0, v0 :: v_dual_max_f32 v11, v13, v13
	v_max_f32_e32 v10, v12, v12
	s_delay_alu instid0(VALU_DEP_2) | instskip(NEXT) | instid1(VALU_DEP_2)
	v_dual_max_f32 v14, v2, v2 :: v_dual_max_f32 v9, v9, v11
	v_dual_max_f32 v8, v8, v10 :: v_dual_max_f32 v11, v15, v11
	s_delay_alu instid0(VALU_DEP_2) | instskip(NEXT) | instid1(VALU_DEP_3)
	v_max_f32_e32 v10, v14, v10
	v_sub_f32_e32 v16, v1, v9
	s_delay_alu instid0(VALU_DEP_3) | instskip(NEXT) | instid1(VALU_DEP_3)
	v_dual_sub_f32 v14, v0, v8 :: v_dual_sub_f32 v17, v13, v9
	v_dual_sub_f32 v15, v12, v8 :: v_dual_sub_f32 v18, v2, v10
	;; [unrolled: 1-line block ×3, first 2 shown]
	v_dual_sub_f32 v19, v3, v11 :: v_dual_mov_b32 v0, v8
	v_mov_b32_e32 v3, v11
	v_dual_mov_b32 v1, v9 :: v_dual_mov_b32 v2, v10
	v_dual_mul_f32 v9, 0x3fb8aa3b, v15 :: v_dual_mul_f32 v8, 0x3fb8aa3b, v14
	v_dual_mul_f32 v11, 0x3fb8aa3b, v17 :: v_dual_mul_f32 v10, 0x3fb8aa3b, v16
	;; [unrolled: 1-line block ×3, first 2 shown]
	v_mul_f32_e32 v21, 0x3fb8aa3b, v12
	s_delay_alu instid0(VALU_DEP_4)
	v_fma_f32 v24, 0x3fb8aa3b, v14, -v8
	v_rndne_f32_e32 v25, v8
	v_fma_f32 v36, 0x3fb8aa3b, v16, -v10
	v_fma_f32 v26, 0x3fb8aa3b, v15, -v9
	;; [unrolled: 1-line block ×3, first 2 shown]
	v_rndne_f32_e32 v43, v21
	v_rndne_f32_e32 v27, v9
	v_fma_f32 v38, 0x3fb8aa3b, v17, -v11
	v_rndne_f32_e32 v39, v11
	v_fmac_f32_e32 v24, 0x32a5705f, v14
	v_sub_f32_e32 v8, v8, v25
	v_dual_fmac_f32 v36, 0x32a5705f, v16 :: v_dual_sub_f32 v21, v21, v43
	v_dual_fmac_f32 v42, 0x32a5705f, v12 :: v_dual_sub_f32 v9, v9, v27
	v_dual_fmac_f32 v38, 0x32a5705f, v17 :: v_dual_sub_f32 v11, v11, v39
	s_delay_alu instid0(VALU_DEP_2) | instskip(SKIP_2) | instid1(VALU_DEP_4)
	v_dual_add_f32 v8, v8, v24 :: v_dual_add_f32 v21, v21, v42
	v_fmac_f32_e32 v26, 0x32a5705f, v15
	v_rndne_f32_e32 v37, v10
	v_dual_add_f32 v11, v11, v38 :: v_dual_mul_f32 v22, 0x3fb8aa3b, v19
	s_delay_alu instid0(VALU_DEP_4) | instskip(NEXT) | instid1(VALU_DEP_3)
	v_exp_f32_e32 v8, v8
	v_add_f32_e32 v9, v9, v26
	v_rndne_f32_e32 v47, v23
	v_cvt_i32_f32_e32 v25, v25
	v_sub_f32_e32 v10, v10, v37
	v_fma_f32 v40, 0x3fb8aa3b, v18, -v20
	v_exp_f32_e32 v9, v9
	v_rndne_f32_e32 v41, v20
	v_fma_f32 v46, 0x3fb8aa3b, v13, -v23
	v_sub_f32_e32 v23, v23, v47
	v_cvt_i32_f32_e32 v27, v27
	v_add_f32_e32 v10, v10, v36
	v_ldexp_f32 v8, v8, v25
	v_cmp_ngt_f32_e32 vcc_lo, 0xc2ce8ed0, v14
	v_fmac_f32_e32 v46, 0x32a5705f, v13
	v_sub_f32_e32 v20, v20, v41
	v_exp_f32_e32 v10, v10
	v_ldexp_f32 v9, v9, v27
	v_cndmask_b32_e32 v8, 0, v8, vcc_lo
	v_cmp_ngt_f32_e32 vcc_lo, 0xc2ce8ed0, v15
	v_fmac_f32_e32 v40, 0x32a5705f, v18
	v_cvt_i32_f32_e32 v37, v37
	v_add_f32_e32 v23, v23, v46
	v_exp_f32_e32 v11, v11
	s_delay_alu instid0(VALU_DEP_3)
	v_dual_cndmask_b32 v9, 0, v9 :: v_dual_add_f32 v20, v20, v40
	v_cvt_i32_f32_e32 v39, v39
	v_ldexp_f32 v10, v10, v37
	v_cmp_ngt_f32_e32 vcc_lo, 0xc2ce8ed0, v16
	v_cvt_i32_f32_e32 v41, v41
	v_exp_f32_e32 v20, v20
	v_exp_f32_e32 v21, v21
	v_exp_f32_e32 v23, v23
	v_ldexp_f32 v11, v11, v39
	v_cndmask_b32_e32 v10, 0, v10, vcc_lo
	v_cmp_ngt_f32_e32 vcc_lo, 0xc2ce8ed0, v17
	v_fma_f32 v44, 0x3fb8aa3b, v19, -v22
	v_rndne_f32_e32 v45, v22
	v_cvt_i32_f32_e32 v43, v43
	v_cvt_i32_f32_e32 v26, v47
	v_ldexp_f32 v20, v20, v41
	v_cndmask_b32_e32 v11, 0, v11, vcc_lo
	v_cmp_ngt_f32_e32 vcc_lo, 0xc2ce8ed0, v18
	v_ldexp_f32 v21, v21, v43
	v_ldexp_f32 v23, v23, v26
	v_sub_f32_e32 v22, v22, v45
	v_cvt_i32_f32_e32 v24, v45
	v_cndmask_b32_e32 v20, 0, v20, vcc_lo
	v_cmp_ngt_f32_e32 vcc_lo, 0xc2ce8ed0, v12
	v_dual_fmac_f32 v44, 0x32a5705f, v19 :: v_dual_cndmask_b32 v21, 0, v21
	s_delay_alu instid0(VALU_DEP_1) | instskip(SKIP_1) | instid1(VALU_DEP_2)
	v_add_f32_e32 v22, v22, v44
	v_cmp_ngt_f32_e32 vcc_lo, 0xc2ce8ed0, v19
	v_exp_f32_e32 v22, v22
	s_waitcnt_depctr 0xfff
	v_ldexp_f32 v22, v22, v24
	s_delay_alu instid0(VALU_DEP_1)
	v_cndmask_b32_e32 v22, 0, v22, vcc_lo
	v_cmp_ngt_f32_e32 vcc_lo, 0xc2ce8ed0, v13
	v_cndmask_b32_e32 v23, 0, v23, vcc_lo
	v_cmp_nlt_f32_e32 vcc_lo, 0x42b17218, v14
	v_cndmask_b32_e32 v14, 0x7f800000, v8, vcc_lo
	v_cmp_nlt_f32_e32 vcc_lo, 0x42b17218, v15
	;; [unrolled: 2-line block ×3, first 2 shown]
	s_delay_alu instid0(VALU_DEP_2)
	v_fmac_f32_e32 v8, v4, v14
	v_cndmask_b32_e32 v15, 0x7f800000, v10, vcc_lo
	v_cmp_nlt_f32_e32 vcc_lo, 0x42b17218, v17
	v_cvt_f16_f32_e32 v4, v14
	v_cndmask_b32_e32 v9, 0x7f800000, v11, vcc_lo
	v_cmp_nlt_f32_e32 vcc_lo, 0x42b17218, v18
	s_delay_alu instid0(VALU_DEP_3) | instskip(SKIP_1) | instid1(VALU_DEP_4)
	v_pk_mul_f16 v60, v4, v60 op_sel_hi:[0,1]
	v_pk_mul_f16 v61, v4, v61 op_sel_hi:[0,1]
	v_dual_mov_b32 v4, v8 :: v_dual_fmac_f32 v9, v5, v15
	v_cndmask_b32_e32 v16, 0x7f800000, v20, vcc_lo
	v_cmp_nlt_f32_e32 vcc_lo, 0x42b17218, v12
	v_cvt_f16_f32_e32 v5, v15
	v_cndmask_b32_e32 v10, 0x7f800000, v21, vcc_lo
	v_cmp_nlt_f32_e32 vcc_lo, 0x42b17218, v19
	s_delay_alu instid0(VALU_DEP_3) | instskip(SKIP_1) | instid1(VALU_DEP_4)
	v_pk_mul_f16 v58, v5, v58 op_sel_hi:[0,1]
	v_pk_mul_f16 v59, v5, v59 op_sel_hi:[0,1]
	v_dual_mov_b32 v5, v9 :: v_dual_fmac_f32 v10, v6, v16
	v_cndmask_b32_e32 v12, 0x7f800000, v22, vcc_lo
	v_cmp_nlt_f32_e32 vcc_lo, 0x42b17218, v13
	v_cvt_f16_f32_e32 v6, v16
	v_cndmask_b32_e32 v11, 0x7f800000, v23, vcc_lo
	s_delay_alu instid0(VALU_DEP_2) | instskip(SKIP_1) | instid1(VALU_DEP_3)
	v_pk_mul_f16 v56, v6, v56 op_sel_hi:[0,1]
	v_pk_mul_f16 v57, v6, v57 op_sel_hi:[0,1]
	v_dual_mov_b32 v6, v10 :: v_dual_fmac_f32 v11, v7, v12
	v_cvt_f16_f32_e32 v7, v12
	s_delay_alu instid0(VALU_DEP_1) | instskip(SKIP_1) | instid1(VALU_DEP_4)
	v_pk_mul_f16 v55, v7, v55 op_sel_hi:[0,1]
	v_pk_mul_f16 v54, v7, v54 op_sel_hi:[0,1]
	v_mov_b32_e32 v7, v11
	s_mov_b32 s3, exec_lo
	v_cmpx_gt_i32_e64 s6, v34
	s_cbranch_execnz .LBB81_80
.LBB81_78:
	s_nop 0
	s_sendmsg sendmsg(MSG_DEALLOC_VGPRS)
	s_endpgm
.LBB81_79:
	s_delay_alu instid0(VALU_DEP_1)
	v_dual_mov_b32 v11, v7 :: v_dual_mov_b32 v10, v6
	v_dual_mov_b32 v9, v5 :: v_dual_mov_b32 v8, v4
	s_mov_b32 s3, exec_lo
	v_cmpx_gt_i32_e64 s6, v34
	s_cbranch_execz .LBB81_78
.LBB81_80:
	s_load_b32 s1, s[0:1], 0xd4
	v_mov_b32_e32 v14, 1.0
	s_waitcnt lgkmcnt(0)
	s_cmp_lg_u32 s1, 1
	s_cselect_b32 s4, -1, 0
	s_cmp_eq_u32 s1, 1
	s_cselect_b32 s5, -1, 0
	s_and_b32 vcc_lo, exec_lo, s4
	s_cbranch_vccnz .LBB81_82
; %bb.81:
	v_div_scale_f32 v12, null, v4, v4, 1.0
	s_delay_alu instid0(VALU_DEP_1) | instskip(SKIP_2) | instid1(VALU_DEP_1)
	v_rcp_f32_e32 v13, v12
	s_waitcnt_depctr 0xfff
	v_fma_f32 v14, -v12, v13, 1.0
	v_fmac_f32_e32 v13, v14, v13
	v_div_scale_f32 v14, vcc_lo, 1.0, v4, 1.0
	s_delay_alu instid0(VALU_DEP_1) | instskip(NEXT) | instid1(VALU_DEP_1)
	v_mul_f32_e32 v15, v14, v13
	v_fma_f32 v16, -v12, v15, v14
	s_delay_alu instid0(VALU_DEP_1) | instskip(NEXT) | instid1(VALU_DEP_1)
	v_fmac_f32_e32 v15, v16, v13
	v_fma_f32 v12, -v12, v15, v14
	s_delay_alu instid0(VALU_DEP_1) | instskip(NEXT) | instid1(VALU_DEP_1)
	v_div_fmas_f32 v12, v12, v13, v15
	v_div_fixup_f32 v14, v12, v4, 1.0
.LBB81_82:
	s_mul_i32 s3, s12, s6
	v_cvt_f32_f16_e32 v18, v60
	s_add_i32 s3, s3, s15
	v_lshrrev_b32_e32 v17, 16, v61
	v_add_nc_u32_e32 v4, s3, v33
	v_cvt_f32_f16_e32 v21, v61
	v_cmp_eq_u32_e32 vcc_lo, 0, v35
	v_mov_b32_e32 v16, 0
	v_cvt_f32_f16_e32 v22, v17
	v_mul_lo_u32 v4, v4, s7
	v_mul_f32_e32 v17, v14, v21
	s_and_b32 s4, vcc_lo, s4
	s_delay_alu instid0(VALU_DEP_2) | instskip(NEXT) | instid1(VALU_DEP_1)
	v_add_nc_u32_e32 v15, s2, v4
	v_mad_u64_u32 v[12:13], null, s1, v15, s[14:15]
	v_lshrrev_b32_e32 v13, 16, v60
	s_delay_alu instid0(VALU_DEP_1) | instskip(NEXT) | instid1(VALU_DEP_3)
	v_cvt_f32_f16_e32 v13, v13
	v_lshl_add_u32 v15, v12, 7, v32
	s_delay_alu instid0(VALU_DEP_1) | instskip(NEXT) | instid1(VALU_DEP_3)
	v_lshlrev_b64 v[19:20], 2, v[15:16]
	v_mul_f32_e32 v16, v14, v13
	v_mul_f32_e32 v15, v14, v18
	;; [unrolled: 1-line block ×3, first 2 shown]
	s_delay_alu instid0(VALU_DEP_4) | instskip(NEXT) | instid1(VALU_DEP_1)
	v_add_co_u32 v13, s0, s28, v19
	v_add_co_ci_u32_e64 v14, s0, s29, v20, s0
	global_store_b128 v[13:14], v[15:18], off
	s_and_saveexec_b32 s0, s4
	s_cbranch_execz .LBB81_84
; %bb.83:
	v_ashrrev_i32_e32 v13, 31, v12
	v_mov_b32_e32 v14, v0
	v_mov_b32_e32 v15, v8
	s_delay_alu instid0(VALU_DEP_3) | instskip(NEXT) | instid1(VALU_DEP_1)
	v_lshlrev_b64 v[12:13], 3, v[12:13]
	v_add_co_u32 v12, vcc_lo, s30, v12
	s_delay_alu instid0(VALU_DEP_2)
	v_add_co_ci_u32_e32 v13, vcc_lo, s31, v13, vcc_lo
	global_store_b64 v[12:13], v[14:15], off
.LBB81_84:
	s_or_b32 exec_lo, exec_lo, s0
	v_cndmask_b32_e64 v12, 0, 1, s5
	v_mov_b32_e32 v0, 1.0
	s_and_not1_b32 vcc_lo, exec_lo, s5
	s_cbranch_vccnz .LBB81_86
; %bb.85:
	v_div_scale_f32 v0, null, v5, v5, 1.0
	s_delay_alu instid0(VALU_DEP_1) | instskip(SKIP_2) | instid1(VALU_DEP_1)
	v_rcp_f32_e32 v8, v0
	s_waitcnt_depctr 0xfff
	v_fma_f32 v13, -v0, v8, 1.0
	v_fmac_f32_e32 v8, v13, v8
	v_div_scale_f32 v13, vcc_lo, 1.0, v5, 1.0
	s_delay_alu instid0(VALU_DEP_1) | instskip(NEXT) | instid1(VALU_DEP_1)
	v_mul_f32_e32 v14, v13, v8
	v_fma_f32 v15, -v0, v14, v13
	s_delay_alu instid0(VALU_DEP_1) | instskip(NEXT) | instid1(VALU_DEP_1)
	v_fmac_f32_e32 v14, v15, v8
	v_fma_f32 v0, -v0, v14, v13
	s_delay_alu instid0(VALU_DEP_1) | instskip(NEXT) | instid1(VALU_DEP_1)
	v_div_fmas_f32 v0, v0, v8, v14
	v_div_fixup_f32 v0, v0, v5, 1.0
.LBB81_86:
	s_add_i32 s0, s2, 1
	v_cvt_f32_f16_e32 v15, v58
	v_add_nc_u32_e32 v8, s0, v4
	v_cvt_f32_f16_e32 v16, v59
	v_mov_b32_e32 v14, 0
	s_delay_alu instid0(VALU_DEP_3) | instskip(SKIP_2) | instid1(VALU_DEP_2)
	v_mad_u64_u32 v[4:5], null, s1, v8, s[14:15]
	v_lshrrev_b32_e32 v5, 16, v58
	v_lshrrev_b32_e32 v8, 16, v59
	v_cvt_f32_f16_e32 v5, v5
	s_delay_alu instid0(VALU_DEP_4) | instskip(NEXT) | instid1(VALU_DEP_3)
	v_lshl_add_u32 v13, v4, 7, v32
	v_cvt_f32_f16_e32 v8, v8
	s_delay_alu instid0(VALU_DEP_2)
	v_lshlrev_b64 v[17:18], 2, v[13:14]
	v_mul_f32_e32 v13, v0, v15
	v_mul_f32_e32 v15, v0, v16
	;; [unrolled: 1-line block ×4, first 2 shown]
	v_add_co_u32 v17, vcc_lo, s28, v17
	v_add_co_ci_u32_e32 v18, vcc_lo, s29, v18, vcc_lo
	global_store_b128 v[17:18], v[13:16], off
	s_and_saveexec_b32 s5, s4
	s_cbranch_execz .LBB81_88
; %bb.87:
	v_ashrrev_i32_e32 v5, 31, v4
	v_mov_b32_e32 v8, v1
	s_delay_alu instid0(VALU_DEP_2) | instskip(NEXT) | instid1(VALU_DEP_1)
	v_lshlrev_b64 v[4:5], 3, v[4:5]
	v_add_co_u32 v4, vcc_lo, s30, v4
	s_delay_alu instid0(VALU_DEP_2)
	v_add_co_ci_u32_e32 v5, vcc_lo, s31, v5, vcc_lo
	global_store_b64 v[4:5], v[8:9], off
.LBB81_88:
	s_or_b32 exec_lo, exec_lo, s5
	v_cmp_gt_i32_e32 vcc_lo, s6, v31
	s_and_b32 exec_lo, exec_lo, vcc_lo
	s_cbranch_execz .LBB81_78
; %bb.89:
	v_cmp_ne_u32_e32 vcc_lo, 1, v12
	v_mov_b32_e32 v4, 1.0
	s_cbranch_vccnz .LBB81_91
; %bb.90:
	v_div_scale_f32 v0, null, v6, v6, 1.0
	s_delay_alu instid0(VALU_DEP_1) | instskip(SKIP_2) | instid1(VALU_DEP_1)
	v_rcp_f32_e32 v1, v0
	s_waitcnt_depctr 0xfff
	v_fma_f32 v4, -v0, v1, 1.0
	v_fmac_f32_e32 v1, v4, v1
	v_div_scale_f32 v4, vcc_lo, 1.0, v6, 1.0
	s_delay_alu instid0(VALU_DEP_1) | instskip(NEXT) | instid1(VALU_DEP_1)
	v_mul_f32_e32 v5, v4, v1
	v_fma_f32 v8, -v0, v5, v4
	s_delay_alu instid0(VALU_DEP_1) | instskip(NEXT) | instid1(VALU_DEP_1)
	v_fmac_f32_e32 v5, v8, v1
	v_fma_f32 v0, -v0, v5, v4
	s_delay_alu instid0(VALU_DEP_1) | instskip(NEXT) | instid1(VALU_DEP_1)
	v_div_fmas_f32 v0, v0, v1, v5
	v_div_fixup_f32 v4, v0, v6, 1.0
.LBB81_91:
	v_cvt_f32_f16_e32 v9, v56
	v_add_nc_u32_e32 v0, s3, v30
	v_cvt_f32_f16_e32 v14, v57
	v_lshrrev_b32_e32 v8, 16, v57
	s_delay_alu instid0(VALU_DEP_4) | instskip(NEXT) | instid1(VALU_DEP_4)
	v_mul_f32_e32 v13, v4, v9
	v_mad_u64_u32 v[5:6], null, v0, s7, s[2:3]
	s_delay_alu instid0(VALU_DEP_4) | instskip(NEXT) | instid1(VALU_DEP_4)
	v_dual_mov_b32 v6, 0 :: v_dual_mul_f32 v15, v4, v14
	v_cvt_f32_f16_e32 v8, v8
	s_delay_alu instid0(VALU_DEP_3) | instskip(SKIP_1) | instid1(VALU_DEP_3)
	v_mad_u64_u32 v[0:1], null, s1, v5, s[14:15]
	v_lshrrev_b32_e32 v1, 16, v56
	v_mul_f32_e32 v16, v4, v8
	s_delay_alu instid0(VALU_DEP_2) | instskip(NEXT) | instid1(VALU_DEP_4)
	v_cvt_f32_f16_e32 v1, v1
	v_lshl_add_u32 v5, v0, 7, v32
	s_delay_alu instid0(VALU_DEP_2) | instskip(NEXT) | instid1(VALU_DEP_2)
	v_mul_f32_e32 v14, v4, v1
	v_lshlrev_b64 v[5:6], 2, v[5:6]
	s_delay_alu instid0(VALU_DEP_1) | instskip(NEXT) | instid1(VALU_DEP_2)
	v_add_co_u32 v4, vcc_lo, s28, v5
	v_add_co_ci_u32_e32 v5, vcc_lo, s29, v6, vcc_lo
	global_store_b128 v[4:5], v[13:16], off
	s_and_saveexec_b32 s2, s4
	s_cbranch_execz .LBB81_93
; %bb.92:
	v_ashrrev_i32_e32 v1, 31, v0
	v_mov_b32_e32 v9, v2
	s_delay_alu instid0(VALU_DEP_2) | instskip(NEXT) | instid1(VALU_DEP_1)
	v_lshlrev_b64 v[0:1], 3, v[0:1]
	v_add_co_u32 v0, vcc_lo, s30, v0
	s_delay_alu instid0(VALU_DEP_2)
	v_add_co_ci_u32_e32 v1, vcc_lo, s31, v1, vcc_lo
	global_store_b64 v[0:1], v[9:10], off
.LBB81_93:
	s_or_b32 exec_lo, exec_lo, s2
	v_cmp_gt_i32_e32 vcc_lo, s6, v29
	s_and_b32 exec_lo, exec_lo, vcc_lo
	s_cbranch_execz .LBB81_78
; %bb.94:
	v_cmp_ne_u32_e32 vcc_lo, 1, v12
	v_mov_b32_e32 v2, 1.0
	s_cbranch_vccnz .LBB81_96
; %bb.95:
	v_div_scale_f32 v0, null, v7, v7, 1.0
	s_delay_alu instid0(VALU_DEP_1) | instskip(SKIP_2) | instid1(VALU_DEP_1)
	v_rcp_f32_e32 v1, v0
	s_waitcnt_depctr 0xfff
	v_fma_f32 v2, -v0, v1, 1.0
	v_fmac_f32_e32 v1, v2, v1
	v_div_scale_f32 v2, vcc_lo, 1.0, v7, 1.0
	s_delay_alu instid0(VALU_DEP_1) | instskip(NEXT) | instid1(VALU_DEP_1)
	v_mul_f32_e32 v4, v2, v1
	v_fma_f32 v5, -v0, v4, v2
	s_delay_alu instid0(VALU_DEP_1) | instskip(NEXT) | instid1(VALU_DEP_1)
	v_fmac_f32_e32 v4, v5, v1
	v_fma_f32 v0, -v0, v4, v2
	s_delay_alu instid0(VALU_DEP_1) | instskip(NEXT) | instid1(VALU_DEP_1)
	v_div_fmas_f32 v0, v0, v1, v4
	v_div_fixup_f32 v2, v0, v7, 1.0
.LBB81_96:
	v_add_nc_u32_e32 v0, s3, v28
	v_lshrrev_b32_e32 v6, 16, v54
	v_cvt_f32_f16_e32 v7, v55
	v_cvt_f32_f16_e32 v10, v54
	s_delay_alu instid0(VALU_DEP_4) | instskip(SKIP_2) | instid1(VALU_DEP_4)
	v_mad_u64_u32 v[4:5], null, v0, s7, s[0:1]
	v_mov_b32_e32 v5, 0
	v_cvt_f32_f16_e32 v12, v6
	v_mul_f32_e32 v6, v2, v10
	s_delay_alu instid0(VALU_DEP_4) | instskip(SKIP_1) | instid1(VALU_DEP_1)
	v_mad_u64_u32 v[0:1], null, s1, v4, s[14:15]
	v_lshrrev_b32_e32 v1, 16, v55
	v_cvt_f32_f16_e32 v1, v1
	s_delay_alu instid0(VALU_DEP_3) | instskip(NEXT) | instid1(VALU_DEP_1)
	v_lshl_add_u32 v4, v0, 7, v32
	v_lshlrev_b64 v[8:9], 2, v[4:5]
	s_delay_alu instid0(VALU_DEP_3) | instskip(SKIP_2) | instid1(VALU_DEP_4)
	v_mul_f32_e32 v5, v2, v1
	v_mul_f32_e32 v4, v2, v7
	;; [unrolled: 1-line block ×3, first 2 shown]
	v_add_co_u32 v1, vcc_lo, s28, v8
	v_add_co_ci_u32_e32 v2, vcc_lo, s29, v9, vcc_lo
	global_store_b128 v[1:2], v[4:7], off
	s_and_b32 exec_lo, exec_lo, s4
	s_cbranch_execz .LBB81_78
; %bb.97:
	v_ashrrev_i32_e32 v1, 31, v0
	v_mov_b32_e32 v10, v3
	s_delay_alu instid0(VALU_DEP_2) | instskip(NEXT) | instid1(VALU_DEP_1)
	v_lshlrev_b64 v[0:1], 3, v[0:1]
	v_add_co_u32 v0, vcc_lo, s30, v0
	s_delay_alu instid0(VALU_DEP_2)
	v_add_co_ci_u32_e32 v1, vcc_lo, s31, v1, vcc_lo
	global_store_b64 v[0:1], v[10:11], off
	s_nop 0
	s_sendmsg sendmsg(MSG_DEALLOC_VGPRS)
	s_endpgm
	.section	.rodata,"a",@progbits
	.p2align	6, 0x0
	.amdhsa_kernel _ZL15flash_attn_tileILi128ELi128ELi16ELi2ELb1EEvPKcS1_S1_S1_S1_PKiPfP15HIP_vector_typeIfLj2EEffffjfiS5_IjLj3EEiiiiiiiiiiiliiliiiiil
		.amdhsa_group_segment_fixed_size 34816
		.amdhsa_private_segment_fixed_size 0
		.amdhsa_kernarg_size 464
		.amdhsa_user_sgpr_count 13
		.amdhsa_user_sgpr_dispatch_ptr 0
		.amdhsa_user_sgpr_queue_ptr 0
		.amdhsa_user_sgpr_kernarg_segment_ptr 1
		.amdhsa_user_sgpr_dispatch_id 0
		.amdhsa_user_sgpr_private_segment_size 0
		.amdhsa_wavefront_size32 1
		.amdhsa_uses_dynamic_stack 0
		.amdhsa_enable_private_segment 0
		.amdhsa_system_sgpr_workgroup_id_x 1
		.amdhsa_system_sgpr_workgroup_id_y 1
		.amdhsa_system_sgpr_workgroup_id_z 1
		.amdhsa_system_sgpr_workgroup_info 0
		.amdhsa_system_vgpr_workitem_id 1
		.amdhsa_next_free_vgpr 255
		.amdhsa_next_free_sgpr 43
		.amdhsa_reserve_vcc 1
		.amdhsa_float_round_mode_32 0
		.amdhsa_float_round_mode_16_64 0
		.amdhsa_float_denorm_mode_32 3
		.amdhsa_float_denorm_mode_16_64 3
		.amdhsa_dx10_clamp 1
		.amdhsa_ieee_mode 1
		.amdhsa_fp16_overflow 0
		.amdhsa_workgroup_processor_mode 1
		.amdhsa_memory_ordered 1
		.amdhsa_forward_progress 0
		.amdhsa_shared_vgpr_count 0
		.amdhsa_exception_fp_ieee_invalid_op 0
		.amdhsa_exception_fp_denorm_src 0
		.amdhsa_exception_fp_ieee_div_zero 0
		.amdhsa_exception_fp_ieee_overflow 0
		.amdhsa_exception_fp_ieee_underflow 0
		.amdhsa_exception_fp_ieee_inexact 0
		.amdhsa_exception_int_div_zero 0
	.end_amdhsa_kernel
	.section	.text._ZL15flash_attn_tileILi128ELi128ELi16ELi2ELb1EEvPKcS1_S1_S1_S1_PKiPfP15HIP_vector_typeIfLj2EEffffjfiS5_IjLj3EEiiiiiiiiiiiliiliiiiil,"axG",@progbits,_ZL15flash_attn_tileILi128ELi128ELi16ELi2ELb1EEvPKcS1_S1_S1_S1_PKiPfP15HIP_vector_typeIfLj2EEffffjfiS5_IjLj3EEiiiiiiiiiiiliiliiiiil,comdat
.Lfunc_end81:
	.size	_ZL15flash_attn_tileILi128ELi128ELi16ELi2ELb1EEvPKcS1_S1_S1_S1_PKiPfP15HIP_vector_typeIfLj2EEffffjfiS5_IjLj3EEiiiiiiiiiiiliiliiiiil, .Lfunc_end81-_ZL15flash_attn_tileILi128ELi128ELi16ELi2ELb1EEvPKcS1_S1_S1_S1_PKiPfP15HIP_vector_typeIfLj2EEffffjfiS5_IjLj3EEiiiiiiiiiiiliiliiiiil
                                        ; -- End function
	.section	.AMDGPU.csdata,"",@progbits
; Kernel info:
; codeLenInByte = 44460
; NumSgprs: 45
; NumVgprs: 255
; ScratchSize: 0
; MemoryBound: 0
; FloatMode: 240
; IeeeMode: 1
; LDSByteSize: 34816 bytes/workgroup (compile time only)
; SGPRBlocks: 5
; VGPRBlocks: 31
; NumSGPRsForWavesPerEU: 45
; NumVGPRsForWavesPerEU: 255
; Occupancy: 5
; WaveLimiterHint : 1
; COMPUTE_PGM_RSRC2:SCRATCH_EN: 0
; COMPUTE_PGM_RSRC2:USER_SGPR: 13
; COMPUTE_PGM_RSRC2:TRAP_HANDLER: 0
; COMPUTE_PGM_RSRC2:TGID_X_EN: 1
; COMPUTE_PGM_RSRC2:TGID_Y_EN: 1
; COMPUTE_PGM_RSRC2:TGID_Z_EN: 1
; COMPUTE_PGM_RSRC2:TIDIG_COMP_CNT: 1
	.section	.text._ZL15flash_attn_tileILi128ELi128ELi8ELi2ELb1EEvPKcS1_S1_S1_S1_PKiPfP15HIP_vector_typeIfLj2EEffffjfiS5_IjLj3EEiiiiiiiiiiiliiliiiiil,"axG",@progbits,_ZL15flash_attn_tileILi128ELi128ELi8ELi2ELb1EEvPKcS1_S1_S1_S1_PKiPfP15HIP_vector_typeIfLj2EEffffjfiS5_IjLj3EEiiiiiiiiiiiliiliiiiil,comdat
	.globl	_ZL15flash_attn_tileILi128ELi128ELi8ELi2ELb1EEvPKcS1_S1_S1_S1_PKiPfP15HIP_vector_typeIfLj2EEffffjfiS5_IjLj3EEiiiiiiiiiiiliiliiiiil ; -- Begin function _ZL15flash_attn_tileILi128ELi128ELi8ELi2ELb1EEvPKcS1_S1_S1_S1_PKiPfP15HIP_vector_typeIfLj2EEffffjfiS5_IjLj3EEiiiiiiiiiiiliiliiiiil
	.p2align	8
	.type	_ZL15flash_attn_tileILi128ELi128ELi8ELi2ELb1EEvPKcS1_S1_S1_S1_PKiPfP15HIP_vector_typeIfLj2EEffffjfiS5_IjLj3EEiiiiiiiiiiiliiliiiiil,@function
_ZL15flash_attn_tileILi128ELi128ELi8ELi2ELb1EEvPKcS1_S1_S1_S1_PKiPfP15HIP_vector_typeIfLj2EEffffjfiS5_IjLj3EEiiiiiiiiiiiliiliiiiil: ; @_ZL15flash_attn_tileILi128ELi128ELi8ELi2ELb1EEvPKcS1_S1_S1_S1_PKiPfP15HIP_vector_typeIfLj2EEffffjfiS5_IjLj3EEiiiiiiiiiiiliiliiiiil
; %bb.0:
	s_clause 0x3
	s_load_b128 s[4:7], s[0:1], 0x5c
	s_load_b64 s[34:35], s[0:1], 0x80
	s_load_b512 s[16:31], s[0:1], 0x0
	s_load_b64 s[38:39], s[0:1], 0xb8
	s_mov_b64 s[36:37], 0
	s_waitcnt lgkmcnt(0)
	s_lshr_b32 s2, s7, 31
	s_delay_alu instid0(SALU_CYCLE_1) | instskip(NEXT) | instid1(SALU_CYCLE_1)
	s_add_i32 s2, s7, s2
	s_ashr_i32 s2, s2, 1
	s_delay_alu instid0(SALU_CYCLE_1) | instskip(SKIP_1) | instid1(VALU_DEP_1)
	v_cvt_f32_u32_e32 v1, s2
	s_sub_i32 s8, 0, s2
	v_rcp_iflag_f32_e32 v1, v1
	s_waitcnt_depctr 0xfff
	v_mul_f32_e32 v1, 0x4f7ffffe, v1
	s_delay_alu instid0(VALU_DEP_1) | instskip(NEXT) | instid1(VALU_DEP_1)
	v_cvt_u32_f32_e32 v1, v1
	v_readfirstlane_b32 s3, v1
	s_delay_alu instid0(VALU_DEP_1) | instskip(NEXT) | instid1(SALU_CYCLE_1)
	s_mul_i32 s8, s8, s3
	s_mul_hi_u32 s8, s3, s8
	s_delay_alu instid0(SALU_CYCLE_1) | instskip(NEXT) | instid1(SALU_CYCLE_1)
	s_add_i32 s3, s3, s8
	s_mul_hi_u32 s3, s15, s3
	s_delay_alu instid0(SALU_CYCLE_1) | instskip(SKIP_2) | instid1(SALU_CYCLE_1)
	s_mul_i32 s8, s3, s2
	s_add_i32 s9, s3, 1
	s_sub_i32 s8, s15, s8
	s_sub_i32 s10, s8, s2
	s_cmp_ge_u32 s8, s2
	s_cselect_b32 s3, s9, s3
	s_cselect_b32 s8, s10, s8
	s_add_i32 s9, s3, 1
	s_cmp_ge_u32 s8, s2
	s_cselect_b32 s12, s9, s3
	s_abs_i32 s3, s35
	s_abs_i32 s11, s7
	v_cvt_f32_u32_e32 v1, s3
	s_sub_i32 s8, 0, s3
	s_lshl_b32 s9, s15, 1
	s_mul_i32 s10, s12, s7
	s_delay_alu instid0(VALU_DEP_1) | instskip(SKIP_2) | instid1(VALU_DEP_1)
	v_rcp_iflag_f32_e32 v1, v1
	s_waitcnt_depctr 0xfff
	v_mul_f32_e32 v1, 0x4f7ffffe, v1
	v_cvt_u32_f32_e32 v1, v1
	s_delay_alu instid0(VALU_DEP_1) | instskip(NEXT) | instid1(VALU_DEP_1)
	v_readfirstlane_b32 s2, v1
	s_mul_i32 s8, s8, s2
	s_delay_alu instid0(SALU_CYCLE_1) | instskip(NEXT) | instid1(SALU_CYCLE_1)
	s_mul_hi_u32 s8, s2, s8
	s_add_i32 s8, s2, s8
	s_sub_i32 s2, s9, s10
	s_mul_hi_u32 s8, s11, s8
	s_xor_b32 s9, s7, s35
	s_mul_i32 s10, s8, s3
	s_ashr_i32 s9, s9, 31
	s_sub_i32 s10, s11, s10
	s_add_i32 s11, s8, 1
	s_sub_i32 s15, s10, s3
	s_cmp_ge_u32 s10, s3
	s_cselect_b32 s8, s11, s8
	s_cselect_b32 s10, s15, s10
	s_add_i32 s11, s8, 1
	s_cmp_ge_u32 s10, s3
	s_cselect_b32 s3, s11, s8
	s_delay_alu instid0(SALU_CYCLE_1) | instskip(NEXT) | instid1(SALU_CYCLE_1)
	s_xor_b32 s3, s3, s9
	s_sub_i32 s33, s3, s9
	s_delay_alu instid0(SALU_CYCLE_1) | instskip(SKIP_2) | instid1(VALU_DEP_1)
	s_abs_i32 s15, s33
	s_cmp_eq_u64 s[22:23], 0
	v_cvt_f32_u32_e32 v1, s15
	v_rcp_iflag_f32_e32 v1, v1
	s_waitcnt_depctr 0xfff
	v_mul_f32_e32 v1, 0x4f7ffffe, v1
	s_delay_alu instid0(VALU_DEP_1) | instskip(NEXT) | instid1(VALU_DEP_1)
	v_cvt_u32_f32_e32 v1, v1
	v_readfirstlane_b32 s35, v1
	s_cbranch_scc1 .LBB82_2
; %bb.1:
	s_abs_i32 s3, s38
	s_abs_i32 s10, s12
	v_cvt_f32_u32_e32 v1, s3
	s_sub_i32 s9, 0, s3
	s_delay_alu instid0(VALU_DEP_1) | instskip(SKIP_2) | instid1(VALU_DEP_1)
	v_rcp_iflag_f32_e32 v1, v1
	s_waitcnt_depctr 0xfff
	v_mul_f32_e32 v1, 0x4f7ffffe, v1
	v_cvt_u32_f32_e32 v1, v1
	s_delay_alu instid0(VALU_DEP_1) | instskip(NEXT) | instid1(VALU_DEP_1)
	v_readfirstlane_b32 s8, v1
	s_mul_i32 s9, s9, s8
	s_delay_alu instid0(SALU_CYCLE_1) | instskip(NEXT) | instid1(SALU_CYCLE_1)
	s_mul_hi_u32 s9, s8, s9
	s_add_i32 s11, s8, s9
	s_load_b64 s[8:9], s[0:1], 0xc8
	s_mul_hi_u32 s11, s10, s11
	s_delay_alu instid0(SALU_CYCLE_1) | instskip(NEXT) | instid1(SALU_CYCLE_1)
	s_mul_i32 s11, s11, s3
	s_sub_i32 s10, s10, s11
	s_ashr_i32 s11, s12, 31
	s_sub_i32 s36, s10, s3
	s_cmp_ge_u32 s10, s3
	s_cselect_b32 s10, s36, s10
	s_delay_alu instid0(SALU_CYCLE_1) | instskip(SKIP_2) | instid1(SALU_CYCLE_1)
	s_sub_i32 s36, s10, s3
	s_cmp_ge_u32 s10, s3
	s_cselect_b32 s3, s36, s10
	s_xor_b32 s3, s3, s11
	s_delay_alu instid0(SALU_CYCLE_1)
	s_sub_i32 s3, s3, s11
	s_waitcnt lgkmcnt(0)
	s_mul_i32 s9, s3, s9
	s_mul_hi_u32 s10, s3, s8
	s_ashr_i32 s11, s3, 31
	s_add_i32 s9, s10, s9
	s_mul_i32 s11, s11, s8
	s_mul_i32 s3, s3, s8
	s_add_i32 s9, s9, s11
	s_add_u32 s36, s22, s3
	s_addc_u32 s37, s23, s9
.LBB82_2:
	v_bfe_u32 v2, v0, 10, 10
	s_load_b128 s[8:11], s[0:1], 0x70
	v_and_b32_e32 v0, 0x3ff, v0
	s_delay_alu instid0(VALU_DEP_2) | instskip(NEXT) | instid1(VALU_DEP_2)
	v_lshl_add_u32 v1, s13, 3, v2
	v_lshlrev_b32_e32 v13, 1, v0
	s_delay_alu instid0(VALU_DEP_2) | instskip(NEXT) | instid1(VALU_DEP_1)
	v_mul_hi_u32 v3, s4, v1
	v_add_nc_u32_e32 v3, v1, v3
	s_waitcnt lgkmcnt(0)
	s_mul_i32 s3, s12, s10
	s_mul_i32 s4, s2, s9
	s_delay_alu instid0(VALU_DEP_1)
	v_lshrrev_b32_e32 v3, s5, v3
	s_ashr_i32 s5, s3, 31
	s_add_u32 s3, s16, s3
	s_addc_u32 s5, s17, s5
	s_ashr_i32 s10, s4, 31
	v_mul_lo_u32 v3, v3, s6
	s_add_u32 s3, s3, s4
	s_addc_u32 s4, s5, s10
	s_ashr_i32 s5, s8, 31
	s_delay_alu instid0(SALU_CYCLE_1) | instskip(SKIP_1) | instid1(VALU_DEP_2)
	v_alignbit_b32 v7, s5, s8, 2
	s_lshr_b32 s5, s5, 2
	v_sub_nc_u32_e32 v4, v1, v3
	s_delay_alu instid0(VALU_DEP_1) | instskip(NEXT) | instid1(VALU_DEP_1)
	v_mad_u64_u32 v[5:6], null, v7, v4, 0
	v_mov_b32_e32 v3, v6
	s_delay_alu instid0(VALU_DEP_1) | instskip(SKIP_1) | instid1(VALU_DEP_2)
	v_mad_u64_u32 v[6:7], null, s5, v4, v[3:4]
	v_lshlrev_b32_e32 v3, 4, v0
	v_lshlrev_b64 v[5:6], 2, v[5:6]
	s_delay_alu instid0(VALU_DEP_1) | instskip(NEXT) | instid1(VALU_DEP_2)
	v_add_co_u32 v5, vcc_lo, s3, v5
	v_add_co_ci_u32_e32 v6, vcc_lo, s4, v6, vcc_lo
	s_and_b32 s4, s9, -4
	s_delay_alu instid0(VALU_DEP_2) | instskip(NEXT) | instid1(VALU_DEP_2)
	v_add_co_u32 v5, vcc_lo, v5, v3
	v_add_co_ci_u32_e32 v6, vcc_lo, 0, v6, vcc_lo
	s_ashr_i32 s3, s9, 31
	s_delay_alu instid0(VALU_DEP_2) | instskip(NEXT) | instid1(VALU_DEP_2)
	v_add_co_u32 v9, vcc_lo, v5, s4
	v_add_co_ci_u32_e32 v10, vcc_lo, s3, v6, vcc_lo
	s_load_b32 s3, s[0:1], 0x40
	v_lshlrev_b32_e32 v3, 7, v2
	s_clause 0x1
	global_load_b128 v[5:8], v[5:6], off
	global_load_b128 v[9:12], v[9:10], off
	s_cmp_eq_u64 s[26:27], 0
	v_add_lshl_u32 v3, v13, v3, 2
	s_delay_alu instid0(VALU_DEP_1)
	v_add_nc_u32_e32 v3, 0x9800, v3
	s_waitcnt vmcnt(1) lgkmcnt(0)
	v_fma_mixlo_f16 v14, v7, s3, 0
	v_fma_mixlo_f16 v13, v5, s3, 0
	s_waitcnt vmcnt(0)
	v_fma_mixlo_f16 v16, v11, s3, 0
	v_fma_mixlo_f16 v15, v9, s3, 0
	v_fma_mixhi_f16 v14, v8, s3, 0
	v_fma_mixhi_f16 v13, v6, s3, 0
	s_delay_alu instid0(VALU_DEP_4) | instskip(NEXT) | instid1(VALU_DEP_4)
	v_fma_mixhi_f16 v16, v12, s3, 0
	v_fma_mixhi_f16 v15, v10, s3, 0
	ds_store_2addr_b64 v3, v[13:14], v[15:16] offset1:32
	s_waitcnt lgkmcnt(0)
	s_barrier
	buffer_gl0_inv
	s_cbranch_scc1 .LBB82_4
; %bb.3:
	s_load_b32 s3, s[0:1], 0xd0
	s_mov_b32 s5, 0
	s_waitcnt lgkmcnt(0)
	s_mul_i32 s3, s3, s12
	s_delay_alu instid0(SALU_CYCLE_1) | instskip(NEXT) | instid1(SALU_CYCLE_1)
	s_add_i32 s4, s3, s13
	s_lshl_b64 s[4:5], s[4:5], 2
	s_delay_alu instid0(SALU_CYCLE_1)
	s_add_u32 s4, s26, s4
	s_addc_u32 s5, s27, s5
	s_load_b32 s34, s[4:5], 0x0
.LBB82_4:
	v_mbcnt_lo_u32_b32 v38, -1, 0
	s_lshl_b32 s3, s14, 7
	s_waitcnt lgkmcnt(0)
	s_cmp_lt_i32 s3, s34
	s_cbranch_scc1 .LBB82_6
; %bb.5:
	v_mbcnt_lo_u32_b32 v3, -1, 0
	v_mov_b32_e32 v39, 32
	s_mov_b32 s4, 0
	s_mov_b32 s5, 0xfeffffff
	s_delay_alu instid0(VALU_DEP_2)
	v_xor_b32_e32 v77, 16, v3
	v_xor_b32_e32 v73, 8, v3
	;; [unrolled: 1-line block ×5, first 2 shown]
	s_branch .LBB82_7
.LBB82_6:
	s_mov_b32 s4, -1
                                        ; implicit-def: $sgpr5
                                        ; implicit-def: $vgpr3
                                        ; implicit-def: $vgpr39
                                        ; implicit-def: $vgpr77
                                        ; implicit-def: $vgpr73
                                        ; implicit-def: $vgpr74
                                        ; implicit-def: $vgpr75
                                        ; implicit-def: $vgpr76
.LBB82_7:
	s_delay_alu instid0(SALU_CYCLE_1) | instskip(SKIP_2) | instid1(VALU_DEP_3)
	v_cndmask_b32_e64 v5, 0, 1, s4
	v_dual_mov_b32 v36, s5 :: v_dual_mov_b32 v71, s4
	v_dual_mov_b32 v65, s4 :: v_dual_mov_b32 v70, s4
	v_cmp_ne_u32_e32 vcc_lo, 1, v5
	v_dual_mov_b32 v66, s4 :: v_dual_lshlrev_b32 v37, 2, v0
	v_dual_mov_b32 v35, s5 :: v_dual_mov_b32 v64, s4
	v_mov_b32_e32 v63, s4
	s_cbranch_vccnz .LBB82_44
; %bb.8:
	s_clause 0x1
	s_load_b128 s[8:11], s[0:1], 0x98
	s_load_b64 s[4:5], s[0:1], 0x8c
	s_sub_i32 s13, 0, s15
	s_abs_i32 s22, s2
	s_mul_i32 s13, s13, s35
	s_ashr_i32 s26, s33, 31
	s_mul_hi_u32 s13, s35, s13
	s_ashr_i32 s27, s39, 1
	s_add_i32 s35, s35, s13
	s_ashr_i32 s23, s2, 31
	s_mul_hi_u32 s33, s22, s35
	s_ashr_i32 s35, s12, 31
	s_load_b64 s[16:17], s[0:1], 0xa8
	s_mul_i32 s38, s33, s15
	v_lshrrev_b32_e32 v3, 4, v0
	v_dual_mov_b32 v68, 0xfeffffff :: v_dual_and_b32 v39, 60, v37
	v_dual_mov_b32 v63, 0 :: v_dual_lshlrev_b32 v22, 9, v2
	s_delay_alu instid0(VALU_DEP_3)
	v_lshl_add_u32 v3, v2, 1, v3
	s_waitcnt lgkmcnt(0)
	s_mul_i32 s39, s35, s8
	s_ashr_i32 s13, s4, 2
	s_mul_i32 s4, s12, s9
	s_mul_hi_u32 s9, s12, s8
	s_mul_i32 s8, s12, s8
	s_add_i32 s4, s9, s4
	s_ashr_i32 s10, s10, 2
	s_add_i32 s4, s4, s39
	s_add_u32 s8, s18, s8
	s_addc_u32 s4, s19, s4
	s_sub_i32 s18, s22, s38
	s_xor_b32 s9, s23, s26
	s_add_i32 s19, s33, 1
	s_sub_i32 s22, s18, s15
	s_cmp_ge_u32 s18, s15
	s_mul_i32 s17, s12, s17
	s_cselect_b32 s19, s19, s33
	s_cselect_b32 s18, s22, s18
	s_add_i32 s22, s19, 1
	s_cmp_ge_u32 s18, s15
	s_mul_hi_u32 s18, s12, s16
	s_cselect_b32 s15, s22, s19
	s_mul_i32 s35, s35, s16
	s_xor_b32 s15, s15, s9
	v_mul_lo_u32 v5, s13, v3
	s_sub_i32 s15, s15, s9
	v_mul_lo_u32 v19, s10, v3
	s_mul_i32 s5, s15, s5
	s_mul_i32 s16, s12, s16
	s_ashr_i32 s9, s5, 31
	s_add_u32 s8, s8, s5
	s_addc_u32 s9, s4, s9
	s_add_i32 s4, s18, s17
	s_mul_i32 s15, s15, s11
	s_add_i32 s4, s4, s35
	s_add_u32 s5, s20, s16
	s_addc_u32 s4, s21, s4
	s_ashr_i32 s16, s15, 31
	s_add_u32 s11, s5, s15
	s_addc_u32 s15, s4, s16
	s_lshl_b32 s4, s13, 4
	s_lshl_b32 s5, s10, 4
	v_dual_mov_b32 v64, 0 :: v_dual_add_nc_u32 v7, s4, v5
	v_dual_mov_b32 v66, 0 :: v_dual_add_nc_u32 v21, s5, v19
	s_delay_alu instid0(VALU_DEP_2) | instskip(SKIP_1) | instid1(VALU_DEP_2)
	v_dual_mov_b32 v62, 0 :: v_dual_add_nc_u32 v9, s4, v7
	s_load_b32 s16, s[0:1], 0x54
	v_add_nc_u32_e32 v23, s5, v21
	v_lshlrev_b32_e32 v20, 2, v39
	v_ashrrev_i32_e32 v6, 31, v5
	v_add_nc_u32_e32 v11, s4, v9
	v_ashrrev_i32_e32 v8, 31, v7
	v_add_nc_u32_e32 v25, s5, v23
	v_mad_u32_u24 v40, 0x110, v3, v20
	v_ashrrev_i32_e32 v10, 31, v9
	v_add_nc_u32_e32 v13, s4, v11
	v_ashrrev_i32_e32 v12, 31, v11
	v_add_nc_u32_e32 v29, s5, v25
	v_lshl_or_b32 v50, v3, 8, v20
	v_ashrrev_i32_e32 v20, 31, v19
	v_add_nc_u32_e32 v15, s4, v13
	v_ashrrev_i32_e32 v14, 31, v13
	v_add_nc_u32_e32 v31, s5, v29
	v_ashrrev_i32_e32 v24, 31, v23
	v_ashrrev_i32_e32 v26, 31, v25
	v_add_nc_u32_e32 v17, s4, v15
	v_ashrrev_i32_e32 v16, 31, v15
	v_add_nc_u32_e32 v33, s5, v31
	v_ashrrev_i32_e32 v30, 31, v29
	;; [unrolled: 5-line block ×3, first 2 shown]
	v_dual_mov_b32 v67, 0xfeffffff :: v_dual_lshlrev_b32 v60, 2, v39
	v_ashrrev_i32_e32 v28, 31, v27
	s_delay_alu instid0(VALU_DEP_4)
	v_ashrrev_i32_e32 v36, 31, v35
	v_mov_b32_e32 v39, 32
	v_add_nc_u32_e32 v49, 0x9800, v22
	v_add_nc_u32_e32 v51, 0x8800, v22
	v_ashrrev_i32_e32 v22, 31, v21
	v_mad_u64_u32 v[2:3], null, v4, s27, v[0:1]
	v_lshlrev_b64 v[3:4], 2, v[5:6]
	v_lshlrev_b64 v[5:6], 2, v[7:8]
	v_lshlrev_b64 v[7:8], 2, v[9:10]
	v_lshlrev_b64 v[9:10], 2, v[11:12]
	v_lshlrev_b64 v[11:12], 2, v[13:14]
	v_lshlrev_b64 v[13:14], 2, v[15:16]
	v_lshlrev_b64 v[15:16], 2, v[17:18]
	v_lshlrev_b64 v[17:18], 2, v[27:28]
	v_lshlrev_b64 v[19:20], 2, v[19:20]
	v_lshlrev_b64 v[21:22], 2, v[21:22]
	v_lshlrev_b64 v[23:24], 2, v[23:24]
	v_lshlrev_b64 v[25:26], 2, v[25:26]
	v_lshlrev_b64 v[27:28], 2, v[29:30]
	v_lshlrev_b64 v[29:30], 2, v[31:32]
	v_lshlrev_b64 v[31:32], 2, v[33:34]
	v_lshlrev_b64 v[33:34], 2, v[35:36]
	v_mul_u32_u24_e32 v41, 0x110, v0
	v_dual_mov_b32 v65, 0 :: v_dual_add_nc_u32 v42, 0x1100, v40
	v_add_nc_u32_e32 v43, 0x2200, v40
	v_dual_mov_b32 v61, 0 :: v_dual_add_nc_u32 v44, 0x3300, v40
	v_add_nc_u32_e32 v45, 0x4400, v40
	v_add_nc_u32_e32 v46, 0x5500, v40
	;; [unrolled: 1-line block ×11, first 2 shown]
	v_lshlrev_b32_e32 v59, 3, v0
	s_add_u32 s4, s0, 0xd0
	s_addc_u32 s5, s1, 0
	s_mov_b32 s17, 0xbbbac73d
.LBB82_9:                               ; =>This Inner Loop Header: Depth=1
	s_mul_hi_i32 s19, s3, s13
	s_mul_i32 s18, s3, s13
	s_delay_alu instid0(SALU_CYCLE_1) | instskip(NEXT) | instid1(SALU_CYCLE_1)
	s_lshl_b64 s[18:19], s[18:19], 2
	s_add_u32 s18, s8, s18
	s_addc_u32 s19, s9, s19
	v_add_co_u32 v35, vcc_lo, s18, v3
	v_add_co_ci_u32_e32 v36, vcc_lo, s19, v4, vcc_lo
	v_add_co_u32 v69, vcc_lo, s18, v5
	v_add_co_ci_u32_e32 v70, vcc_lo, s19, v6, vcc_lo
	s_delay_alu instid0(VALU_DEP_4) | instskip(NEXT) | instid1(VALU_DEP_4)
	v_add_co_u32 v35, vcc_lo, v35, v60
	v_add_co_ci_u32_e32 v36, vcc_lo, 0, v36, vcc_lo
	s_delay_alu instid0(VALU_DEP_4) | instskip(NEXT) | instid1(VALU_DEP_4)
	v_add_co_u32 v73, vcc_lo, v69, v60
	v_add_co_ci_u32_e32 v74, vcc_lo, 0, v70, vcc_lo
	s_clause 0x1
	global_load_b128 v[69:72], v[35:36], off
	global_load_b128 v[73:76], v[73:74], off
	v_add_co_u32 v35, vcc_lo, s18, v7
	v_add_co_ci_u32_e32 v36, vcc_lo, s19, v8, vcc_lo
	v_add_co_u32 v77, vcc_lo, s18, v9
	v_add_co_ci_u32_e32 v78, vcc_lo, s19, v10, vcc_lo
	s_delay_alu instid0(VALU_DEP_4) | instskip(NEXT) | instid1(VALU_DEP_4)
	v_add_co_u32 v35, vcc_lo, v35, v60
	v_add_co_ci_u32_e32 v36, vcc_lo, 0, v36, vcc_lo
	s_delay_alu instid0(VALU_DEP_4) | instskip(NEXT) | instid1(VALU_DEP_4)
	v_add_co_u32 v81, vcc_lo, v77, v60
	v_add_co_ci_u32_e32 v82, vcc_lo, 0, v78, vcc_lo
	v_add_co_u32 v77, vcc_lo, s18, v11
	v_add_co_ci_u32_e32 v78, vcc_lo, s19, v12, vcc_lo
	v_add_co_u32 v79, vcc_lo, s18, v13
	v_add_co_ci_u32_e32 v80, vcc_lo, s19, v14, vcc_lo
	s_delay_alu instid0(VALU_DEP_4) | instskip(NEXT) | instid1(VALU_DEP_4)
	v_add_co_u32 v85, vcc_lo, v77, v60
	v_add_co_ci_u32_e32 v86, vcc_lo, 0, v78, vcc_lo
	s_delay_alu instid0(VALU_DEP_4) | instskip(NEXT) | instid1(VALU_DEP_4)
	v_add_co_u32 v89, vcc_lo, v79, v60
	v_add_co_ci_u32_e32 v90, vcc_lo, 0, v80, vcc_lo
	;; [unrolled: 10-line block ×3, first 2 shown]
	s_clause 0x5
	global_load_b128 v[77:80], v[35:36], off
	global_load_b128 v[81:84], v[81:82], off
	;; [unrolled: 1-line block ×6, first 2 shown]
	s_waitcnt vmcnt(7)
	ds_store_b128 v40, v[69:72]
	s_waitcnt vmcnt(6)
	ds_store_b128 v42, v[73:76]
	;; [unrolled: 2-line block ×8, first 2 shown]
	s_waitcnt lgkmcnt(0)
	s_barrier
	buffer_gl0_inv
	ds_load_b128 v[77:80], v41
	ds_load_b128 v[81:84], v49
	ds_load_b128 v[85:88], v49 offset:256
	ds_load_b128 v[89:92], v41 offset:8704
	v_dual_mov_b32 v73, 0 :: v_dual_mov_b32 v74, 0
	ds_load_b128 v[93:96], v41 offset:17408
	ds_load_b128 v[97:100], v41 offset:26112
	s_waitcnt lgkmcnt(4)
	;;#ASMSTART
	v_dot2_f32_f16 v73, v77, v81, v73
	;;#ASMEND
	;;#ASMSTART
	v_dot2_f32_f16 v73, v78, v82, v73
	;;#ASMEND
	v_dual_mov_b32 v69, 0 :: v_dual_mov_b32 v70, 0
	;;#ASMSTART
	v_dot2_f32_f16 v73, v79, v83, v73
	;;#ASMEND
	;;#ASMSTART
	v_dot2_f32_f16 v73, v80, v84, v73
	;;#ASMEND
	s_waitcnt lgkmcnt(3)
	;;#ASMSTART
	v_dot2_f32_f16 v69, v77, v85, v69
	;;#ASMEND
	;;#ASMSTART
	v_dot2_f32_f16 v69, v78, v86, v69
	;;#ASMEND
	;; [unrolled: 3-line block ×4, first 2 shown]
	s_waitcnt lgkmcnt(2)
	;;#ASMSTART
	v_dot2_f32_f16 v74, v89, v81, v74
	;;#ASMEND
	;;#ASMSTART
	v_dot2_f32_f16 v74, v90, v82, v74
	;;#ASMEND
	;; [unrolled: 3-line block ×6, first 2 shown]
	v_dual_mov_b32 v75, 0 :: v_dual_mov_b32 v76, 0
	;;#ASMSTART
	v_dot2_f32_f16 v70, v91, v87, v70
	;;#ASMEND
	;;#ASMSTART
	v_dot2_f32_f16 v70, v92, v88, v70
	;;#ASMEND
	s_waitcnt lgkmcnt(1)
	;;#ASMSTART
	v_dot2_f32_f16 v75, v93, v81, v75
	;;#ASMEND
	;;#ASMSTART
	v_dot2_f32_f16 v75, v94, v82, v75
	;;#ASMEND
	v_dual_mov_b32 v71, 0 :: v_dual_mov_b32 v72, 0
	;;#ASMSTART
	v_dot2_f32_f16 v75, v95, v83, v75
	;;#ASMEND
	;;#ASMSTART
	v_dot2_f32_f16 v75, v96, v84, v75
	;;#ASMEND
	;; [unrolled: 3-line block ×6, first 2 shown]
	s_waitcnt lgkmcnt(0)
	;;#ASMSTART
	v_dot2_f32_f16 v76, v97, v81, v76
	;;#ASMEND
	;;#ASMSTART
	v_dot2_f32_f16 v76, v98, v82, v76
	;;#ASMEND
	;; [unrolled: 3-line block ×8, first 2 shown]
	ds_load_b128 v[77:80], v41 offset:16
	ds_load_b128 v[81:84], v49 offset:16
	;; [unrolled: 1-line block ×6, first 2 shown]
	s_waitcnt lgkmcnt(4)
	;;#ASMSTART
	v_dot2_f32_f16 v73, v77, v81, v73
	;;#ASMEND
	;;#ASMSTART
	v_dot2_f32_f16 v73, v78, v82, v73
	;;#ASMEND
	;;#ASMSTART
	v_dot2_f32_f16 v73, v79, v83, v73
	;;#ASMEND
	;;#ASMSTART
	v_dot2_f32_f16 v73, v80, v84, v73
	;;#ASMEND
	s_waitcnt lgkmcnt(3)
	;;#ASMSTART
	v_dot2_f32_f16 v69, v77, v85, v69
	;;#ASMEND
	;;#ASMSTART
	v_dot2_f32_f16 v69, v78, v86, v69
	;;#ASMEND
	;;#ASMSTART
	v_dot2_f32_f16 v69, v79, v87, v69
	;;#ASMEND
	;;#ASMSTART
	v_dot2_f32_f16 v69, v80, v88, v69
	;;#ASMEND
	;; [unrolled: 13-line block ×3, first 2 shown]
	;;#ASMSTART
	v_dot2_f32_f16 v70, v89, v85, v70
	;;#ASMEND
	;;#ASMSTART
	v_dot2_f32_f16 v70, v90, v86, v70
	;;#ASMEND
	;; [unrolled: 3-line block ×4, first 2 shown]
	s_waitcnt lgkmcnt(1)
	;;#ASMSTART
	v_dot2_f32_f16 v75, v93, v81, v75
	;;#ASMEND
	;;#ASMSTART
	v_dot2_f32_f16 v75, v94, v82, v75
	;;#ASMEND
	;;#ASMSTART
	v_dot2_f32_f16 v75, v95, v83, v75
	;;#ASMEND
	;;#ASMSTART
	v_dot2_f32_f16 v75, v96, v84, v75
	;;#ASMEND
	;;#ASMSTART
	v_dot2_f32_f16 v71, v93, v85, v71
	;;#ASMEND
	;;#ASMSTART
	v_dot2_f32_f16 v71, v94, v86, v71
	;;#ASMEND
	;;#ASMSTART
	v_dot2_f32_f16 v71, v95, v87, v71
	;;#ASMEND
	;;#ASMSTART
	v_dot2_f32_f16 v71, v96, v88, v71
	;;#ASMEND
	s_waitcnt lgkmcnt(0)
	;;#ASMSTART
	v_dot2_f32_f16 v76, v97, v81, v76
	;;#ASMEND
	;;#ASMSTART
	v_dot2_f32_f16 v76, v98, v82, v76
	;;#ASMEND
	;; [unrolled: 3-line block ×8, first 2 shown]
	ds_load_b128 v[77:80], v41 offset:32
	ds_load_b128 v[81:84], v49 offset:32
	;; [unrolled: 1-line block ×6, first 2 shown]
	s_waitcnt lgkmcnt(4)
	;;#ASMSTART
	v_dot2_f32_f16 v73, v77, v81, v73
	;;#ASMEND
	;;#ASMSTART
	v_dot2_f32_f16 v73, v78, v82, v73
	;;#ASMEND
	;;#ASMSTART
	v_dot2_f32_f16 v73, v79, v83, v73
	;;#ASMEND
	;;#ASMSTART
	v_dot2_f32_f16 v73, v80, v84, v73
	;;#ASMEND
	s_waitcnt lgkmcnt(3)
	;;#ASMSTART
	v_dot2_f32_f16 v69, v77, v85, v69
	;;#ASMEND
	;;#ASMSTART
	v_dot2_f32_f16 v69, v78, v86, v69
	;;#ASMEND
	;;#ASMSTART
	v_dot2_f32_f16 v69, v79, v87, v69
	;;#ASMEND
	;;#ASMSTART
	v_dot2_f32_f16 v69, v80, v88, v69
	;;#ASMEND
	;; [unrolled: 13-line block ×3, first 2 shown]
	;;#ASMSTART
	v_dot2_f32_f16 v70, v89, v85, v70
	;;#ASMEND
	;;#ASMSTART
	v_dot2_f32_f16 v70, v90, v86, v70
	;;#ASMEND
	;; [unrolled: 3-line block ×4, first 2 shown]
	s_waitcnt lgkmcnt(1)
	;;#ASMSTART
	v_dot2_f32_f16 v75, v93, v81, v75
	;;#ASMEND
	;;#ASMSTART
	v_dot2_f32_f16 v75, v94, v82, v75
	;;#ASMEND
	;; [unrolled: 3-line block ×8, first 2 shown]
	s_waitcnt lgkmcnt(0)
	;;#ASMSTART
	v_dot2_f32_f16 v76, v97, v81, v76
	;;#ASMEND
	;;#ASMSTART
	v_dot2_f32_f16 v76, v98, v82, v76
	;;#ASMEND
	;; [unrolled: 3-line block ×8, first 2 shown]
	ds_load_b128 v[77:80], v41 offset:48
	ds_load_b128 v[81:84], v49 offset:48
	;; [unrolled: 1-line block ×6, first 2 shown]
	s_waitcnt lgkmcnt(4)
	;;#ASMSTART
	v_dot2_f32_f16 v73, v77, v81, v73
	;;#ASMEND
	;;#ASMSTART
	v_dot2_f32_f16 v73, v78, v82, v73
	;;#ASMEND
	;;#ASMSTART
	v_dot2_f32_f16 v73, v79, v83, v73
	;;#ASMEND
	;;#ASMSTART
	v_dot2_f32_f16 v73, v80, v84, v73
	;;#ASMEND
	s_waitcnt lgkmcnt(3)
	;;#ASMSTART
	v_dot2_f32_f16 v69, v77, v85, v69
	;;#ASMEND
	;;#ASMSTART
	v_dot2_f32_f16 v69, v78, v86, v69
	;;#ASMEND
	;;#ASMSTART
	v_dot2_f32_f16 v69, v79, v87, v69
	;;#ASMEND
	;;#ASMSTART
	v_dot2_f32_f16 v69, v80, v88, v69
	;;#ASMEND
	;; [unrolled: 13-line block ×3, first 2 shown]
	;;#ASMSTART
	v_dot2_f32_f16 v70, v89, v85, v70
	;;#ASMEND
	;;#ASMSTART
	v_dot2_f32_f16 v70, v90, v86, v70
	;;#ASMEND
	;; [unrolled: 3-line block ×4, first 2 shown]
	s_waitcnt lgkmcnt(1)
	;;#ASMSTART
	v_dot2_f32_f16 v75, v93, v81, v75
	;;#ASMEND
	;;#ASMSTART
	v_dot2_f32_f16 v75, v94, v82, v75
	;;#ASMEND
	;; [unrolled: 3-line block ×8, first 2 shown]
	s_waitcnt lgkmcnt(0)
	;;#ASMSTART
	v_dot2_f32_f16 v76, v97, v81, v76
	;;#ASMEND
	;;#ASMSTART
	v_dot2_f32_f16 v76, v98, v82, v76
	;;#ASMEND
	;; [unrolled: 3-line block ×8, first 2 shown]
	ds_load_b128 v[77:80], v41 offset:64
	ds_load_b128 v[81:84], v49 offset:64
	;; [unrolled: 1-line block ×6, first 2 shown]
	s_waitcnt lgkmcnt(4)
	;;#ASMSTART
	v_dot2_f32_f16 v73, v77, v81, v73
	;;#ASMEND
	;;#ASMSTART
	v_dot2_f32_f16 v73, v78, v82, v73
	;;#ASMEND
	;;#ASMSTART
	v_dot2_f32_f16 v73, v79, v83, v73
	;;#ASMEND
	;;#ASMSTART
	v_dot2_f32_f16 v73, v80, v84, v73
	;;#ASMEND
	s_waitcnt lgkmcnt(3)
	;;#ASMSTART
	v_dot2_f32_f16 v69, v77, v85, v69
	;;#ASMEND
	;;#ASMSTART
	v_dot2_f32_f16 v69, v78, v86, v69
	;;#ASMEND
	;;#ASMSTART
	v_dot2_f32_f16 v69, v79, v87, v69
	;;#ASMEND
	;;#ASMSTART
	v_dot2_f32_f16 v69, v80, v88, v69
	;;#ASMEND
	;; [unrolled: 13-line block ×3, first 2 shown]
	;;#ASMSTART
	v_dot2_f32_f16 v70, v89, v85, v70
	;;#ASMEND
	;;#ASMSTART
	v_dot2_f32_f16 v70, v90, v86, v70
	;;#ASMEND
	;; [unrolled: 3-line block ×4, first 2 shown]
	s_waitcnt lgkmcnt(1)
	;;#ASMSTART
	v_dot2_f32_f16 v75, v93, v81, v75
	;;#ASMEND
	;;#ASMSTART
	v_dot2_f32_f16 v75, v94, v82, v75
	;;#ASMEND
	;; [unrolled: 3-line block ×8, first 2 shown]
	s_waitcnt lgkmcnt(0)
	;;#ASMSTART
	v_dot2_f32_f16 v76, v97, v81, v76
	;;#ASMEND
	;;#ASMSTART
	v_dot2_f32_f16 v76, v98, v82, v76
	;;#ASMEND
	;; [unrolled: 3-line block ×8, first 2 shown]
	ds_load_b128 v[77:80], v41 offset:80
	ds_load_b128 v[81:84], v49 offset:80
	;; [unrolled: 1-line block ×6, first 2 shown]
	s_waitcnt lgkmcnt(4)
	;;#ASMSTART
	v_dot2_f32_f16 v73, v77, v81, v73
	;;#ASMEND
	;;#ASMSTART
	v_dot2_f32_f16 v73, v78, v82, v73
	;;#ASMEND
	;;#ASMSTART
	v_dot2_f32_f16 v73, v79, v83, v73
	;;#ASMEND
	;;#ASMSTART
	v_dot2_f32_f16 v73, v80, v84, v73
	;;#ASMEND
	s_waitcnt lgkmcnt(3)
	;;#ASMSTART
	v_dot2_f32_f16 v69, v77, v85, v69
	;;#ASMEND
	;;#ASMSTART
	v_dot2_f32_f16 v69, v78, v86, v69
	;;#ASMEND
	;;#ASMSTART
	v_dot2_f32_f16 v69, v79, v87, v69
	;;#ASMEND
	;;#ASMSTART
	v_dot2_f32_f16 v69, v80, v88, v69
	;;#ASMEND
	;; [unrolled: 13-line block ×3, first 2 shown]
	;;#ASMSTART
	v_dot2_f32_f16 v70, v89, v85, v70
	;;#ASMEND
	;;#ASMSTART
	v_dot2_f32_f16 v70, v90, v86, v70
	;;#ASMEND
	;;#ASMSTART
	v_dot2_f32_f16 v70, v91, v87, v70
	;;#ASMEND
	;;#ASMSTART
	v_dot2_f32_f16 v70, v92, v88, v70
	;;#ASMEND
	s_waitcnt lgkmcnt(1)
	;;#ASMSTART
	v_dot2_f32_f16 v75, v93, v81, v75
	;;#ASMEND
	;;#ASMSTART
	v_dot2_f32_f16 v75, v94, v82, v75
	;;#ASMEND
	;; [unrolled: 3-line block ×8, first 2 shown]
	s_waitcnt lgkmcnt(0)
	;;#ASMSTART
	v_dot2_f32_f16 v76, v97, v81, v76
	;;#ASMEND
	;;#ASMSTART
	v_dot2_f32_f16 v76, v98, v82, v76
	;;#ASMEND
	;; [unrolled: 3-line block ×8, first 2 shown]
	ds_load_b128 v[77:80], v41 offset:96
	ds_load_b128 v[81:84], v49 offset:96
	ds_load_b128 v[85:88], v49 offset:352
	ds_load_b128 v[89:92], v41 offset:8800
	ds_load_b128 v[93:96], v41 offset:17504
	ds_load_b128 v[97:100], v41 offset:26208
	s_waitcnt lgkmcnt(4)
	;;#ASMSTART
	v_dot2_f32_f16 v73, v77, v81, v73
	;;#ASMEND
	;;#ASMSTART
	v_dot2_f32_f16 v73, v78, v82, v73
	;;#ASMEND
	;;#ASMSTART
	v_dot2_f32_f16 v73, v79, v83, v73
	;;#ASMEND
	;;#ASMSTART
	v_dot2_f32_f16 v73, v80, v84, v73
	;;#ASMEND
	s_waitcnt lgkmcnt(3)
	;;#ASMSTART
	v_dot2_f32_f16 v69, v77, v85, v69
	;;#ASMEND
	;;#ASMSTART
	v_dot2_f32_f16 v69, v78, v86, v69
	;;#ASMEND
	;;#ASMSTART
	v_dot2_f32_f16 v69, v79, v87, v69
	;;#ASMEND
	;;#ASMSTART
	v_dot2_f32_f16 v69, v80, v88, v69
	;;#ASMEND
	;; [unrolled: 13-line block ×3, first 2 shown]
	;;#ASMSTART
	v_dot2_f32_f16 v70, v89, v85, v70
	;;#ASMEND
	;;#ASMSTART
	v_dot2_f32_f16 v70, v90, v86, v70
	;;#ASMEND
	;; [unrolled: 3-line block ×4, first 2 shown]
	s_waitcnt lgkmcnt(1)
	;;#ASMSTART
	v_dot2_f32_f16 v75, v93, v81, v75
	;;#ASMEND
	;;#ASMSTART
	v_dot2_f32_f16 v75, v94, v82, v75
	;;#ASMEND
	;; [unrolled: 3-line block ×8, first 2 shown]
	s_waitcnt lgkmcnt(0)
	;;#ASMSTART
	v_dot2_f32_f16 v76, v97, v81, v76
	;;#ASMEND
	;;#ASMSTART
	v_dot2_f32_f16 v76, v98, v82, v76
	;;#ASMEND
	;; [unrolled: 3-line block ×8, first 2 shown]
	ds_load_b128 v[77:80], v41 offset:112
	ds_load_b128 v[81:84], v49 offset:112
	;; [unrolled: 1-line block ×6, first 2 shown]
	s_waitcnt lgkmcnt(4)
	;;#ASMSTART
	v_dot2_f32_f16 v73, v77, v81, v73
	;;#ASMEND
	;;#ASMSTART
	v_dot2_f32_f16 v73, v78, v82, v73
	;;#ASMEND
	;;#ASMSTART
	v_dot2_f32_f16 v73, v79, v83, v73
	;;#ASMEND
	;;#ASMSTART
	v_dot2_f32_f16 v73, v80, v84, v73
	;;#ASMEND
	s_waitcnt lgkmcnt(3)
	;;#ASMSTART
	v_dot2_f32_f16 v69, v77, v85, v69
	;;#ASMEND
	;;#ASMSTART
	v_dot2_f32_f16 v69, v78, v86, v69
	;;#ASMEND
	;;#ASMSTART
	v_dot2_f32_f16 v69, v79, v87, v69
	;;#ASMEND
	;;#ASMSTART
	v_dot2_f32_f16 v69, v80, v88, v69
	;;#ASMEND
	;; [unrolled: 13-line block ×3, first 2 shown]
	;;#ASMSTART
	v_dot2_f32_f16 v70, v89, v85, v70
	;;#ASMEND
	;;#ASMSTART
	v_dot2_f32_f16 v70, v90, v86, v70
	;;#ASMEND
	;; [unrolled: 3-line block ×4, first 2 shown]
	s_waitcnt lgkmcnt(1)
	;;#ASMSTART
	v_dot2_f32_f16 v75, v93, v81, v75
	;;#ASMEND
	;;#ASMSTART
	v_dot2_f32_f16 v75, v94, v82, v75
	;;#ASMEND
	;; [unrolled: 3-line block ×8, first 2 shown]
	s_waitcnt lgkmcnt(0)
	;;#ASMSTART
	v_dot2_f32_f16 v76, v97, v81, v76
	;;#ASMEND
	;;#ASMSTART
	v_dot2_f32_f16 v76, v98, v82, v76
	;;#ASMEND
	;; [unrolled: 3-line block ×8, first 2 shown]
	ds_load_b128 v[77:80], v41 offset:128
	ds_load_b128 v[81:84], v49 offset:128
	;; [unrolled: 1-line block ×6, first 2 shown]
	s_waitcnt lgkmcnt(4)
	;;#ASMSTART
	v_dot2_f32_f16 v73, v77, v81, v73
	;;#ASMEND
	;;#ASMSTART
	v_dot2_f32_f16 v73, v78, v82, v73
	;;#ASMEND
	;;#ASMSTART
	v_dot2_f32_f16 v73, v79, v83, v73
	;;#ASMEND
	;;#ASMSTART
	v_dot2_f32_f16 v73, v80, v84, v73
	;;#ASMEND
	s_waitcnt lgkmcnt(3)
	;;#ASMSTART
	v_dot2_f32_f16 v69, v77, v85, v69
	;;#ASMEND
	;;#ASMSTART
	v_dot2_f32_f16 v69, v78, v86, v69
	;;#ASMEND
	;;#ASMSTART
	v_dot2_f32_f16 v69, v79, v87, v69
	;;#ASMEND
	;;#ASMSTART
	v_dot2_f32_f16 v69, v80, v88, v69
	;;#ASMEND
	;; [unrolled: 13-line block ×3, first 2 shown]
	;;#ASMSTART
	v_dot2_f32_f16 v70, v89, v85, v70
	;;#ASMEND
	;;#ASMSTART
	v_dot2_f32_f16 v70, v90, v86, v70
	;;#ASMEND
	;; [unrolled: 3-line block ×4, first 2 shown]
	s_waitcnt lgkmcnt(1)
	;;#ASMSTART
	v_dot2_f32_f16 v75, v93, v81, v75
	;;#ASMEND
	;;#ASMSTART
	v_dot2_f32_f16 v75, v94, v82, v75
	;;#ASMEND
	;; [unrolled: 3-line block ×8, first 2 shown]
	s_waitcnt lgkmcnt(0)
	;;#ASMSTART
	v_dot2_f32_f16 v76, v97, v81, v76
	;;#ASMEND
	;;#ASMSTART
	v_dot2_f32_f16 v76, v98, v82, v76
	;;#ASMEND
	;;#ASMSTART
	v_dot2_f32_f16 v76, v99, v83, v76
	;;#ASMEND
	;;#ASMSTART
	v_dot2_f32_f16 v76, v100, v84, v76
	;;#ASMEND
	;;#ASMSTART
	v_dot2_f32_f16 v72, v97, v85, v72
	;;#ASMEND
	;;#ASMSTART
	v_dot2_f32_f16 v72, v98, v86, v72
	;;#ASMEND
	;;#ASMSTART
	v_dot2_f32_f16 v72, v99, v87, v72
	;;#ASMEND
	;;#ASMSTART
	v_dot2_f32_f16 v72, v100, v88, v72
	;;#ASMEND
	ds_load_b128 v[77:80], v41 offset:144
	ds_load_b128 v[81:84], v49 offset:144
	;; [unrolled: 1-line block ×6, first 2 shown]
	s_waitcnt lgkmcnt(4)
	;;#ASMSTART
	v_dot2_f32_f16 v73, v77, v81, v73
	;;#ASMEND
	;;#ASMSTART
	v_dot2_f32_f16 v73, v78, v82, v73
	;;#ASMEND
	;;#ASMSTART
	v_dot2_f32_f16 v73, v79, v83, v73
	;;#ASMEND
	;;#ASMSTART
	v_dot2_f32_f16 v73, v80, v84, v73
	;;#ASMEND
	s_waitcnt lgkmcnt(3)
	;;#ASMSTART
	v_dot2_f32_f16 v69, v77, v85, v69
	;;#ASMEND
	;;#ASMSTART
	v_dot2_f32_f16 v69, v78, v86, v69
	;;#ASMEND
	;;#ASMSTART
	v_dot2_f32_f16 v69, v79, v87, v69
	;;#ASMEND
	;;#ASMSTART
	v_dot2_f32_f16 v69, v80, v88, v69
	;;#ASMEND
	;; [unrolled: 13-line block ×3, first 2 shown]
	;;#ASMSTART
	v_dot2_f32_f16 v70, v89, v85, v70
	;;#ASMEND
	;;#ASMSTART
	v_dot2_f32_f16 v70, v90, v86, v70
	;;#ASMEND
	;; [unrolled: 3-line block ×4, first 2 shown]
	s_waitcnt lgkmcnt(1)
	;;#ASMSTART
	v_dot2_f32_f16 v75, v93, v81, v75
	;;#ASMEND
	;;#ASMSTART
	v_dot2_f32_f16 v75, v94, v82, v75
	;;#ASMEND
	;;#ASMSTART
	v_dot2_f32_f16 v75, v95, v83, v75
	;;#ASMEND
	;;#ASMSTART
	v_dot2_f32_f16 v75, v96, v84, v75
	;;#ASMEND
	;;#ASMSTART
	v_dot2_f32_f16 v71, v93, v85, v71
	;;#ASMEND
	;;#ASMSTART
	v_dot2_f32_f16 v71, v94, v86, v71
	;;#ASMEND
	;;#ASMSTART
	v_dot2_f32_f16 v71, v95, v87, v71
	;;#ASMEND
	;;#ASMSTART
	v_dot2_f32_f16 v71, v96, v88, v71
	;;#ASMEND
	s_waitcnt lgkmcnt(0)
	;;#ASMSTART
	v_dot2_f32_f16 v76, v97, v81, v76
	;;#ASMEND
	;;#ASMSTART
	v_dot2_f32_f16 v76, v98, v82, v76
	;;#ASMEND
	;;#ASMSTART
	v_dot2_f32_f16 v76, v99, v83, v76
	;;#ASMEND
	;;#ASMSTART
	v_dot2_f32_f16 v76, v100, v84, v76
	;;#ASMEND
	;;#ASMSTART
	v_dot2_f32_f16 v72, v97, v85, v72
	;;#ASMEND
	;;#ASMSTART
	v_dot2_f32_f16 v72, v98, v86, v72
	;;#ASMEND
	;;#ASMSTART
	v_dot2_f32_f16 v72, v99, v87, v72
	;;#ASMEND
	;;#ASMSTART
	v_dot2_f32_f16 v72, v100, v88, v72
	;;#ASMEND
	ds_load_b128 v[77:80], v41 offset:160
	ds_load_b128 v[81:84], v49 offset:160
	;; [unrolled: 1-line block ×6, first 2 shown]
	s_waitcnt lgkmcnt(4)
	;;#ASMSTART
	v_dot2_f32_f16 v73, v77, v81, v73
	;;#ASMEND
	;;#ASMSTART
	v_dot2_f32_f16 v73, v78, v82, v73
	;;#ASMEND
	;;#ASMSTART
	v_dot2_f32_f16 v73, v79, v83, v73
	;;#ASMEND
	;;#ASMSTART
	v_dot2_f32_f16 v73, v80, v84, v73
	;;#ASMEND
	s_waitcnt lgkmcnt(3)
	;;#ASMSTART
	v_dot2_f32_f16 v69, v77, v85, v69
	;;#ASMEND
	;;#ASMSTART
	v_dot2_f32_f16 v69, v78, v86, v69
	;;#ASMEND
	;;#ASMSTART
	v_dot2_f32_f16 v69, v79, v87, v69
	;;#ASMEND
	;;#ASMSTART
	v_dot2_f32_f16 v69, v80, v88, v69
	;;#ASMEND
	;; [unrolled: 13-line block ×3, first 2 shown]
	;;#ASMSTART
	v_dot2_f32_f16 v70, v89, v85, v70
	;;#ASMEND
	;;#ASMSTART
	v_dot2_f32_f16 v70, v90, v86, v70
	;;#ASMEND
	;; [unrolled: 3-line block ×4, first 2 shown]
	s_waitcnt lgkmcnt(1)
	;;#ASMSTART
	v_dot2_f32_f16 v75, v93, v81, v75
	;;#ASMEND
	;;#ASMSTART
	v_dot2_f32_f16 v75, v94, v82, v75
	;;#ASMEND
	;; [unrolled: 3-line block ×8, first 2 shown]
	s_waitcnt lgkmcnt(0)
	;;#ASMSTART
	v_dot2_f32_f16 v76, v97, v81, v76
	;;#ASMEND
	;;#ASMSTART
	v_dot2_f32_f16 v76, v98, v82, v76
	;;#ASMEND
	;; [unrolled: 3-line block ×8, first 2 shown]
	ds_load_b128 v[77:80], v41 offset:176
	ds_load_b128 v[81:84], v49 offset:176
	;; [unrolled: 1-line block ×6, first 2 shown]
	s_waitcnt lgkmcnt(4)
	;;#ASMSTART
	v_dot2_f32_f16 v73, v77, v81, v73
	;;#ASMEND
	;;#ASMSTART
	v_dot2_f32_f16 v73, v78, v82, v73
	;;#ASMEND
	;;#ASMSTART
	v_dot2_f32_f16 v73, v79, v83, v73
	;;#ASMEND
	;;#ASMSTART
	v_dot2_f32_f16 v73, v80, v84, v73
	;;#ASMEND
	s_waitcnt lgkmcnt(3)
	;;#ASMSTART
	v_dot2_f32_f16 v69, v77, v85, v69
	;;#ASMEND
	;;#ASMSTART
	v_dot2_f32_f16 v69, v78, v86, v69
	;;#ASMEND
	;;#ASMSTART
	v_dot2_f32_f16 v69, v79, v87, v69
	;;#ASMEND
	;;#ASMSTART
	v_dot2_f32_f16 v69, v80, v88, v69
	;;#ASMEND
	;; [unrolled: 13-line block ×3, first 2 shown]
	;;#ASMSTART
	v_dot2_f32_f16 v70, v89, v85, v70
	;;#ASMEND
	;;#ASMSTART
	v_dot2_f32_f16 v70, v90, v86, v70
	;;#ASMEND
	;; [unrolled: 3-line block ×4, first 2 shown]
	s_waitcnt lgkmcnt(1)
	;;#ASMSTART
	v_dot2_f32_f16 v75, v93, v81, v75
	;;#ASMEND
	;;#ASMSTART
	v_dot2_f32_f16 v75, v94, v82, v75
	;;#ASMEND
	;; [unrolled: 3-line block ×8, first 2 shown]
	s_waitcnt lgkmcnt(0)
	;;#ASMSTART
	v_dot2_f32_f16 v76, v97, v81, v76
	;;#ASMEND
	;;#ASMSTART
	v_dot2_f32_f16 v76, v98, v82, v76
	;;#ASMEND
	;; [unrolled: 3-line block ×8, first 2 shown]
	ds_load_b128 v[77:80], v41 offset:192
	ds_load_b128 v[81:84], v49 offset:192
	;; [unrolled: 1-line block ×6, first 2 shown]
	s_waitcnt lgkmcnt(4)
	;;#ASMSTART
	v_dot2_f32_f16 v73, v77, v81, v73
	;;#ASMEND
	;;#ASMSTART
	v_dot2_f32_f16 v73, v78, v82, v73
	;;#ASMEND
	;;#ASMSTART
	v_dot2_f32_f16 v73, v79, v83, v73
	;;#ASMEND
	;;#ASMSTART
	v_dot2_f32_f16 v73, v80, v84, v73
	;;#ASMEND
	s_waitcnt lgkmcnt(3)
	;;#ASMSTART
	v_dot2_f32_f16 v69, v77, v85, v69
	;;#ASMEND
	;;#ASMSTART
	v_dot2_f32_f16 v69, v78, v86, v69
	;;#ASMEND
	;;#ASMSTART
	v_dot2_f32_f16 v69, v79, v87, v69
	;;#ASMEND
	;;#ASMSTART
	v_dot2_f32_f16 v69, v80, v88, v69
	;;#ASMEND
	;; [unrolled: 13-line block ×3, first 2 shown]
	;;#ASMSTART
	v_dot2_f32_f16 v70, v89, v85, v70
	;;#ASMEND
	;;#ASMSTART
	v_dot2_f32_f16 v70, v90, v86, v70
	;;#ASMEND
	;; [unrolled: 3-line block ×4, first 2 shown]
	s_waitcnt lgkmcnt(1)
	;;#ASMSTART
	v_dot2_f32_f16 v75, v93, v81, v75
	;;#ASMEND
	;;#ASMSTART
	v_dot2_f32_f16 v75, v94, v82, v75
	;;#ASMEND
	;; [unrolled: 3-line block ×8, first 2 shown]
	s_waitcnt lgkmcnt(0)
	;;#ASMSTART
	v_dot2_f32_f16 v76, v97, v81, v76
	;;#ASMEND
	;;#ASMSTART
	v_dot2_f32_f16 v76, v98, v82, v76
	;;#ASMEND
	;;#ASMSTART
	v_dot2_f32_f16 v76, v99, v83, v76
	;;#ASMEND
	;;#ASMSTART
	v_dot2_f32_f16 v76, v100, v84, v76
	;;#ASMEND
	;;#ASMSTART
	v_dot2_f32_f16 v72, v97, v85, v72
	;;#ASMEND
	;;#ASMSTART
	v_dot2_f32_f16 v72, v98, v86, v72
	;;#ASMEND
	;;#ASMSTART
	v_dot2_f32_f16 v72, v99, v87, v72
	;;#ASMEND
	;;#ASMSTART
	v_dot2_f32_f16 v72, v100, v88, v72
	;;#ASMEND
	ds_load_b128 v[77:80], v41 offset:208
	ds_load_b128 v[81:84], v49 offset:208
	;; [unrolled: 1-line block ×6, first 2 shown]
	s_waitcnt lgkmcnt(4)
	;;#ASMSTART
	v_dot2_f32_f16 v73, v77, v81, v73
	;;#ASMEND
	;;#ASMSTART
	v_dot2_f32_f16 v73, v78, v82, v73
	;;#ASMEND
	;;#ASMSTART
	v_dot2_f32_f16 v73, v79, v83, v73
	;;#ASMEND
	;;#ASMSTART
	v_dot2_f32_f16 v73, v80, v84, v73
	;;#ASMEND
	s_waitcnt lgkmcnt(3)
	;;#ASMSTART
	v_dot2_f32_f16 v69, v77, v85, v69
	;;#ASMEND
	;;#ASMSTART
	v_dot2_f32_f16 v69, v78, v86, v69
	;;#ASMEND
	;;#ASMSTART
	v_dot2_f32_f16 v69, v79, v87, v69
	;;#ASMEND
	;;#ASMSTART
	v_dot2_f32_f16 v69, v80, v88, v69
	;;#ASMEND
	;; [unrolled: 13-line block ×3, first 2 shown]
	;;#ASMSTART
	v_dot2_f32_f16 v70, v89, v85, v70
	;;#ASMEND
	;;#ASMSTART
	v_dot2_f32_f16 v70, v90, v86, v70
	;;#ASMEND
	;; [unrolled: 3-line block ×4, first 2 shown]
	s_waitcnt lgkmcnt(1)
	;;#ASMSTART
	v_dot2_f32_f16 v75, v93, v81, v75
	;;#ASMEND
	;;#ASMSTART
	v_dot2_f32_f16 v75, v94, v82, v75
	;;#ASMEND
	;; [unrolled: 3-line block ×8, first 2 shown]
	s_waitcnt lgkmcnt(0)
	;;#ASMSTART
	v_dot2_f32_f16 v76, v97, v81, v76
	;;#ASMEND
	;;#ASMSTART
	v_dot2_f32_f16 v76, v98, v82, v76
	;;#ASMEND
	;; [unrolled: 3-line block ×8, first 2 shown]
	ds_load_b128 v[77:80], v41 offset:224
	ds_load_b128 v[81:84], v49 offset:224
	;; [unrolled: 1-line block ×6, first 2 shown]
	s_waitcnt lgkmcnt(4)
	;;#ASMSTART
	v_dot2_f32_f16 v73, v77, v81, v73
	;;#ASMEND
	;;#ASMSTART
	v_dot2_f32_f16 v73, v78, v82, v73
	;;#ASMEND
	;;#ASMSTART
	v_dot2_f32_f16 v73, v79, v83, v73
	;;#ASMEND
	;;#ASMSTART
	v_dot2_f32_f16 v73, v80, v84, v73
	;;#ASMEND
	s_waitcnt lgkmcnt(3)
	;;#ASMSTART
	v_dot2_f32_f16 v69, v77, v85, v69
	;;#ASMEND
	;;#ASMSTART
	v_dot2_f32_f16 v69, v78, v86, v69
	;;#ASMEND
	;;#ASMSTART
	v_dot2_f32_f16 v69, v79, v87, v69
	;;#ASMEND
	;;#ASMSTART
	v_dot2_f32_f16 v69, v80, v88, v69
	;;#ASMEND
	;; [unrolled: 13-line block ×3, first 2 shown]
	;;#ASMSTART
	v_dot2_f32_f16 v70, v89, v85, v70
	;;#ASMEND
	;;#ASMSTART
	v_dot2_f32_f16 v70, v90, v86, v70
	;;#ASMEND
	;; [unrolled: 3-line block ×4, first 2 shown]
	s_waitcnt lgkmcnt(1)
	;;#ASMSTART
	v_dot2_f32_f16 v75, v93, v81, v75
	;;#ASMEND
	;;#ASMSTART
	v_dot2_f32_f16 v75, v94, v82, v75
	;;#ASMEND
	;; [unrolled: 3-line block ×8, first 2 shown]
	s_waitcnt lgkmcnt(0)
	;;#ASMSTART
	v_dot2_f32_f16 v76, v97, v81, v76
	;;#ASMEND
	;;#ASMSTART
	v_dot2_f32_f16 v76, v98, v82, v76
	;;#ASMEND
	;; [unrolled: 3-line block ×8, first 2 shown]
	ds_load_b128 v[77:80], v41 offset:240
	ds_load_b128 v[81:84], v49 offset:240
	;; [unrolled: 1-line block ×6, first 2 shown]
	s_waitcnt lgkmcnt(4)
	;;#ASMSTART
	v_dot2_f32_f16 v73, v77, v81, v73
	;;#ASMEND
	;;#ASMSTART
	v_dot2_f32_f16 v73, v78, v82, v73
	;;#ASMEND
	;;#ASMSTART
	v_dot2_f32_f16 v73, v79, v83, v73
	;;#ASMEND
	;;#ASMSTART
	v_dot2_f32_f16 v73, v80, v84, v73
	;;#ASMEND
	s_waitcnt lgkmcnt(3)
	;;#ASMSTART
	v_dot2_f32_f16 v69, v77, v85, v69
	;;#ASMEND
	;;#ASMSTART
	v_dot2_f32_f16 v69, v78, v86, v69
	;;#ASMEND
	;;#ASMSTART
	v_dot2_f32_f16 v69, v79, v87, v69
	;;#ASMEND
	;;#ASMSTART
	v_dot2_f32_f16 v69, v80, v88, v69
	;;#ASMEND
	;; [unrolled: 13-line block ×3, first 2 shown]
	;;#ASMSTART
	v_dot2_f32_f16 v70, v89, v85, v70
	;;#ASMEND
	;;#ASMSTART
	v_dot2_f32_f16 v70, v90, v86, v70
	;;#ASMEND
	;; [unrolled: 3-line block ×4, first 2 shown]
	s_waitcnt lgkmcnt(1)
	;;#ASMSTART
	v_dot2_f32_f16 v75, v93, v81, v75
	;;#ASMEND
	;;#ASMSTART
	v_dot2_f32_f16 v75, v94, v82, v75
	;;#ASMEND
	;; [unrolled: 3-line block ×8, first 2 shown]
	s_waitcnt lgkmcnt(0)
	;;#ASMSTART
	v_dot2_f32_f16 v76, v97, v81, v76
	;;#ASMEND
	v_cmp_ngt_f32_e64 s18, 0x3f200000, |v73|
	;;#ASMSTART
	v_dot2_f32_f16 v76, v98, v82, v76
	;;#ASMEND
	;;#ASMSTART
	v_dot2_f32_f16 v76, v99, v83, v76
	;;#ASMEND
	;; [unrolled: 3-line block ×7, first 2 shown]
                                        ; implicit-def: $vgpr77
	s_and_saveexec_b32 s19, s18
	s_delay_alu instid0(SALU_CYCLE_1)
	s_xor_b32 s18, exec_lo, s19
	s_cbranch_execz .LBB82_11
; %bb.10:                               ;   in Loop: Header=BB82_9 Depth=1
	v_add_f32_e64 v35, |v73|, |v73|
	s_delay_alu instid0(VALU_DEP_1) | instskip(SKIP_1) | instid1(VALU_DEP_2)
	v_mul_f32_e32 v36, 0x3fb8aa3b, v35
	v_cmp_ngt_f32_e32 vcc_lo, 0xc2ce8ed0, v35
	v_rndne_f32_e32 v77, v36
	v_fma_f32 v78, 0x3fb8aa3b, v35, -v36
	s_delay_alu instid0(VALU_DEP_2) | instskip(NEXT) | instid1(VALU_DEP_2)
	v_sub_f32_e32 v36, v36, v77
	v_fmac_f32_e32 v78, 0x32a5705f, v35
	v_cvt_i32_f32_e32 v77, v77
	s_delay_alu instid0(VALU_DEP_2) | instskip(NEXT) | instid1(VALU_DEP_1)
	v_add_f32_e32 v36, v36, v78
	v_exp_f32_e32 v36, v36
	s_waitcnt_depctr 0xfff
	v_ldexp_f32 v36, v36, v77
	s_delay_alu instid0(VALU_DEP_1) | instskip(SKIP_1) | instid1(VALU_DEP_2)
	v_cndmask_b32_e32 v36, 0, v36, vcc_lo
	v_cmp_nlt_f32_e32 vcc_lo, 0x42b17218, v35
	v_cndmask_b32_e32 v35, 0x7f800000, v36, vcc_lo
	s_delay_alu instid0(VALU_DEP_1) | instskip(NEXT) | instid1(VALU_DEP_1)
	v_add_f32_e32 v35, 1.0, v35
	v_rcp_f32_e32 v35, v35
	s_waitcnt_depctr 0xfff
	v_fma_f32 v77, v35, -2.0, 1.0
.LBB82_11:                              ;   in Loop: Header=BB82_9 Depth=1
	s_and_not1_saveexec_b32 s18, s18
; %bb.12:                               ;   in Loop: Header=BB82_9 Depth=1
	v_mul_f32_e32 v35, v73, v73
	s_delay_alu instid0(VALU_DEP_1) | instskip(NEXT) | instid1(VALU_DEP_1)
	v_fmaak_f32 v36, s17, v35, 0x3ca908c9
	v_fmaak_f32 v36, v35, v36, 0xbd5c1c4e
	s_delay_alu instid0(VALU_DEP_1) | instskip(NEXT) | instid1(VALU_DEP_1)
	v_fmaak_f32 v36, v35, v36, 0x3e088382
	v_fmaak_f32 v36, v35, v36, 0xbeaaaa99
	s_delay_alu instid0(VALU_DEP_1) | instskip(NEXT) | instid1(VALU_DEP_1)
	v_mul_f32_e64 v36, |v73|, v36
	v_fma_f32 v77, v35, v36, |v73|
; %bb.13:                               ;   in Loop: Header=BB82_9 Depth=1
	s_or_b32 exec_lo, exec_lo, s18
	v_add_nc_u32_e32 v35, s3, v2
	v_cmp_ngt_f32_e64 s18, 0x3f200000, |v74|
                                        ; implicit-def: $vgpr81
	s_delay_alu instid0(VALU_DEP_2) | instskip(NEXT) | instid1(VALU_DEP_1)
	v_ashrrev_i32_e32 v36, 31, v35
	v_lshlrev_b64 v[35:36], 1, v[35:36]
	s_delay_alu instid0(VALU_DEP_1) | instskip(NEXT) | instid1(VALU_DEP_2)
	v_add_co_u32 v35, vcc_lo, s36, v35
	v_add_co_ci_u32_e32 v36, vcc_lo, s37, v36, vcc_lo
	flat_load_u16 v78, v[35:36]
	s_and_saveexec_b32 s19, s18
	s_delay_alu instid0(SALU_CYCLE_1)
	s_xor_b32 s18, exec_lo, s19
	s_cbranch_execz .LBB82_15
; %bb.14:                               ;   in Loop: Header=BB82_9 Depth=1
	v_add_f32_e64 v79, |v74|, |v74|
	s_delay_alu instid0(VALU_DEP_1) | instskip(SKIP_1) | instid1(VALU_DEP_2)
	v_mul_f32_e32 v80, 0x3fb8aa3b, v79
	v_cmp_ngt_f32_e32 vcc_lo, 0xc2ce8ed0, v79
	v_rndne_f32_e32 v81, v80
	v_fma_f32 v82, 0x3fb8aa3b, v79, -v80
	s_delay_alu instid0(VALU_DEP_2) | instskip(NEXT) | instid1(VALU_DEP_2)
	v_sub_f32_e32 v80, v80, v81
	v_fmac_f32_e32 v82, 0x32a5705f, v79
	v_cvt_i32_f32_e32 v81, v81
	s_delay_alu instid0(VALU_DEP_2) | instskip(NEXT) | instid1(VALU_DEP_1)
	v_add_f32_e32 v80, v80, v82
	v_exp_f32_e32 v80, v80
	s_waitcnt_depctr 0xfff
	v_ldexp_f32 v80, v80, v81
	s_delay_alu instid0(VALU_DEP_1) | instskip(SKIP_1) | instid1(VALU_DEP_2)
	v_cndmask_b32_e32 v80, 0, v80, vcc_lo
	v_cmp_nlt_f32_e32 vcc_lo, 0x42b17218, v79
	v_cndmask_b32_e32 v79, 0x7f800000, v80, vcc_lo
	s_delay_alu instid0(VALU_DEP_1) | instskip(NEXT) | instid1(VALU_DEP_1)
	v_add_f32_e32 v79, 1.0, v79
	v_rcp_f32_e32 v79, v79
	s_waitcnt_depctr 0xfff
	v_fma_f32 v81, v79, -2.0, 1.0
.LBB82_15:                              ;   in Loop: Header=BB82_9 Depth=1
	s_and_not1_saveexec_b32 s18, s18
; %bb.16:                               ;   in Loop: Header=BB82_9 Depth=1
	v_mul_f32_e32 v79, v74, v74
	s_delay_alu instid0(VALU_DEP_1) | instskip(NEXT) | instid1(VALU_DEP_1)
	v_fmaak_f32 v80, s17, v79, 0x3ca908c9
	v_fmaak_f32 v80, v79, v80, 0xbd5c1c4e
	s_delay_alu instid0(VALU_DEP_1) | instskip(NEXT) | instid1(VALU_DEP_1)
	v_fmaak_f32 v80, v79, v80, 0x3e088382
	v_fmaak_f32 v80, v79, v80, 0xbeaaaa99
	s_delay_alu instid0(VALU_DEP_1) | instskip(NEXT) | instid1(VALU_DEP_1)
	v_mul_f32_e64 v80, |v74|, v80
	v_fma_f32 v81, v79, v80, |v74|
; %bb.17:                               ;   in Loop: Header=BB82_9 Depth=1
	s_or_b32 exec_lo, exec_lo, s18
	flat_load_u16 v79, v[35:36] offset:64
	v_cmp_ngt_f32_e64 s18, 0x3f200000, |v75|
                                        ; implicit-def: $vgpr83
	s_delay_alu instid0(VALU_DEP_1) | instskip(NEXT) | instid1(SALU_CYCLE_1)
	s_and_saveexec_b32 s19, s18
	s_xor_b32 s18, exec_lo, s19
	s_cbranch_execz .LBB82_19
; %bb.18:                               ;   in Loop: Header=BB82_9 Depth=1
	v_add_f32_e64 v80, |v75|, |v75|
	s_delay_alu instid0(VALU_DEP_1) | instskip(SKIP_1) | instid1(VALU_DEP_2)
	v_mul_f32_e32 v82, 0x3fb8aa3b, v80
	v_cmp_ngt_f32_e32 vcc_lo, 0xc2ce8ed0, v80
	v_rndne_f32_e32 v83, v82
	v_fma_f32 v84, 0x3fb8aa3b, v80, -v82
	s_delay_alu instid0(VALU_DEP_2) | instskip(NEXT) | instid1(VALU_DEP_2)
	v_sub_f32_e32 v82, v82, v83
	v_fmac_f32_e32 v84, 0x32a5705f, v80
	v_cvt_i32_f32_e32 v83, v83
	s_delay_alu instid0(VALU_DEP_2) | instskip(NEXT) | instid1(VALU_DEP_1)
	v_add_f32_e32 v82, v82, v84
	v_exp_f32_e32 v82, v82
	s_waitcnt_depctr 0xfff
	v_ldexp_f32 v82, v82, v83
	s_delay_alu instid0(VALU_DEP_1) | instskip(SKIP_1) | instid1(VALU_DEP_2)
	v_cndmask_b32_e32 v82, 0, v82, vcc_lo
	v_cmp_nlt_f32_e32 vcc_lo, 0x42b17218, v80
	v_cndmask_b32_e32 v80, 0x7f800000, v82, vcc_lo
	s_delay_alu instid0(VALU_DEP_1) | instskip(NEXT) | instid1(VALU_DEP_1)
	v_add_f32_e32 v80, 1.0, v80
	v_rcp_f32_e32 v80, v80
	s_waitcnt_depctr 0xfff
	v_fma_f32 v83, v80, -2.0, 1.0
.LBB82_19:                              ;   in Loop: Header=BB82_9 Depth=1
	s_and_not1_saveexec_b32 s18, s18
; %bb.20:                               ;   in Loop: Header=BB82_9 Depth=1
	v_mul_f32_e32 v80, v75, v75
	s_delay_alu instid0(VALU_DEP_1) | instskip(NEXT) | instid1(VALU_DEP_1)
	v_fmaak_f32 v82, s17, v80, 0x3ca908c9
	v_fmaak_f32 v82, v80, v82, 0xbd5c1c4e
	s_delay_alu instid0(VALU_DEP_1) | instskip(NEXT) | instid1(VALU_DEP_1)
	v_fmaak_f32 v82, v80, v82, 0x3e088382
	v_fmaak_f32 v82, v80, v82, 0xbeaaaa99
	s_delay_alu instid0(VALU_DEP_1) | instskip(NEXT) | instid1(VALU_DEP_1)
	v_mul_f32_e64 v82, |v75|, v82
	v_fma_f32 v83, v80, v82, |v75|
; %bb.21:                               ;   in Loop: Header=BB82_9 Depth=1
	s_or_b32 exec_lo, exec_lo, s18
	flat_load_u16 v80, v[35:36] offset:128
	v_cmp_ngt_f32_e64 s18, 0x3f200000, |v76|
                                        ; implicit-def: $vgpr84
	s_delay_alu instid0(VALU_DEP_1) | instskip(NEXT) | instid1(SALU_CYCLE_1)
	s_and_saveexec_b32 s19, s18
	s_xor_b32 s18, exec_lo, s19
	s_cbranch_execz .LBB82_23
; %bb.22:                               ;   in Loop: Header=BB82_9 Depth=1
	v_add_f32_e64 v82, |v76|, |v76|
	s_delay_alu instid0(VALU_DEP_1) | instskip(SKIP_1) | instid1(VALU_DEP_2)
	v_mul_f32_e32 v84, 0x3fb8aa3b, v82
	v_cmp_ngt_f32_e32 vcc_lo, 0xc2ce8ed0, v82
	v_rndne_f32_e32 v85, v84
	v_fma_f32 v86, 0x3fb8aa3b, v82, -v84
	s_delay_alu instid0(VALU_DEP_2) | instskip(NEXT) | instid1(VALU_DEP_2)
	v_sub_f32_e32 v84, v84, v85
	v_fmac_f32_e32 v86, 0x32a5705f, v82
	v_cvt_i32_f32_e32 v85, v85
	s_delay_alu instid0(VALU_DEP_2) | instskip(NEXT) | instid1(VALU_DEP_1)
	v_add_f32_e32 v84, v84, v86
	v_exp_f32_e32 v84, v84
	s_waitcnt_depctr 0xfff
	v_ldexp_f32 v84, v84, v85
	s_delay_alu instid0(VALU_DEP_1) | instskip(SKIP_1) | instid1(VALU_DEP_2)
	v_cndmask_b32_e32 v84, 0, v84, vcc_lo
	v_cmp_nlt_f32_e32 vcc_lo, 0x42b17218, v82
	v_cndmask_b32_e32 v82, 0x7f800000, v84, vcc_lo
	s_delay_alu instid0(VALU_DEP_1) | instskip(NEXT) | instid1(VALU_DEP_1)
	v_add_f32_e32 v82, 1.0, v82
	v_rcp_f32_e32 v82, v82
	s_waitcnt_depctr 0xfff
	v_fma_f32 v84, v82, -2.0, 1.0
.LBB82_23:                              ;   in Loop: Header=BB82_9 Depth=1
	s_and_not1_saveexec_b32 s18, s18
; %bb.24:                               ;   in Loop: Header=BB82_9 Depth=1
	v_mul_f32_e32 v82, v76, v76
	s_delay_alu instid0(VALU_DEP_1) | instskip(NEXT) | instid1(VALU_DEP_1)
	v_fmaak_f32 v84, s17, v82, 0x3ca908c9
	v_fmaak_f32 v84, v82, v84, 0xbd5c1c4e
	s_delay_alu instid0(VALU_DEP_1) | instskip(NEXT) | instid1(VALU_DEP_1)
	v_fmaak_f32 v84, v82, v84, 0x3e088382
	v_fmaak_f32 v84, v82, v84, 0xbeaaaa99
	s_delay_alu instid0(VALU_DEP_1) | instskip(NEXT) | instid1(VALU_DEP_1)
	v_mul_f32_e64 v84, |v76|, v84
	v_fma_f32 v84, v82, v84, |v76|
; %bb.25:                               ;   in Loop: Header=BB82_9 Depth=1
	s_or_b32 exec_lo, exec_lo, s18
	flat_load_u16 v35, v[35:36] offset:192
	v_bfi_b32 v36, 0x7fffffff, v77, v73
	v_bfi_b32 v73, 0x7fffffff, v81, v74
	v_xor_b32_e32 v77, 16, v38
	v_bfi_b32 v74, 0x7fffffff, v84, v76
	v_cmp_ngt_f32_e64 s18, 0x3f200000, |v69|
	s_waitcnt vmcnt(3) lgkmcnt(3)
	v_fma_mix_f32 v81, v36, s16, v78 op_sel_hi:[0,0,1]
	s_waitcnt vmcnt(2) lgkmcnt(2)
	v_fma_mix_f32 v82, v73, s16, v79 op_sel_hi:[0,0,1]
	v_bfi_b32 v36, 0x7fffffff, v83, v75
	v_cmp_gt_i32_e32 vcc_lo, 32, v77
	s_delay_alu instid0(VALU_DEP_3) | instskip(SKIP_1) | instid1(VALU_DEP_3)
	v_add_f32_e32 v75, 0x40051340, v82
	s_waitcnt vmcnt(1) lgkmcnt(1)
	v_fma_mix_f32 v83, v36, s16, v80 op_sel_hi:[0,0,1]
	s_waitcnt vmcnt(0) lgkmcnt(0)
	v_fma_mix_f32 v84, v74, s16, v35 op_sel_hi:[0,0,1]
	v_cndmask_b32_e32 v74, v38, v77, vcc_lo
	s_delay_alu instid0(VALU_DEP_1) | instskip(NEXT) | instid1(VALU_DEP_1)
	v_dual_add_f32 v73, 0x40051340, v81 :: v_dual_lshlrev_b32 v86, 2, v74
	v_max3_f32 v36, v68, v73, v75
	v_add_f32_e32 v73, 0x40051340, v83
	v_add_f32_e32 v75, 0x40051340, v84
	s_delay_alu instid0(VALU_DEP_1)
	v_max3_f32 v36, v36, v73, v75
	v_xor_b32_e32 v73, 8, v38
	ds_bpermute_b32 v74, v86, v36
	v_cmp_gt_i32_e32 vcc_lo, 32, v73
	v_cndmask_b32_e32 v75, v38, v73, vcc_lo
	s_waitcnt lgkmcnt(0)
	v_max_f32_e32 v74, v74, v74
	s_delay_alu instid0(VALU_DEP_1) | instskip(SKIP_1) | instid1(VALU_DEP_1)
	v_max_f32_e32 v36, v36, v74
	v_xor_b32_e32 v74, 4, v38
	v_cmp_gt_i32_e32 vcc_lo, 32, v74
	v_cndmask_b32_e32 v76, v38, v74, vcc_lo
	s_delay_alu instid0(VALU_DEP_1) | instskip(SKIP_4) | instid1(VALU_DEP_1)
	v_lshlrev_b32_e32 v88, 2, v76
	v_lshlrev_b32_e32 v87, 2, v75
	ds_bpermute_b32 v75, v87, v36
	s_waitcnt lgkmcnt(0)
	v_max_f32_e32 v75, v75, v75
	v_max_f32_e32 v36, v36, v75
	v_xor_b32_e32 v75, 2, v38
	s_delay_alu instid0(VALU_DEP_1) | instskip(SKIP_1) | instid1(VALU_DEP_1)
	v_cmp_gt_i32_e32 vcc_lo, 32, v75
	v_cndmask_b32_e32 v85, v38, v75, vcc_lo
	v_lshlrev_b32_e32 v85, 2, v85
	ds_bpermute_b32 v76, v88, v36
	s_waitcnt lgkmcnt(0)
	v_max_f32_e32 v76, v76, v76
	s_delay_alu instid0(VALU_DEP_1)
	v_max_f32_e32 v89, v36, v76
	v_xor_b32_e32 v76, 1, v38
	ds_bpermute_b32 v36, v85, v89
	v_cmp_gt_i32_e32 vcc_lo, 32, v76
	s_waitcnt lgkmcnt(0)
	v_max_f32_e32 v91, v36, v36
	s_delay_alu instid0(VALU_DEP_1) | instskip(NEXT) | instid1(VALU_DEP_1)
	v_dual_cndmask_b32 v90, v38, v76 :: v_dual_max_f32 v89, v89, v91
	v_lshlrev_b32_e32 v36, 2, v90
                                        ; implicit-def: $vgpr91
	ds_bpermute_b32 v90, v36, v89
	s_and_saveexec_b32 s19, s18
	s_delay_alu instid0(SALU_CYCLE_1)
	s_xor_b32 s18, exec_lo, s19
	s_cbranch_execz .LBB82_27
; %bb.26:                               ;   in Loop: Header=BB82_9 Depth=1
	v_add_f32_e64 v91, |v69|, |v69|
	s_delay_alu instid0(VALU_DEP_1) | instskip(SKIP_1) | instid1(VALU_DEP_2)
	v_mul_f32_e32 v92, 0x3fb8aa3b, v91
	v_cmp_ngt_f32_e32 vcc_lo, 0xc2ce8ed0, v91
	v_rndne_f32_e32 v93, v92
	v_fma_f32 v94, 0x3fb8aa3b, v91, -v92
	s_delay_alu instid0(VALU_DEP_2) | instskip(NEXT) | instid1(VALU_DEP_2)
	v_sub_f32_e32 v92, v92, v93
	v_fmac_f32_e32 v94, 0x32a5705f, v91
	v_cvt_i32_f32_e32 v93, v93
	s_delay_alu instid0(VALU_DEP_2) | instskip(NEXT) | instid1(VALU_DEP_1)
	v_add_f32_e32 v92, v92, v94
	v_exp_f32_e32 v92, v92
	s_waitcnt_depctr 0xfff
	v_ldexp_f32 v92, v92, v93
	s_delay_alu instid0(VALU_DEP_1) | instskip(SKIP_1) | instid1(VALU_DEP_2)
	v_cndmask_b32_e32 v92, 0, v92, vcc_lo
	v_cmp_nlt_f32_e32 vcc_lo, 0x42b17218, v91
	v_cndmask_b32_e32 v91, 0x7f800000, v92, vcc_lo
	s_delay_alu instid0(VALU_DEP_1) | instskip(NEXT) | instid1(VALU_DEP_1)
	v_add_f32_e32 v91, 1.0, v91
	v_rcp_f32_e32 v91, v91
	s_waitcnt_depctr 0xfff
	v_fma_f32 v91, v91, -2.0, 1.0
.LBB82_27:                              ;   in Loop: Header=BB82_9 Depth=1
	s_and_not1_saveexec_b32 s18, s18
; %bb.28:                               ;   in Loop: Header=BB82_9 Depth=1
	v_mul_f32_e32 v91, v69, v69
	s_delay_alu instid0(VALU_DEP_1) | instskip(NEXT) | instid1(VALU_DEP_1)
	v_fmaak_f32 v92, s17, v91, 0x3ca908c9
	v_fmaak_f32 v92, v91, v92, 0xbd5c1c4e
	s_delay_alu instid0(VALU_DEP_1) | instskip(NEXT) | instid1(VALU_DEP_1)
	v_fmaak_f32 v92, v91, v92, 0x3e088382
	v_fmaak_f32 v92, v91, v92, 0xbeaaaa99
	s_delay_alu instid0(VALU_DEP_1) | instskip(NEXT) | instid1(VALU_DEP_1)
	v_mul_f32_e64 v92, |v69|, v92
	v_fma_f32 v91, v91, v92, |v69|
; %bb.29:                               ;   in Loop: Header=BB82_9 Depth=1
	s_or_b32 exec_lo, exec_lo, s18
	v_cmp_ngt_f32_e64 s18, 0x3f200000, |v70|
                                        ; implicit-def: $vgpr92
	s_delay_alu instid0(VALU_DEP_1) | instskip(NEXT) | instid1(SALU_CYCLE_1)
	s_and_saveexec_b32 s19, s18
	s_xor_b32 s18, exec_lo, s19
	s_cbranch_execz .LBB82_31
; %bb.30:                               ;   in Loop: Header=BB82_9 Depth=1
	v_add_f32_e64 v92, |v70|, |v70|
	s_delay_alu instid0(VALU_DEP_1) | instskip(SKIP_1) | instid1(VALU_DEP_2)
	v_mul_f32_e32 v93, 0x3fb8aa3b, v92
	v_cmp_ngt_f32_e32 vcc_lo, 0xc2ce8ed0, v92
	v_rndne_f32_e32 v94, v93
	v_fma_f32 v95, 0x3fb8aa3b, v92, -v93
	s_delay_alu instid0(VALU_DEP_2) | instskip(NEXT) | instid1(VALU_DEP_2)
	v_sub_f32_e32 v93, v93, v94
	v_fmac_f32_e32 v95, 0x32a5705f, v92
	v_cvt_i32_f32_e32 v94, v94
	s_delay_alu instid0(VALU_DEP_2) | instskip(NEXT) | instid1(VALU_DEP_1)
	v_add_f32_e32 v93, v93, v95
	v_exp_f32_e32 v93, v93
	s_waitcnt_depctr 0xfff
	v_ldexp_f32 v93, v93, v94
	s_delay_alu instid0(VALU_DEP_1) | instskip(SKIP_1) | instid1(VALU_DEP_2)
	v_cndmask_b32_e32 v93, 0, v93, vcc_lo
	v_cmp_nlt_f32_e32 vcc_lo, 0x42b17218, v92
	v_cndmask_b32_e32 v92, 0x7f800000, v93, vcc_lo
	s_delay_alu instid0(VALU_DEP_1) | instskip(NEXT) | instid1(VALU_DEP_1)
	v_add_f32_e32 v92, 1.0, v92
	v_rcp_f32_e32 v92, v92
	s_waitcnt_depctr 0xfff
	v_fma_f32 v92, v92, -2.0, 1.0
.LBB82_31:                              ;   in Loop: Header=BB82_9 Depth=1
	s_and_not1_saveexec_b32 s18, s18
; %bb.32:                               ;   in Loop: Header=BB82_9 Depth=1
	v_mul_f32_e32 v92, v70, v70
	s_delay_alu instid0(VALU_DEP_1) | instskip(NEXT) | instid1(VALU_DEP_1)
	v_fmaak_f32 v93, s17, v92, 0x3ca908c9
	v_fmaak_f32 v93, v92, v93, 0xbd5c1c4e
	s_delay_alu instid0(VALU_DEP_1) | instskip(NEXT) | instid1(VALU_DEP_1)
	v_fmaak_f32 v93, v92, v93, 0x3e088382
	v_fmaak_f32 v93, v92, v93, 0xbeaaaa99
	s_delay_alu instid0(VALU_DEP_1) | instskip(NEXT) | instid1(VALU_DEP_1)
	v_mul_f32_e64 v93, |v70|, v93
	v_fma_f32 v92, v92, v93, |v70|
; %bb.33:                               ;   in Loop: Header=BB82_9 Depth=1
	s_or_b32 exec_lo, exec_lo, s18
	v_cmp_ngt_f32_e64 s18, 0x3f200000, |v71|
                                        ; implicit-def: $vgpr93
	s_delay_alu instid0(VALU_DEP_1) | instskip(NEXT) | instid1(SALU_CYCLE_1)
	s_and_saveexec_b32 s19, s18
	s_xor_b32 s18, exec_lo, s19
	s_cbranch_execz .LBB82_35
; %bb.34:                               ;   in Loop: Header=BB82_9 Depth=1
	v_add_f32_e64 v93, |v71|, |v71|
	s_delay_alu instid0(VALU_DEP_1) | instskip(SKIP_1) | instid1(VALU_DEP_2)
	v_mul_f32_e32 v94, 0x3fb8aa3b, v93
	v_cmp_ngt_f32_e32 vcc_lo, 0xc2ce8ed0, v93
	v_rndne_f32_e32 v95, v94
	v_fma_f32 v96, 0x3fb8aa3b, v93, -v94
	s_delay_alu instid0(VALU_DEP_2) | instskip(NEXT) | instid1(VALU_DEP_2)
	v_sub_f32_e32 v94, v94, v95
	v_fmac_f32_e32 v96, 0x32a5705f, v93
	v_cvt_i32_f32_e32 v95, v95
	s_delay_alu instid0(VALU_DEP_2) | instskip(NEXT) | instid1(VALU_DEP_1)
	v_add_f32_e32 v94, v94, v96
	v_exp_f32_e32 v94, v94
	s_waitcnt_depctr 0xfff
	v_ldexp_f32 v94, v94, v95
	s_delay_alu instid0(VALU_DEP_1) | instskip(SKIP_1) | instid1(VALU_DEP_2)
	v_cndmask_b32_e32 v94, 0, v94, vcc_lo
	v_cmp_nlt_f32_e32 vcc_lo, 0x42b17218, v93
	v_cndmask_b32_e32 v93, 0x7f800000, v94, vcc_lo
	s_delay_alu instid0(VALU_DEP_1) | instskip(NEXT) | instid1(VALU_DEP_1)
	v_add_f32_e32 v93, 1.0, v93
	v_rcp_f32_e32 v93, v93
	s_waitcnt_depctr 0xfff
	v_fma_f32 v93, v93, -2.0, 1.0
.LBB82_35:                              ;   in Loop: Header=BB82_9 Depth=1
	s_and_not1_saveexec_b32 s18, s18
; %bb.36:                               ;   in Loop: Header=BB82_9 Depth=1
	v_mul_f32_e32 v93, v71, v71
	s_delay_alu instid0(VALU_DEP_1) | instskip(NEXT) | instid1(VALU_DEP_1)
	v_fmaak_f32 v94, s17, v93, 0x3ca908c9
	v_fmaak_f32 v94, v93, v94, 0xbd5c1c4e
	s_delay_alu instid0(VALU_DEP_1) | instskip(NEXT) | instid1(VALU_DEP_1)
	v_fmaak_f32 v94, v93, v94, 0x3e088382
	v_fmaak_f32 v94, v93, v94, 0xbeaaaa99
	s_delay_alu instid0(VALU_DEP_1) | instskip(NEXT) | instid1(VALU_DEP_1)
	v_mul_f32_e64 v94, |v71|, v94
	v_fma_f32 v93, v93, v94, |v71|
; %bb.37:                               ;   in Loop: Header=BB82_9 Depth=1
	s_or_b32 exec_lo, exec_lo, s18
	v_cmp_ngt_f32_e64 s18, 0x3f200000, |v72|
                                        ; implicit-def: $vgpr94
	s_delay_alu instid0(VALU_DEP_1) | instskip(NEXT) | instid1(SALU_CYCLE_1)
	s_and_saveexec_b32 s19, s18
	s_xor_b32 s18, exec_lo, s19
	s_cbranch_execz .LBB82_39
; %bb.38:                               ;   in Loop: Header=BB82_9 Depth=1
	v_add_f32_e64 v94, |v72|, |v72|
	s_delay_alu instid0(VALU_DEP_1) | instskip(SKIP_1) | instid1(VALU_DEP_2)
	v_mul_f32_e32 v95, 0x3fb8aa3b, v94
	v_cmp_ngt_f32_e32 vcc_lo, 0xc2ce8ed0, v94
	v_rndne_f32_e32 v96, v95
	v_fma_f32 v97, 0x3fb8aa3b, v94, -v95
	s_delay_alu instid0(VALU_DEP_2) | instskip(NEXT) | instid1(VALU_DEP_2)
	v_sub_f32_e32 v95, v95, v96
	v_fmac_f32_e32 v97, 0x32a5705f, v94
	v_cvt_i32_f32_e32 v96, v96
	s_delay_alu instid0(VALU_DEP_2) | instskip(NEXT) | instid1(VALU_DEP_1)
	v_add_f32_e32 v95, v95, v97
	v_exp_f32_e32 v95, v95
	s_waitcnt_depctr 0xfff
	v_ldexp_f32 v95, v95, v96
	s_delay_alu instid0(VALU_DEP_1) | instskip(SKIP_1) | instid1(VALU_DEP_2)
	v_cndmask_b32_e32 v95, 0, v95, vcc_lo
	v_cmp_nlt_f32_e32 vcc_lo, 0x42b17218, v94
	v_cndmask_b32_e32 v94, 0x7f800000, v95, vcc_lo
	s_delay_alu instid0(VALU_DEP_1) | instskip(NEXT) | instid1(VALU_DEP_1)
	v_add_f32_e32 v94, 1.0, v94
	v_rcp_f32_e32 v94, v94
	s_waitcnt_depctr 0xfff
	v_fma_f32 v94, v94, -2.0, 1.0
.LBB82_39:                              ;   in Loop: Header=BB82_9 Depth=1
	s_and_not1_saveexec_b32 s18, s18
; %bb.40:                               ;   in Loop: Header=BB82_9 Depth=1
	v_mul_f32_e32 v94, v72, v72
	s_delay_alu instid0(VALU_DEP_1) | instskip(NEXT) | instid1(VALU_DEP_1)
	v_fmaak_f32 v95, s17, v94, 0x3ca908c9
	v_fmaak_f32 v95, v94, v95, 0xbd5c1c4e
	s_delay_alu instid0(VALU_DEP_1) | instskip(NEXT) | instid1(VALU_DEP_1)
	v_fmaak_f32 v95, v94, v95, 0x3e088382
	v_fmaak_f32 v95, v94, v95, 0xbeaaaa99
	s_delay_alu instid0(VALU_DEP_1) | instskip(NEXT) | instid1(VALU_DEP_1)
	v_mul_f32_e64 v95, |v72|, v95
	v_fma_f32 v94, v94, v95, |v72|
; %bb.41:                               ;   in Loop: Header=BB82_9 Depth=1
	s_or_b32 exec_lo, exec_lo, s18
	s_mul_hi_i32 s19, s3, s10
	s_mul_i32 s18, s3, s10
	v_cvt_f32_f16_e32 v127, v78
	s_lshl_b64 s[18:19], s[18:19], 2
	v_cvt_f32_f16_e32 v79, v79
	s_add_u32 s18, s11, s18
	s_addc_u32 s19, s15, s19
	v_add_co_u32 v95, vcc_lo, s18, v19
	v_add_co_ci_u32_e32 v96, vcc_lo, s19, v20, vcc_lo
	v_add_co_u32 v97, vcc_lo, s18, v21
	v_add_co_ci_u32_e32 v98, vcc_lo, s19, v22, vcc_lo
	s_delay_alu instid0(VALU_DEP_4) | instskip(NEXT) | instid1(VALU_DEP_4)
	v_add_co_u32 v95, vcc_lo, v95, v60
	v_add_co_ci_u32_e32 v96, vcc_lo, 0, v96, vcc_lo
	s_delay_alu instid0(VALU_DEP_4) | instskip(NEXT) | instid1(VALU_DEP_4)
	v_add_co_u32 v99, vcc_lo, v97, v60
	v_add_co_ci_u32_e32 v100, vcc_lo, 0, v98, vcc_lo
	v_add_co_u32 v103, vcc_lo, s18, v23
	v_add_co_ci_u32_e32 v104, vcc_lo, s19, v24, vcc_lo
	;; [unrolled: 2-line block ×3, first 2 shown]
	s_delay_alu instid0(VALU_DEP_4) | instskip(NEXT) | instid1(VALU_DEP_4)
	v_add_co_u32 v103, vcc_lo, v103, v60
	v_add_co_ci_u32_e32 v104, vcc_lo, 0, v104, vcc_lo
	s_delay_alu instid0(VALU_DEP_4) | instskip(NEXT) | instid1(VALU_DEP_4)
	v_add_co_u32 v107, vcc_lo, v105, v60
	v_add_co_ci_u32_e32 v108, vcc_lo, 0, v106, vcc_lo
	v_add_co_u32 v105, vcc_lo, s18, v27
	v_add_co_ci_u32_e32 v106, vcc_lo, s19, v28, vcc_lo
	;; [unrolled: 2-line block ×3, first 2 shown]
	s_delay_alu instid0(VALU_DEP_4) | instskip(NEXT) | instid1(VALU_DEP_4)
	v_add_co_u32 v111, vcc_lo, v105, v60
	v_add_co_ci_u32_e32 v112, vcc_lo, 0, v106, vcc_lo
	s_delay_alu instid0(VALU_DEP_4)
	v_add_co_u32 v115, vcc_lo, v109, v60
	v_cvt_f32_f16_e32 v80, v80
	v_bfi_b32 v69, 0x7fffffff, v91, v69
	v_bfi_b32 v70, 0x7fffffff, v92, v70
	v_cvt_f32_f16_e32 v91, v35
	v_bfi_b32 v35, 0x7fffffff, v93, v71
	v_add_co_ci_u32_e32 v116, vcc_lo, 0, v110, vcc_lo
	v_add_co_u32 v105, vcc_lo, s18, v31
	v_add_co_ci_u32_e32 v106, vcc_lo, s19, v32, vcc_lo
	v_add_co_u32 v109, vcc_lo, s18, v33
	v_bfi_b32 v71, 0x7fffffff, v94, v72
	v_dual_fmac_f32 v127, s16, v69 :: v_dual_fmac_f32 v80, s16, v35
	v_fmac_f32_e32 v79, s16, v70
	v_add_co_ci_u32_e32 v110, vcc_lo, s19, v34, vcc_lo
	v_add_co_u32 v119, vcc_lo, v105, v60
	s_delay_alu instid0(VALU_DEP_4)
	v_add_f32_e32 v70, 0x40051340, v80
	v_add_co_ci_u32_e32 v120, vcc_lo, 0, v106, vcc_lo
	v_fmac_f32_e32 v91, s16, v71
	v_add_f32_e32 v35, 0x40051340, v127
	v_add_f32_e32 v69, 0x40051340, v79
	v_add_co_u32 v123, vcc_lo, v109, v60
	v_add_co_ci_u32_e32 v124, vcc_lo, 0, v110, vcc_lo
	s_waitcnt lgkmcnt(0)
	s_barrier
	buffer_gl0_inv
	s_clause 0x7
	global_load_b128 v[95:98], v[95:96], off
	global_load_b128 v[99:102], v[99:100], off
	;; [unrolled: 1-line block ×8, first 2 shown]
	v_add_f32_e32 v71, 0x40051340, v91
	v_max3_f32 v35, v67, v35, v69
	s_delay_alu instid0(VALU_DEP_1)
	v_max3_f32 v35, v35, v70, v71
	v_max_f32_e32 v71, v89, v89
	ds_bpermute_b32 v69, v86, v35
	v_add_nc_u32_e32 v86, v51, v37
	s_waitcnt lgkmcnt(0)
	v_max_f32_e32 v69, v69, v69
	s_delay_alu instid0(VALU_DEP_1) | instskip(SKIP_3) | instid1(VALU_DEP_1)
	v_max_f32_e32 v35, v35, v69
	ds_bpermute_b32 v69, v87, v35
	s_waitcnt lgkmcnt(0)
	v_max_f32_e32 v69, v69, v69
	v_max_f32_e32 v69, v35, v69
	;; [unrolled: 1-line block ×3, first 2 shown]
	s_delay_alu instid0(VALU_DEP_1) | instskip(NEXT) | instid1(VALU_DEP_1)
	v_max_f32_e32 v35, v71, v35
	v_sub_f32_e32 v78, v81, v35
	ds_bpermute_b32 v70, v88, v69
	v_sub_f32_e32 v81, v68, v35
	s_delay_alu instid0(VALU_DEP_1) | instskip(SKIP_2) | instid1(VALU_DEP_3)
	v_dual_mul_f32 v88, 0x3fb8aa3b, v81 :: v_dual_sub_f32 v71, v82, v35
	v_sub_f32_e32 v82, v84, v35
	v_sub_f32_e32 v68, v83, v35
	v_rndne_f32_e32 v131, v88
	v_mul_f32_e32 v83, 0x3fb8aa3b, v78
	s_delay_alu instid0(VALU_DEP_3) | instskip(NEXT) | instid1(VALU_DEP_1)
	v_dual_mul_f32 v87, 0x3fb8aa3b, v82 :: v_dual_mul_f32 v84, 0x3fb8aa3b, v68
	v_fma_f32 v128, 0x3fb8aa3b, v82, -v87
	s_delay_alu instid0(VALU_DEP_2) | instskip(SKIP_4) | instid1(VALU_DEP_3)
	v_fma_f32 v93, 0x3fb8aa3b, v68, -v84
	s_waitcnt lgkmcnt(0)
	v_max_f32_e32 v70, v70, v70
	v_rndne_f32_e32 v94, v84
	v_fmac_f32_e32 v128, 0x32a5705f, v82
	v_dual_mul_f32 v72, 0x3fb8aa3b, v71 :: v_dual_max_f32 v69, v69, v70
	s_delay_alu instid0(VALU_DEP_3) | instskip(SKIP_1) | instid1(VALU_DEP_3)
	v_dual_fmac_f32 v93, 0x32a5705f, v68 :: v_dual_sub_f32 v84, v84, v94
	v_cmp_ngt_f32_e32 vcc_lo, 0xc2ce8ed0, v71
	v_fma_f32 v89, 0x3fb8aa3b, v71, -v72
	v_rndne_f32_e32 v70, v72
	s_delay_alu instid0(VALU_DEP_2) | instskip(NEXT) | instid1(VALU_DEP_2)
	v_dual_add_f32 v84, v84, v93 :: v_dual_fmac_f32 v89, 0x32a5705f, v71
	v_sub_f32_e32 v72, v72, v70
	v_cvt_i32_f32_e32 v70, v70
	s_delay_alu instid0(VALU_DEP_3) | instskip(NEXT) | instid1(VALU_DEP_2)
	v_exp_f32_e32 v84, v84
	v_add_f32_e32 v72, v72, v89
	v_rndne_f32_e32 v129, v87
	s_delay_alu instid0(VALU_DEP_2) | instskip(NEXT) | instid1(VALU_DEP_1)
	v_exp_f32_e32 v72, v72
	v_sub_f32_e32 v87, v87, v129
	v_cvt_i32_f32_e32 v89, v129
	s_delay_alu instid0(VALU_DEP_2) | instskip(SKIP_2) | instid1(VALU_DEP_1)
	v_add_f32_e32 v87, v87, v128
	s_waitcnt_depctr 0xfff
	v_ldexp_f32 v70, v72, v70
	v_cndmask_b32_e32 v70, 0, v70, vcc_lo
	v_fma_f32 v130, 0x3fb8aa3b, v81, -v88
	v_sub_f32_e32 v88, v88, v131
	v_fma_f32 v90, 0x3fb8aa3b, v78, -v83
	v_rndne_f32_e32 v92, v83
	v_cmp_ngt_f32_e32 vcc_lo, 0xc2ce8ed0, v78
	v_fmac_f32_e32 v130, 0x32a5705f, v81
	ds_bpermute_b32 v85, v85, v69
	v_dual_fmac_f32 v90, 0x32a5705f, v78 :: v_dual_sub_f32 v83, v83, v92
	v_cvt_i32_f32_e32 v92, v92
	s_waitcnt lgkmcnt(0)
	v_max_f32_e32 v85, v85, v85
	s_delay_alu instid0(VALU_DEP_1)
	v_max_f32_e32 v69, v69, v85
	v_exp_f32_e32 v85, v87
	ds_bpermute_b32 v36, v36, v69
	v_add_f32_e32 v83, v83, v90
	v_cvt_i32_f32_e32 v90, v131
	s_waitcnt lgkmcnt(0)
	v_max_f32_e32 v36, v36, v36
	s_delay_alu instid0(VALU_DEP_3) | instskip(SKIP_2) | instid1(VALU_DEP_3)
	v_exp_f32_e32 v83, v83
	v_add_f32_e32 v87, v88, v130
	v_cvt_i32_f32_e32 v88, v94
	v_max_f32_e32 v36, v69, v36
	s_delay_alu instid0(VALU_DEP_3)
	v_exp_f32_e32 v87, v87
	s_waitcnt_depctr 0xfff
	v_ldexp_f32 v72, v83, v92
	v_ldexp_f32 v83, v84, v88
	;; [unrolled: 1-line block ×3, first 2 shown]
	v_sub_f32_e32 v89, v91, v36
	v_sub_f32_e32 v88, v80, v36
	v_cndmask_b32_e32 v85, 0, v72, vcc_lo
	v_cmp_ngt_f32_e32 vcc_lo, 0xc2ce8ed0, v68
	v_ldexp_f32 v90, v87, v90
	v_mul_f32_e32 v92, 0x3fb8aa3b, v89
	v_dual_mul_f32 v80, 0x3fb8aa3b, v88 :: v_dual_cndmask_b32 v83, 0, v83
	v_cmp_ngt_f32_e32 vcc_lo, 0xc2ce8ed0, v82
	s_delay_alu instid0(VALU_DEP_3) | instskip(NEXT) | instid1(VALU_DEP_3)
	v_rndne_f32_e32 v133, v92
	v_fma_f32 v130, 0x3fb8aa3b, v88, -v80
	v_rndne_f32_e32 v131, v80
	v_cndmask_b32_e32 v84, 0, v84, vcc_lo
	v_cmp_nlt_f32_e32 vcc_lo, 0x42b17218, v71
	s_delay_alu instid0(VALU_DEP_4) | instskip(NEXT) | instid1(VALU_DEP_4)
	v_fmac_f32_e32 v130, 0x32a5705f, v88
	v_sub_f32_e32 v80, v80, v131
	v_cndmask_b32_e32 v72, 0x7f800000, v70, vcc_lo
	v_cmp_nlt_f32_e32 vcc_lo, 0x42b17218, v68
	v_sub_f32_e32 v68, v127, v36
	s_delay_alu instid0(VALU_DEP_4)
	v_add_f32_e32 v80, v80, v130
	v_fma_f32 v132, 0x3fb8aa3b, v89, -v92
	v_sub_f32_e32 v91, v67, v36
	v_dual_cndmask_b32 v71, 0x7f800000, v83 :: v_dual_sub_f32 v92, v92, v133
	v_cmp_nlt_f32_e32 vcc_lo, 0x42b17218, v82
	v_mul_f32_e32 v67, 0x3fb8aa3b, v68
	v_fmac_f32_e32 v132, 0x32a5705f, v89
	v_mul_f32_e32 v93, 0x3fb8aa3b, v91
	v_exp_f32_e32 v80, v80
	v_cndmask_b32_e32 v70, 0x7f800000, v84, vcc_lo
	v_cmp_nlt_f32_e32 vcc_lo, 0x42b17218, v78
	v_fma_f32 v94, 0x3fb8aa3b, v68, -v67
	v_rndne_f32_e32 v127, v67
	v_add_f32_e32 v92, v92, v132
	v_fma_f32 v134, 0x3fb8aa3b, v91, -v93
	v_dual_cndmask_b32 v78, 0x7f800000, v85 :: v_dual_sub_f32 v85, v79, v36
	s_delay_alu instid0(VALU_DEP_4) | instskip(NEXT) | instid1(VALU_DEP_3)
	v_dual_fmac_f32 v94, 0x32a5705f, v68 :: v_dual_sub_f32 v67, v67, v127
	v_fmac_f32_e32 v134, 0x32a5705f, v91
	v_cmp_ngt_f32_e32 vcc_lo, 0xc2ce8ed0, v68
	s_delay_alu instid0(VALU_DEP_4)
	v_mul_f32_e32 v79, 0x3fb8aa3b, v85
	v_exp_f32_e32 v92, v92
	v_add_f32_e32 v67, v67, v94
	v_cvt_i32_f32_e32 v94, v127
	v_rndne_f32_e32 v135, v93
	v_fma_f32 v128, 0x3fb8aa3b, v85, -v79
	v_rndne_f32_e32 v129, v79
	v_exp_f32_e32 v67, v67
	v_cvt_f16_f32_e32 v69, v72
	v_cvt_f16_f32_e32 v82, v71
	v_fmac_f32_e32 v128, 0x32a5705f, v85
	v_sub_f32_e32 v79, v79, v129
	v_cvt_i32_f32_e32 v127, v129
	v_cvt_i32_f32_e32 v129, v133
	v_cvt_f16_f32_e32 v84, v78
	v_add_f32_e32 v72, v78, v72
	v_add_f32_e32 v79, v79, v128
	v_ldexp_f32 v67, v67, v94
	v_cvt_i32_f32_e32 v128, v131
	v_ldexp_f32 v92, v92, v129
	v_cvt_f16_f32_e32 v83, v70
	v_exp_f32_e32 v79, v79
	v_cndmask_b32_e32 v67, 0, v67, vcc_lo
	v_cmp_ngt_f32_e32 vcc_lo, 0xc2ce8ed0, v85
	v_ldexp_f32 v80, v80, v128
	s_waitcnt_depctr 0xfff
	v_ldexp_f32 v79, v79, v127
	s_delay_alu instid0(VALU_DEP_1)
	v_cndmask_b32_e32 v94, 0, v79, vcc_lo
	v_cmp_ngt_f32_e32 vcc_lo, 0xc2ce8ed0, v88
	v_cndmask_b32_e32 v127, 0, v80, vcc_lo
	v_cmp_ngt_f32_e32 vcc_lo, 0xc2ce8ed0, v89
	v_dual_sub_f32 v93, v93, v135 :: v_dual_cndmask_b32 v92, 0, v92
	v_cmp_nlt_f32_e32 vcc_lo, 0x42b17218, v68
	v_cndmask_b32_e32 v79, 0x7f800000, v67, vcc_lo
	v_cmp_nlt_f32_e32 vcc_lo, 0x42b17218, v85
	v_cndmask_b32_e32 v80, 0x7f800000, v94, vcc_lo
	v_cmp_nlt_f32_e32 vcc_lo, 0x42b17218, v88
	v_add_f32_e32 v93, v93, v134
	v_cvt_f16_f32_e32 v88, v79
	v_cvt_i32_f32_e32 v94, v135
	v_cndmask_b32_e32 v68, 0x7f800000, v127, vcc_lo
	v_cmp_nlt_f32_e32 vcc_lo, 0x42b17218, v89
	v_exp_f32_e32 v85, v93
	v_cvt_f16_f32_e32 v89, v80
	v_pack_b32_f16 v84, v84, v88
	v_cndmask_b32_e32 v67, 0x7f800000, v92, vcc_lo
	v_cvt_f16_f32_e32 v92, v68
	s_delay_alu instid0(VALU_DEP_4) | instskip(SKIP_1) | instid1(VALU_DEP_4)
	v_pack_b32_f16 v69, v69, v89
	v_cmp_ngt_f32_e32 vcc_lo, 0xc2ce8ed0, v91
	v_cvt_f16_f32_e32 v93, v67
	s_delay_alu instid0(VALU_DEP_4) | instskip(NEXT) | instid1(TRANS32_DEP_1)
	v_pack_b32_f16 v82, v82, v92
	v_ldexp_f32 v92, v85, v94
	s_delay_alu instid0(VALU_DEP_3)
	v_pack_b32_f16 v83, v83, v93
	ds_store_2addr_b32 v86, v84, v69 offset1:32
	ds_store_2addr_b32 v86, v82, v83 offset0:64 offset1:96
	s_waitcnt vmcnt(7)
	ds_store_b128 v50, v[95:98]
	s_waitcnt vmcnt(6)
	ds_store_b128 v52, v[99:102]
	;; [unrolled: 2-line block ×8, first 2 shown]
	s_waitcnt lgkmcnt(0)
	s_barrier
	buffer_gl0_inv
	ds_load_2addr_b64 v[82:85], v59 offset1:32
	ds_load_b128 v[86:89], v51
	v_cndmask_b32_e32 v69, 0, v92, vcc_lo
	v_cmp_ngt_f32_e32 vcc_lo, 0xc2ce8ed0, v81
	v_add_nc_u32_e32 v106, 0x800, v59
	v_add_nc_u32_e32 v108, 0x7000, v59
	v_dual_cndmask_b32 v90, 0, v90 :: v_dual_add_nc_u32 v109, 0x7800, v59
	v_cmp_nlt_f32_e32 vcc_lo, 0x42b17218, v91
	v_cndmask_b32_e32 v69, 0x7f800000, v69, vcc_lo
	v_cmp_nlt_f32_e32 vcc_lo, 0x42b17218, v81
	s_delay_alu instid0(VALU_DEP_2)
	v_cvt_f16_f32_e32 v102, v69
	v_cndmask_b32_e32 v81, 0x7f800000, v90, vcc_lo
	ds_load_2addr_b64 v[90:93], v59 offset0:64 offset1:96
	s_waitcnt lgkmcnt(1)
	v_pk_mul_f16 v104, v82, v86 op_sel_hi:[1,0]
	v_pk_mul_f16 v82, v82, v86 op_sel:[0,1]
	v_pk_mul_f16 v63, v102, v63 op_sel_hi:[0,1]
	v_cvt_f16_f32_e32 v103, v81
	v_pk_mul_f16 v105, v83, v86 op_sel_hi:[1,0]
	ds_load_2addr_b64 v[94:97], v59 offset0:128 offset1:160
	ds_load_b128 v[98:101], v51 offset:16
	v_pk_fma_f16 v64, v64, v102, v82 op_sel_hi:[1,0,1]
	v_pk_fma_f16 v63, v83, v86, v63 op_sel:[0,1,0]
	v_pk_fma_f16 v65, v103, v65, v104 op_sel_hi:[0,1,1]
	v_pk_fma_f16 v66, v103, v66, v105 op_sel_hi:[0,1,1]
	s_delay_alu instid0(VALU_DEP_4) | instskip(NEXT) | instid1(VALU_DEP_4)
	v_pk_fma_f16 v83, v84, v87, v64 op_sel:[0,1,0]
	v_pk_fma_f16 v63, v85, v87, v63 op_sel:[0,1,0]
	s_delay_alu instid0(VALU_DEP_4) | instskip(NEXT) | instid1(VALU_DEP_4)
	v_pk_fma_f16 v82, v84, v87, v65 op_sel_hi:[1,0,1]
	v_pk_fma_f16 v84, v85, v87, v66 op_sel_hi:[1,0,1]
	s_waitcnt lgkmcnt(2)
	s_delay_alu instid0(VALU_DEP_3)
	v_pk_fma_f16 v85, v91, v88, v63 op_sel:[0,1,0]
	ds_load_2addr_b64 v[63:66], v59 offset0:192 offset1:224
	v_pk_fma_f16 v86, v90, v88, v82 op_sel_hi:[1,0,1]
	v_pk_fma_f16 v87, v90, v88, v83 op_sel:[0,1,0]
	v_pk_fma_f16 v88, v91, v88, v84 op_sel_hi:[1,0,1]
	v_pk_fma_f16 v90, v93, v89, v85 op_sel:[0,1,0]
	ds_load_2addr_b64 v[82:85], v106 offset1:32
	v_pk_fma_f16 v91, v92, v89, v86 op_sel_hi:[1,0,1]
	v_pk_fma_f16 v92, v92, v89, v87 op_sel:[0,1,0]
	v_pk_fma_f16 v93, v93, v89, v88 op_sel_hi:[1,0,1]
	s_waitcnt lgkmcnt(2)
	v_pk_fma_f16 v90, v95, v98, v90 op_sel:[0,1,0]
	ds_load_b128 v[86:89], v51 offset:32
	v_pk_fma_f16 v102, v94, v98, v91 op_sel_hi:[1,0,1]
	v_pk_fma_f16 v94, v94, v98, v92 op_sel:[0,1,0]
	v_pk_fma_f16 v95, v95, v98, v93 op_sel_hi:[1,0,1]
	v_pk_fma_f16 v98, v97, v99, v90 op_sel:[0,1,0]
	ds_load_2addr_b64 v[90:93], v106 offset0:64 offset1:96
	v_pk_fma_f16 v102, v96, v99, v102 op_sel_hi:[1,0,1]
	v_pk_fma_f16 v103, v96, v99, v94 op_sel:[0,1,0]
	v_pk_fma_f16 v99, v97, v99, v95 op_sel_hi:[1,0,1]
	ds_load_2addr_b64 v[94:97], v106 offset0:128 offset1:160
	s_waitcnt lgkmcnt(4)
	v_pk_fma_f16 v98, v64, v100, v98 op_sel:[0,1,0]
	v_pk_fma_f16 v107, v63, v100, v102 op_sel_hi:[1,0,1]
	v_pk_fma_f16 v63, v63, v100, v103 op_sel:[0,1,0]
	ds_load_b128 v[102:105], v51 offset:48
	v_pk_fma_f16 v64, v64, v100, v99 op_sel_hi:[1,0,1]
	v_pk_fma_f16 v98, v66, v101, v98 op_sel:[0,1,0]
	v_pk_fma_f16 v99, v65, v101, v107 op_sel_hi:[1,0,1]
	v_pk_fma_f16 v63, v65, v101, v63 op_sel:[0,1,0]
	v_add_nc_u32_e32 v107, 0x1000, v59
	v_pk_fma_f16 v64, v66, v101, v64 op_sel_hi:[1,0,1]
	s_waitcnt lgkmcnt(3)
	v_pk_fma_f16 v65, v83, v86, v98 op_sel:[0,1,0]
	v_pk_fma_f16 v66, v82, v86, v99 op_sel_hi:[1,0,1]
	v_pk_fma_f16 v63, v82, v86, v63 op_sel:[0,1,0]
	v_pk_fma_f16 v64, v83, v86, v64 op_sel_hi:[1,0,1]
	s_delay_alu instid0(VALU_DEP_4) | instskip(NEXT) | instid1(VALU_DEP_4)
	v_pk_fma_f16 v65, v85, v87, v65 op_sel:[0,1,0]
	v_pk_fma_f16 v82, v84, v87, v66 op_sel_hi:[1,0,1]
	s_delay_alu instid0(VALU_DEP_4) | instskip(NEXT) | instid1(VALU_DEP_4)
	v_pk_fma_f16 v83, v84, v87, v63 op_sel:[0,1,0]
	v_pk_fma_f16 v84, v85, v87, v64 op_sel_hi:[1,0,1]
	s_waitcnt lgkmcnt(2)
	v_pk_fma_f16 v85, v91, v88, v65 op_sel:[0,1,0]
	ds_load_2addr_b64 v[63:66], v106 offset0:192 offset1:224
	v_pk_fma_f16 v86, v90, v88, v82 op_sel_hi:[1,0,1]
	v_pk_fma_f16 v87, v90, v88, v83 op_sel:[0,1,0]
	v_pk_fma_f16 v88, v91, v88, v84 op_sel_hi:[1,0,1]
	v_pk_fma_f16 v90, v93, v89, v85 op_sel:[0,1,0]
	ds_load_2addr_b64 v[82:85], v107 offset1:32
	v_pk_fma_f16 v91, v92, v89, v86 op_sel_hi:[1,0,1]
	v_pk_fma_f16 v92, v92, v89, v87 op_sel:[0,1,0]
	v_pk_fma_f16 v93, v93, v89, v88 op_sel_hi:[1,0,1]
	s_waitcnt lgkmcnt(2)
	v_pk_fma_f16 v90, v95, v102, v90 op_sel:[0,1,0]
	ds_load_b128 v[86:89], v51 offset:64
	v_pk_fma_f16 v98, v94, v102, v91 op_sel_hi:[1,0,1]
	v_pk_fma_f16 v94, v94, v102, v92 op_sel:[0,1,0]
	v_pk_fma_f16 v95, v95, v102, v93 op_sel_hi:[1,0,1]
	v_pk_fma_f16 v99, v97, v103, v90 op_sel:[0,1,0]
	ds_load_2addr_b64 v[90:93], v107 offset0:64 offset1:96
	v_pk_fma_f16 v98, v96, v103, v98 op_sel_hi:[1,0,1]
	v_pk_fma_f16 v100, v96, v103, v94 op_sel:[0,1,0]
	v_pk_fma_f16 v101, v97, v103, v95 op_sel_hi:[1,0,1]
	ds_load_2addr_b64 v[94:97], v107 offset0:128 offset1:160
	s_waitcnt lgkmcnt(4)
	v_pk_fma_f16 v99, v64, v104, v99 op_sel:[0,1,0]
	v_pk_fma_f16 v102, v63, v104, v98 op_sel_hi:[1,0,1]
	v_pk_fma_f16 v63, v63, v104, v100 op_sel:[0,1,0]
	v_pk_fma_f16 v64, v64, v104, v101 op_sel_hi:[1,0,1]
	v_add_nc_u32_e32 v106, 0x1800, v59
	v_pk_fma_f16 v103, v66, v105, v99 op_sel:[0,1,0]
	ds_load_b128 v[98:101], v51 offset:80
	v_pk_fma_f16 v102, v65, v105, v102 op_sel_hi:[1,0,1]
	v_pk_fma_f16 v63, v65, v105, v63 op_sel:[0,1,0]
	v_pk_fma_f16 v64, v66, v105, v64 op_sel_hi:[1,0,1]
	s_waitcnt lgkmcnt(3)
	v_pk_fma_f16 v65, v83, v86, v103 op_sel:[0,1,0]
	v_pk_fma_f16 v66, v82, v86, v102 op_sel_hi:[1,0,1]
	v_pk_fma_f16 v63, v82, v86, v63 op_sel:[0,1,0]
	v_pk_fma_f16 v64, v83, v86, v64 op_sel_hi:[1,0,1]
	s_delay_alu instid0(VALU_DEP_4) | instskip(NEXT) | instid1(VALU_DEP_4)
	v_pk_fma_f16 v65, v85, v87, v65 op_sel:[0,1,0]
	v_pk_fma_f16 v82, v84, v87, v66 op_sel_hi:[1,0,1]
	s_delay_alu instid0(VALU_DEP_4) | instskip(NEXT) | instid1(VALU_DEP_4)
	v_pk_fma_f16 v83, v84, v87, v63 op_sel:[0,1,0]
	v_pk_fma_f16 v84, v85, v87, v64 op_sel_hi:[1,0,1]
	s_waitcnt lgkmcnt(2)
	v_pk_fma_f16 v85, v91, v88, v65 op_sel:[0,1,0]
	ds_load_2addr_b64 v[63:66], v107 offset0:192 offset1:224
	v_pk_fma_f16 v86, v90, v88, v82 op_sel_hi:[1,0,1]
	v_pk_fma_f16 v87, v90, v88, v83 op_sel:[0,1,0]
	v_pk_fma_f16 v88, v91, v88, v84 op_sel_hi:[1,0,1]
	v_pk_fma_f16 v90, v93, v89, v85 op_sel:[0,1,0]
	ds_load_2addr_b64 v[82:85], v106 offset1:32
	v_pk_fma_f16 v91, v92, v89, v86 op_sel_hi:[1,0,1]
	v_pk_fma_f16 v92, v92, v89, v87 op_sel:[0,1,0]
	v_pk_fma_f16 v93, v93, v89, v88 op_sel_hi:[1,0,1]
	s_waitcnt lgkmcnt(2)
	v_pk_fma_f16 v90, v95, v98, v90 op_sel:[0,1,0]
	ds_load_b128 v[86:89], v51 offset:96
	v_pk_fma_f16 v102, v94, v98, v91 op_sel_hi:[1,0,1]
	v_pk_fma_f16 v94, v94, v98, v92 op_sel:[0,1,0]
	v_pk_fma_f16 v95, v95, v98, v93 op_sel_hi:[1,0,1]
	v_pk_fma_f16 v98, v97, v99, v90 op_sel:[0,1,0]
	ds_load_2addr_b64 v[90:93], v106 offset0:64 offset1:96
	v_pk_fma_f16 v102, v96, v99, v102 op_sel_hi:[1,0,1]
	v_pk_fma_f16 v103, v96, v99, v94 op_sel:[0,1,0]
	v_pk_fma_f16 v99, v97, v99, v95 op_sel_hi:[1,0,1]
	ds_load_2addr_b64 v[94:97], v106 offset0:128 offset1:160
	s_waitcnt lgkmcnt(4)
	v_pk_fma_f16 v98, v64, v100, v98 op_sel:[0,1,0]
	v_pk_fma_f16 v107, v63, v100, v102 op_sel_hi:[1,0,1]
	v_pk_fma_f16 v63, v63, v100, v103 op_sel:[0,1,0]
	ds_load_b128 v[102:105], v51 offset:112
	v_pk_fma_f16 v64, v64, v100, v99 op_sel_hi:[1,0,1]
	v_pk_fma_f16 v98, v66, v101, v98 op_sel:[0,1,0]
	v_pk_fma_f16 v99, v65, v101, v107 op_sel_hi:[1,0,1]
	v_pk_fma_f16 v63, v65, v101, v63 op_sel:[0,1,0]
	v_add_nc_u32_e32 v107, 0x2000, v59
	v_pk_fma_f16 v64, v66, v101, v64 op_sel_hi:[1,0,1]
	s_waitcnt lgkmcnt(3)
	v_pk_fma_f16 v65, v83, v86, v98 op_sel:[0,1,0]
	v_pk_fma_f16 v66, v82, v86, v99 op_sel_hi:[1,0,1]
	v_pk_fma_f16 v63, v82, v86, v63 op_sel:[0,1,0]
	v_pk_fma_f16 v64, v83, v86, v64 op_sel_hi:[1,0,1]
	s_delay_alu instid0(VALU_DEP_4) | instskip(NEXT) | instid1(VALU_DEP_4)
	v_pk_fma_f16 v65, v85, v87, v65 op_sel:[0,1,0]
	v_pk_fma_f16 v82, v84, v87, v66 op_sel_hi:[1,0,1]
	s_delay_alu instid0(VALU_DEP_4) | instskip(NEXT) | instid1(VALU_DEP_4)
	v_pk_fma_f16 v83, v84, v87, v63 op_sel:[0,1,0]
	v_pk_fma_f16 v84, v85, v87, v64 op_sel_hi:[1,0,1]
	s_waitcnt lgkmcnt(2)
	v_pk_fma_f16 v85, v91, v88, v65 op_sel:[0,1,0]
	ds_load_2addr_b64 v[63:66], v106 offset0:192 offset1:224
	v_pk_fma_f16 v86, v90, v88, v82 op_sel_hi:[1,0,1]
	v_pk_fma_f16 v87, v90, v88, v83 op_sel:[0,1,0]
	v_pk_fma_f16 v88, v91, v88, v84 op_sel_hi:[1,0,1]
	v_pk_fma_f16 v90, v93, v89, v85 op_sel:[0,1,0]
	ds_load_2addr_b64 v[82:85], v107 offset1:32
	v_pk_fma_f16 v91, v92, v89, v86 op_sel_hi:[1,0,1]
	v_pk_fma_f16 v92, v92, v89, v87 op_sel:[0,1,0]
	v_pk_fma_f16 v93, v93, v89, v88 op_sel_hi:[1,0,1]
	s_waitcnt lgkmcnt(2)
	v_pk_fma_f16 v90, v95, v102, v90 op_sel:[0,1,0]
	ds_load_b128 v[86:89], v51 offset:128
	v_pk_fma_f16 v98, v94, v102, v91 op_sel_hi:[1,0,1]
	v_pk_fma_f16 v94, v94, v102, v92 op_sel:[0,1,0]
	v_pk_fma_f16 v95, v95, v102, v93 op_sel_hi:[1,0,1]
	v_pk_fma_f16 v99, v97, v103, v90 op_sel:[0,1,0]
	ds_load_2addr_b64 v[90:93], v107 offset0:64 offset1:96
	v_pk_fma_f16 v98, v96, v103, v98 op_sel_hi:[1,0,1]
	v_pk_fma_f16 v100, v96, v103, v94 op_sel:[0,1,0]
	v_pk_fma_f16 v101, v97, v103, v95 op_sel_hi:[1,0,1]
	ds_load_2addr_b64 v[94:97], v107 offset0:128 offset1:160
	s_waitcnt lgkmcnt(4)
	v_pk_fma_f16 v99, v64, v104, v99 op_sel:[0,1,0]
	v_pk_fma_f16 v102, v63, v104, v98 op_sel_hi:[1,0,1]
	v_pk_fma_f16 v63, v63, v104, v100 op_sel:[0,1,0]
	v_pk_fma_f16 v64, v64, v104, v101 op_sel_hi:[1,0,1]
	v_add_nc_u32_e32 v106, 0x2800, v59
	v_pk_fma_f16 v103, v66, v105, v99 op_sel:[0,1,0]
	v_pk_fma_f16 v102, v65, v105, v102 op_sel_hi:[1,0,1]
	v_pk_fma_f16 v63, v65, v105, v63 op_sel:[0,1,0]
	v_pk_fma_f16 v64, v66, v105, v64 op_sel_hi:[1,0,1]
	ds_load_b128 v[98:101], v51 offset:144
	s_waitcnt lgkmcnt(3)
	v_pk_fma_f16 v65, v83, v86, v103 op_sel:[0,1,0]
	v_pk_fma_f16 v66, v82, v86, v102 op_sel_hi:[1,0,1]
	v_pk_fma_f16 v63, v82, v86, v63 op_sel:[0,1,0]
	v_pk_fma_f16 v64, v83, v86, v64 op_sel_hi:[1,0,1]
	s_delay_alu instid0(VALU_DEP_4) | instskip(NEXT) | instid1(VALU_DEP_4)
	v_pk_fma_f16 v65, v85, v87, v65 op_sel:[0,1,0]
	v_pk_fma_f16 v82, v84, v87, v66 op_sel_hi:[1,0,1]
	s_delay_alu instid0(VALU_DEP_4) | instskip(NEXT) | instid1(VALU_DEP_4)
	v_pk_fma_f16 v83, v84, v87, v63 op_sel:[0,1,0]
	v_pk_fma_f16 v84, v85, v87, v64 op_sel_hi:[1,0,1]
	s_waitcnt lgkmcnt(2)
	v_pk_fma_f16 v85, v91, v88, v65 op_sel:[0,1,0]
	ds_load_2addr_b64 v[63:66], v107 offset0:192 offset1:224
	v_pk_fma_f16 v86, v90, v88, v82 op_sel_hi:[1,0,1]
	v_pk_fma_f16 v87, v90, v88, v83 op_sel:[0,1,0]
	v_pk_fma_f16 v88, v91, v88, v84 op_sel_hi:[1,0,1]
	v_pk_fma_f16 v90, v93, v89, v85 op_sel:[0,1,0]
	ds_load_2addr_b64 v[82:85], v106 offset1:32
	v_pk_fma_f16 v91, v92, v89, v86 op_sel_hi:[1,0,1]
	v_pk_fma_f16 v92, v92, v89, v87 op_sel:[0,1,0]
	v_pk_fma_f16 v93, v93, v89, v88 op_sel_hi:[1,0,1]
	s_waitcnt lgkmcnt(2)
	v_pk_fma_f16 v90, v95, v98, v90 op_sel:[0,1,0]
	ds_load_b128 v[86:89], v51 offset:160
	v_pk_fma_f16 v102, v94, v98, v91 op_sel_hi:[1,0,1]
	v_pk_fma_f16 v94, v94, v98, v92 op_sel:[0,1,0]
	v_pk_fma_f16 v95, v95, v98, v93 op_sel_hi:[1,0,1]
	v_pk_fma_f16 v98, v97, v99, v90 op_sel:[0,1,0]
	ds_load_2addr_b64 v[90:93], v106 offset0:64 offset1:96
	v_pk_fma_f16 v102, v96, v99, v102 op_sel_hi:[1,0,1]
	v_pk_fma_f16 v103, v96, v99, v94 op_sel:[0,1,0]
	v_pk_fma_f16 v99, v97, v99, v95 op_sel_hi:[1,0,1]
	ds_load_2addr_b64 v[94:97], v106 offset0:128 offset1:160
	s_waitcnt lgkmcnt(4)
	v_pk_fma_f16 v98, v64, v100, v98 op_sel:[0,1,0]
	v_pk_fma_f16 v107, v63, v100, v102 op_sel_hi:[1,0,1]
	v_pk_fma_f16 v63, v63, v100, v103 op_sel:[0,1,0]
	ds_load_b128 v[102:105], v51 offset:176
	v_pk_fma_f16 v64, v64, v100, v99 op_sel_hi:[1,0,1]
	v_pk_fma_f16 v98, v66, v101, v98 op_sel:[0,1,0]
	v_pk_fma_f16 v99, v65, v101, v107 op_sel_hi:[1,0,1]
	v_pk_fma_f16 v63, v65, v101, v63 op_sel:[0,1,0]
	v_add_nc_u32_e32 v107, 0x3000, v59
	v_pk_fma_f16 v64, v66, v101, v64 op_sel_hi:[1,0,1]
	s_waitcnt lgkmcnt(3)
	v_pk_fma_f16 v65, v83, v86, v98 op_sel:[0,1,0]
	v_pk_fma_f16 v66, v82, v86, v99 op_sel_hi:[1,0,1]
	v_pk_fma_f16 v63, v82, v86, v63 op_sel:[0,1,0]
	v_pk_fma_f16 v64, v83, v86, v64 op_sel_hi:[1,0,1]
	s_delay_alu instid0(VALU_DEP_4) | instskip(NEXT) | instid1(VALU_DEP_4)
	v_pk_fma_f16 v65, v85, v87, v65 op_sel:[0,1,0]
	v_pk_fma_f16 v82, v84, v87, v66 op_sel_hi:[1,0,1]
	s_delay_alu instid0(VALU_DEP_4) | instskip(NEXT) | instid1(VALU_DEP_4)
	v_pk_fma_f16 v83, v84, v87, v63 op_sel:[0,1,0]
	v_pk_fma_f16 v84, v85, v87, v64 op_sel_hi:[1,0,1]
	s_waitcnt lgkmcnt(2)
	v_pk_fma_f16 v85, v91, v88, v65 op_sel:[0,1,0]
	ds_load_2addr_b64 v[63:66], v106 offset0:192 offset1:224
	v_pk_fma_f16 v86, v90, v88, v82 op_sel_hi:[1,0,1]
	v_pk_fma_f16 v87, v90, v88, v83 op_sel:[0,1,0]
	v_pk_fma_f16 v88, v91, v88, v84 op_sel_hi:[1,0,1]
	v_pk_fma_f16 v90, v93, v89, v85 op_sel:[0,1,0]
	ds_load_2addr_b64 v[82:85], v107 offset1:32
	v_pk_fma_f16 v91, v92, v89, v86 op_sel_hi:[1,0,1]
	v_pk_fma_f16 v92, v92, v89, v87 op_sel:[0,1,0]
	v_pk_fma_f16 v93, v93, v89, v88 op_sel_hi:[1,0,1]
	s_waitcnt lgkmcnt(2)
	v_pk_fma_f16 v90, v95, v102, v90 op_sel:[0,1,0]
	ds_load_b128 v[86:89], v51 offset:192
	v_pk_fma_f16 v98, v94, v102, v91 op_sel_hi:[1,0,1]
	v_pk_fma_f16 v94, v94, v102, v92 op_sel:[0,1,0]
	v_pk_fma_f16 v95, v95, v102, v93 op_sel_hi:[1,0,1]
	v_pk_fma_f16 v99, v97, v103, v90 op_sel:[0,1,0]
	ds_load_2addr_b64 v[90:93], v107 offset0:64 offset1:96
	v_pk_fma_f16 v98, v96, v103, v98 op_sel_hi:[1,0,1]
	v_pk_fma_f16 v100, v96, v103, v94 op_sel:[0,1,0]
	v_pk_fma_f16 v101, v97, v103, v95 op_sel_hi:[1,0,1]
	ds_load_2addr_b64 v[94:97], v107 offset0:128 offset1:160
	s_waitcnt lgkmcnt(4)
	v_pk_fma_f16 v99, v64, v104, v99 op_sel:[0,1,0]
	v_pk_fma_f16 v102, v63, v104, v98 op_sel_hi:[1,0,1]
	v_pk_fma_f16 v63, v63, v104, v100 op_sel:[0,1,0]
	v_pk_fma_f16 v64, v64, v104, v101 op_sel_hi:[1,0,1]
	v_add_nc_u32_e32 v106, 0x3800, v59
	v_pk_fma_f16 v103, v66, v105, v99 op_sel:[0,1,0]
	v_pk_fma_f16 v102, v65, v105, v102 op_sel_hi:[1,0,1]
	v_pk_fma_f16 v63, v65, v105, v63 op_sel:[0,1,0]
	v_pk_fma_f16 v64, v66, v105, v64 op_sel_hi:[1,0,1]
	ds_load_b128 v[98:101], v51 offset:208
	s_waitcnt lgkmcnt(3)
	v_pk_fma_f16 v65, v83, v86, v103 op_sel:[0,1,0]
	v_pk_fma_f16 v66, v82, v86, v102 op_sel_hi:[1,0,1]
	v_pk_fma_f16 v63, v82, v86, v63 op_sel:[0,1,0]
	v_pk_fma_f16 v64, v83, v86, v64 op_sel_hi:[1,0,1]
	s_delay_alu instid0(VALU_DEP_4) | instskip(NEXT) | instid1(VALU_DEP_4)
	v_pk_fma_f16 v65, v85, v87, v65 op_sel:[0,1,0]
	v_pk_fma_f16 v82, v84, v87, v66 op_sel_hi:[1,0,1]
	s_delay_alu instid0(VALU_DEP_4) | instskip(NEXT) | instid1(VALU_DEP_4)
	v_pk_fma_f16 v83, v84, v87, v63 op_sel:[0,1,0]
	v_pk_fma_f16 v84, v85, v87, v64 op_sel_hi:[1,0,1]
	s_waitcnt lgkmcnt(2)
	v_pk_fma_f16 v85, v91, v88, v65 op_sel:[0,1,0]
	ds_load_2addr_b64 v[63:66], v107 offset0:192 offset1:224
	v_pk_fma_f16 v86, v90, v88, v82 op_sel_hi:[1,0,1]
	v_pk_fma_f16 v87, v90, v88, v83 op_sel:[0,1,0]
	v_pk_fma_f16 v88, v91, v88, v84 op_sel_hi:[1,0,1]
	v_pk_fma_f16 v90, v93, v89, v85 op_sel:[0,1,0]
	ds_load_2addr_b64 v[82:85], v106 offset1:32
	v_pk_fma_f16 v91, v92, v89, v86 op_sel_hi:[1,0,1]
	v_pk_fma_f16 v92, v92, v89, v87 op_sel:[0,1,0]
	v_pk_fma_f16 v93, v93, v89, v88 op_sel_hi:[1,0,1]
	s_waitcnt lgkmcnt(2)
	v_pk_fma_f16 v90, v95, v98, v90 op_sel:[0,1,0]
	ds_load_b128 v[86:89], v51 offset:224
	v_pk_fma_f16 v102, v94, v98, v91 op_sel_hi:[1,0,1]
	v_pk_fma_f16 v94, v94, v98, v92 op_sel:[0,1,0]
	v_pk_fma_f16 v95, v95, v98, v93 op_sel_hi:[1,0,1]
	v_pk_fma_f16 v98, v97, v99, v90 op_sel:[0,1,0]
	ds_load_2addr_b64 v[90:93], v106 offset0:64 offset1:96
	v_pk_fma_f16 v102, v96, v99, v102 op_sel_hi:[1,0,1]
	v_pk_fma_f16 v103, v96, v99, v94 op_sel:[0,1,0]
	v_pk_fma_f16 v99, v97, v99, v95 op_sel_hi:[1,0,1]
	ds_load_2addr_b64 v[94:97], v106 offset0:128 offset1:160
	s_waitcnt lgkmcnt(4)
	v_pk_fma_f16 v98, v64, v100, v98 op_sel:[0,1,0]
	v_pk_fma_f16 v107, v63, v100, v102 op_sel_hi:[1,0,1]
	v_pk_fma_f16 v63, v63, v100, v103 op_sel:[0,1,0]
	ds_load_b128 v[102:105], v51 offset:240
	v_pk_fma_f16 v64, v64, v100, v99 op_sel_hi:[1,0,1]
	v_pk_fma_f16 v98, v66, v101, v98 op_sel:[0,1,0]
	v_pk_fma_f16 v99, v65, v101, v107 op_sel_hi:[1,0,1]
	v_pk_fma_f16 v63, v65, v101, v63 op_sel:[0,1,0]
	v_add_nc_u32_e32 v107, 0x4000, v59
	v_pk_fma_f16 v64, v66, v101, v64 op_sel_hi:[1,0,1]
	s_waitcnt lgkmcnt(3)
	v_pk_fma_f16 v65, v83, v86, v98 op_sel:[0,1,0]
	v_pk_fma_f16 v66, v82, v86, v99 op_sel_hi:[1,0,1]
	v_pk_fma_f16 v63, v82, v86, v63 op_sel:[0,1,0]
	v_pk_fma_f16 v64, v83, v86, v64 op_sel_hi:[1,0,1]
	s_delay_alu instid0(VALU_DEP_4) | instskip(NEXT) | instid1(VALU_DEP_4)
	v_pk_fma_f16 v65, v85, v87, v65 op_sel:[0,1,0]
	v_pk_fma_f16 v82, v84, v87, v66 op_sel_hi:[1,0,1]
	s_delay_alu instid0(VALU_DEP_4) | instskip(NEXT) | instid1(VALU_DEP_4)
	v_pk_fma_f16 v83, v84, v87, v63 op_sel:[0,1,0]
	v_pk_fma_f16 v84, v85, v87, v64 op_sel_hi:[1,0,1]
	s_waitcnt lgkmcnt(2)
	v_pk_fma_f16 v85, v91, v88, v65 op_sel:[0,1,0]
	ds_load_2addr_b64 v[63:66], v106 offset0:192 offset1:224
	v_pk_fma_f16 v86, v90, v88, v82 op_sel_hi:[1,0,1]
	v_pk_fma_f16 v87, v90, v88, v83 op_sel:[0,1,0]
	v_pk_fma_f16 v88, v91, v88, v84 op_sel_hi:[1,0,1]
	v_pk_fma_f16 v90, v93, v89, v85 op_sel:[0,1,0]
	ds_load_2addr_b64 v[82:85], v107 offset1:32
	v_pk_fma_f16 v91, v92, v89, v86 op_sel_hi:[1,0,1]
	v_pk_fma_f16 v92, v92, v89, v87 op_sel:[0,1,0]
	v_pk_fma_f16 v93, v93, v89, v88 op_sel_hi:[1,0,1]
	s_waitcnt lgkmcnt(2)
	v_pk_fma_f16 v90, v95, v102, v90 op_sel:[0,1,0]
	ds_load_b128 v[86:89], v51 offset:256
	v_pk_fma_f16 v98, v94, v102, v91 op_sel_hi:[1,0,1]
	v_pk_fma_f16 v94, v94, v102, v92 op_sel:[0,1,0]
	v_pk_fma_f16 v95, v95, v102, v93 op_sel_hi:[1,0,1]
	v_pk_fma_f16 v99, v97, v103, v90 op_sel:[0,1,0]
	ds_load_2addr_b64 v[90:93], v107 offset0:64 offset1:96
	v_pk_fma_f16 v98, v96, v103, v98 op_sel_hi:[1,0,1]
	v_pk_fma_f16 v100, v96, v103, v94 op_sel:[0,1,0]
	v_pk_fma_f16 v101, v97, v103, v95 op_sel_hi:[1,0,1]
	ds_load_2addr_b64 v[94:97], v107 offset0:128 offset1:160
	s_waitcnt lgkmcnt(4)
	v_pk_fma_f16 v99, v64, v104, v99 op_sel:[0,1,0]
	v_pk_fma_f16 v102, v63, v104, v98 op_sel_hi:[1,0,1]
	v_pk_fma_f16 v63, v63, v104, v100 op_sel:[0,1,0]
	v_pk_fma_f16 v64, v64, v104, v101 op_sel_hi:[1,0,1]
	v_add_nc_u32_e32 v106, 0x4800, v59
	v_pk_fma_f16 v103, v66, v105, v99 op_sel:[0,1,0]
	ds_load_b128 v[98:101], v51 offset:272
	v_pk_fma_f16 v102, v65, v105, v102 op_sel_hi:[1,0,1]
	v_pk_fma_f16 v63, v65, v105, v63 op_sel:[0,1,0]
	v_pk_fma_f16 v64, v66, v105, v64 op_sel_hi:[1,0,1]
	s_waitcnt lgkmcnt(3)
	v_pk_fma_f16 v65, v83, v86, v103 op_sel:[0,1,0]
	v_pk_fma_f16 v66, v82, v86, v102 op_sel_hi:[1,0,1]
	v_pk_fma_f16 v63, v82, v86, v63 op_sel:[0,1,0]
	v_pk_fma_f16 v64, v83, v86, v64 op_sel_hi:[1,0,1]
	s_delay_alu instid0(VALU_DEP_4) | instskip(NEXT) | instid1(VALU_DEP_4)
	v_pk_fma_f16 v65, v85, v87, v65 op_sel:[0,1,0]
	v_pk_fma_f16 v82, v84, v87, v66 op_sel_hi:[1,0,1]
	s_delay_alu instid0(VALU_DEP_4) | instskip(NEXT) | instid1(VALU_DEP_4)
	v_pk_fma_f16 v83, v84, v87, v63 op_sel:[0,1,0]
	v_pk_fma_f16 v84, v85, v87, v64 op_sel_hi:[1,0,1]
	s_waitcnt lgkmcnt(2)
	v_pk_fma_f16 v85, v91, v88, v65 op_sel:[0,1,0]
	ds_load_2addr_b64 v[63:66], v107 offset0:192 offset1:224
	v_pk_fma_f16 v86, v90, v88, v82 op_sel_hi:[1,0,1]
	v_pk_fma_f16 v87, v90, v88, v83 op_sel:[0,1,0]
	v_pk_fma_f16 v88, v91, v88, v84 op_sel_hi:[1,0,1]
	v_pk_fma_f16 v90, v93, v89, v85 op_sel:[0,1,0]
	ds_load_2addr_b64 v[82:85], v106 offset1:32
	v_pk_fma_f16 v91, v92, v89, v86 op_sel_hi:[1,0,1]
	v_pk_fma_f16 v92, v92, v89, v87 op_sel:[0,1,0]
	v_pk_fma_f16 v93, v93, v89, v88 op_sel_hi:[1,0,1]
	s_waitcnt lgkmcnt(2)
	v_pk_fma_f16 v90, v95, v98, v90 op_sel:[0,1,0]
	ds_load_b128 v[86:89], v51 offset:288
	v_pk_fma_f16 v102, v94, v98, v91 op_sel_hi:[1,0,1]
	v_pk_fma_f16 v94, v94, v98, v92 op_sel:[0,1,0]
	v_pk_fma_f16 v95, v95, v98, v93 op_sel_hi:[1,0,1]
	v_pk_fma_f16 v98, v97, v99, v90 op_sel:[0,1,0]
	ds_load_2addr_b64 v[90:93], v106 offset0:64 offset1:96
	v_pk_fma_f16 v102, v96, v99, v102 op_sel_hi:[1,0,1]
	v_pk_fma_f16 v103, v96, v99, v94 op_sel:[0,1,0]
	v_pk_fma_f16 v99, v97, v99, v95 op_sel_hi:[1,0,1]
	ds_load_2addr_b64 v[94:97], v106 offset0:128 offset1:160
	s_waitcnt lgkmcnt(4)
	v_pk_fma_f16 v98, v64, v100, v98 op_sel:[0,1,0]
	v_pk_fma_f16 v107, v63, v100, v102 op_sel_hi:[1,0,1]
	v_pk_fma_f16 v63, v63, v100, v103 op_sel:[0,1,0]
	ds_load_b128 v[102:105], v51 offset:304
	v_pk_fma_f16 v64, v64, v100, v99 op_sel_hi:[1,0,1]
	v_pk_fma_f16 v98, v66, v101, v98 op_sel:[0,1,0]
	v_pk_fma_f16 v99, v65, v101, v107 op_sel_hi:[1,0,1]
	v_pk_fma_f16 v63, v65, v101, v63 op_sel:[0,1,0]
	v_add_nc_u32_e32 v107, 0x5000, v59
	v_pk_fma_f16 v64, v66, v101, v64 op_sel_hi:[1,0,1]
	s_waitcnt lgkmcnt(3)
	v_pk_fma_f16 v65, v83, v86, v98 op_sel:[0,1,0]
	v_pk_fma_f16 v66, v82, v86, v99 op_sel_hi:[1,0,1]
	v_pk_fma_f16 v63, v82, v86, v63 op_sel:[0,1,0]
	v_pk_fma_f16 v64, v83, v86, v64 op_sel_hi:[1,0,1]
	s_delay_alu instid0(VALU_DEP_4) | instskip(NEXT) | instid1(VALU_DEP_4)
	v_pk_fma_f16 v65, v85, v87, v65 op_sel:[0,1,0]
	v_pk_fma_f16 v82, v84, v87, v66 op_sel_hi:[1,0,1]
	s_delay_alu instid0(VALU_DEP_4) | instskip(NEXT) | instid1(VALU_DEP_4)
	v_pk_fma_f16 v83, v84, v87, v63 op_sel:[0,1,0]
	v_pk_fma_f16 v84, v85, v87, v64 op_sel_hi:[1,0,1]
	s_waitcnt lgkmcnt(2)
	v_pk_fma_f16 v85, v91, v88, v65 op_sel:[0,1,0]
	ds_load_2addr_b64 v[63:66], v106 offset0:192 offset1:224
	v_pk_fma_f16 v86, v90, v88, v82 op_sel_hi:[1,0,1]
	v_pk_fma_f16 v87, v90, v88, v83 op_sel:[0,1,0]
	v_pk_fma_f16 v88, v91, v88, v84 op_sel_hi:[1,0,1]
	v_pk_fma_f16 v90, v93, v89, v85 op_sel:[0,1,0]
	ds_load_2addr_b64 v[82:85], v107 offset1:32
	v_pk_fma_f16 v91, v92, v89, v86 op_sel_hi:[1,0,1]
	v_pk_fma_f16 v92, v92, v89, v87 op_sel:[0,1,0]
	v_pk_fma_f16 v93, v93, v89, v88 op_sel_hi:[1,0,1]
	s_waitcnt lgkmcnt(2)
	v_pk_fma_f16 v90, v95, v102, v90 op_sel:[0,1,0]
	ds_load_b128 v[86:89], v51 offset:320
	v_pk_fma_f16 v98, v94, v102, v91 op_sel_hi:[1,0,1]
	v_pk_fma_f16 v94, v94, v102, v92 op_sel:[0,1,0]
	v_pk_fma_f16 v95, v95, v102, v93 op_sel_hi:[1,0,1]
	v_pk_fma_f16 v99, v97, v103, v90 op_sel:[0,1,0]
	ds_load_2addr_b64 v[90:93], v107 offset0:64 offset1:96
	v_pk_fma_f16 v98, v96, v103, v98 op_sel_hi:[1,0,1]
	v_pk_fma_f16 v100, v96, v103, v94 op_sel:[0,1,0]
	v_pk_fma_f16 v101, v97, v103, v95 op_sel_hi:[1,0,1]
	ds_load_2addr_b64 v[94:97], v107 offset0:128 offset1:160
	s_waitcnt lgkmcnt(4)
	v_pk_fma_f16 v99, v64, v104, v99 op_sel:[0,1,0]
	v_pk_fma_f16 v102, v63, v104, v98 op_sel_hi:[1,0,1]
	v_pk_fma_f16 v63, v63, v104, v100 op_sel:[0,1,0]
	v_pk_fma_f16 v64, v64, v104, v101 op_sel_hi:[1,0,1]
	v_add_nc_u32_e32 v106, 0x5800, v59
	v_pk_fma_f16 v103, v66, v105, v99 op_sel:[0,1,0]
	ds_load_b128 v[98:101], v51 offset:336
	v_pk_fma_f16 v102, v65, v105, v102 op_sel_hi:[1,0,1]
	v_pk_fma_f16 v63, v65, v105, v63 op_sel:[0,1,0]
	v_pk_fma_f16 v64, v66, v105, v64 op_sel_hi:[1,0,1]
	s_waitcnt lgkmcnt(3)
	v_pk_fma_f16 v65, v83, v86, v103 op_sel:[0,1,0]
	v_pk_fma_f16 v66, v82, v86, v102 op_sel_hi:[1,0,1]
	v_pk_fma_f16 v63, v82, v86, v63 op_sel:[0,1,0]
	v_pk_fma_f16 v64, v83, v86, v64 op_sel_hi:[1,0,1]
	s_delay_alu instid0(VALU_DEP_4) | instskip(NEXT) | instid1(VALU_DEP_4)
	v_pk_fma_f16 v65, v85, v87, v65 op_sel:[0,1,0]
	v_pk_fma_f16 v82, v84, v87, v66 op_sel_hi:[1,0,1]
	s_delay_alu instid0(VALU_DEP_4) | instskip(NEXT) | instid1(VALU_DEP_4)
	v_pk_fma_f16 v83, v84, v87, v63 op_sel:[0,1,0]
	v_pk_fma_f16 v84, v85, v87, v64 op_sel_hi:[1,0,1]
	s_waitcnt lgkmcnt(2)
	v_pk_fma_f16 v85, v91, v88, v65 op_sel:[0,1,0]
	ds_load_2addr_b64 v[63:66], v107 offset0:192 offset1:224
	v_pk_fma_f16 v86, v90, v88, v82 op_sel_hi:[1,0,1]
	v_pk_fma_f16 v87, v90, v88, v83 op_sel:[0,1,0]
	v_pk_fma_f16 v88, v91, v88, v84 op_sel_hi:[1,0,1]
	v_pk_fma_f16 v90, v93, v89, v85 op_sel:[0,1,0]
	ds_load_2addr_b64 v[82:85], v106 offset1:32
	v_pk_fma_f16 v91, v92, v89, v86 op_sel_hi:[1,0,1]
	v_pk_fma_f16 v92, v92, v89, v87 op_sel:[0,1,0]
	v_pk_fma_f16 v93, v93, v89, v88 op_sel_hi:[1,0,1]
	s_waitcnt lgkmcnt(2)
	v_pk_fma_f16 v90, v95, v98, v90 op_sel:[0,1,0]
	ds_load_b128 v[86:89], v51 offset:352
	v_pk_fma_f16 v102, v94, v98, v91 op_sel_hi:[1,0,1]
	v_pk_fma_f16 v94, v94, v98, v92 op_sel:[0,1,0]
	v_pk_fma_f16 v95, v95, v98, v93 op_sel_hi:[1,0,1]
	v_pk_fma_f16 v98, v97, v99, v90 op_sel:[0,1,0]
	ds_load_2addr_b64 v[90:93], v106 offset0:64 offset1:96
	v_pk_fma_f16 v102, v96, v99, v102 op_sel_hi:[1,0,1]
	v_pk_fma_f16 v103, v96, v99, v94 op_sel:[0,1,0]
	v_pk_fma_f16 v99, v97, v99, v95 op_sel_hi:[1,0,1]
	ds_load_2addr_b64 v[94:97], v106 offset0:128 offset1:160
	s_waitcnt lgkmcnt(4)
	v_pk_fma_f16 v98, v64, v100, v98 op_sel:[0,1,0]
	v_pk_fma_f16 v107, v63, v100, v102 op_sel_hi:[1,0,1]
	v_pk_fma_f16 v63, v63, v100, v103 op_sel:[0,1,0]
	ds_load_b128 v[102:105], v51 offset:368
	v_pk_fma_f16 v64, v64, v100, v99 op_sel_hi:[1,0,1]
	v_pk_fma_f16 v98, v66, v101, v98 op_sel:[0,1,0]
	v_pk_fma_f16 v99, v65, v101, v107 op_sel_hi:[1,0,1]
	v_pk_fma_f16 v63, v65, v101, v63 op_sel:[0,1,0]
	v_add_nc_u32_e32 v107, 0x6000, v59
	v_pk_fma_f16 v64, v66, v101, v64 op_sel_hi:[1,0,1]
	s_waitcnt lgkmcnt(3)
	v_pk_fma_f16 v65, v83, v86, v98 op_sel:[0,1,0]
	v_pk_fma_f16 v66, v82, v86, v99 op_sel_hi:[1,0,1]
	v_pk_fma_f16 v63, v82, v86, v63 op_sel:[0,1,0]
	v_pk_fma_f16 v64, v83, v86, v64 op_sel_hi:[1,0,1]
	s_delay_alu instid0(VALU_DEP_4) | instskip(NEXT) | instid1(VALU_DEP_4)
	v_pk_fma_f16 v65, v85, v87, v65 op_sel:[0,1,0]
	v_pk_fma_f16 v82, v84, v87, v66 op_sel_hi:[1,0,1]
	s_delay_alu instid0(VALU_DEP_4) | instskip(NEXT) | instid1(VALU_DEP_4)
	v_pk_fma_f16 v83, v84, v87, v63 op_sel:[0,1,0]
	v_pk_fma_f16 v84, v85, v87, v64 op_sel_hi:[1,0,1]
	s_waitcnt lgkmcnt(2)
	v_pk_fma_f16 v85, v91, v88, v65 op_sel:[0,1,0]
	ds_load_2addr_b64 v[63:66], v106 offset0:192 offset1:224
	v_pk_fma_f16 v86, v90, v88, v82 op_sel_hi:[1,0,1]
	v_pk_fma_f16 v87, v90, v88, v83 op_sel:[0,1,0]
	v_pk_fma_f16 v88, v91, v88, v84 op_sel_hi:[1,0,1]
	v_pk_fma_f16 v90, v93, v89, v85 op_sel:[0,1,0]
	ds_load_2addr_b64 v[82:85], v107 offset1:32
	v_pk_fma_f16 v91, v92, v89, v86 op_sel_hi:[1,0,1]
	v_pk_fma_f16 v92, v92, v89, v87 op_sel:[0,1,0]
	v_pk_fma_f16 v93, v93, v89, v88 op_sel_hi:[1,0,1]
	s_waitcnt lgkmcnt(2)
	v_pk_fma_f16 v90, v95, v102, v90 op_sel:[0,1,0]
	ds_load_b128 v[86:89], v51 offset:384
	v_pk_fma_f16 v98, v94, v102, v91 op_sel_hi:[1,0,1]
	v_pk_fma_f16 v94, v94, v102, v92 op_sel:[0,1,0]
	v_pk_fma_f16 v95, v95, v102, v93 op_sel_hi:[1,0,1]
	v_pk_fma_f16 v99, v97, v103, v90 op_sel:[0,1,0]
	ds_load_2addr_b64 v[90:93], v107 offset0:64 offset1:96
	v_pk_fma_f16 v98, v96, v103, v98 op_sel_hi:[1,0,1]
	v_pk_fma_f16 v100, v96, v103, v94 op_sel:[0,1,0]
	v_pk_fma_f16 v101, v97, v103, v95 op_sel_hi:[1,0,1]
	ds_load_2addr_b64 v[94:97], v107 offset0:128 offset1:160
	s_waitcnt lgkmcnt(4)
	v_pk_fma_f16 v99, v64, v104, v99 op_sel:[0,1,0]
	v_pk_fma_f16 v102, v63, v104, v98 op_sel_hi:[1,0,1]
	v_pk_fma_f16 v63, v63, v104, v100 op_sel:[0,1,0]
	v_pk_fma_f16 v64, v64, v104, v101 op_sel_hi:[1,0,1]
	v_add_nc_u32_e32 v106, 0x6800, v59
	v_pk_fma_f16 v103, v66, v105, v99 op_sel:[0,1,0]
	ds_load_b128 v[98:101], v51 offset:400
	v_pk_fma_f16 v102, v65, v105, v102 op_sel_hi:[1,0,1]
	v_pk_fma_f16 v63, v65, v105, v63 op_sel:[0,1,0]
	v_pk_fma_f16 v64, v66, v105, v64 op_sel_hi:[1,0,1]
	s_waitcnt lgkmcnt(3)
	v_pk_fma_f16 v65, v83, v86, v103 op_sel:[0,1,0]
	v_pk_fma_f16 v66, v82, v86, v102 op_sel_hi:[1,0,1]
	v_pk_fma_f16 v63, v82, v86, v63 op_sel:[0,1,0]
	v_pk_fma_f16 v64, v83, v86, v64 op_sel_hi:[1,0,1]
	s_delay_alu instid0(VALU_DEP_4) | instskip(NEXT) | instid1(VALU_DEP_4)
	v_pk_fma_f16 v65, v85, v87, v65 op_sel:[0,1,0]
	v_pk_fma_f16 v82, v84, v87, v66 op_sel_hi:[1,0,1]
	s_delay_alu instid0(VALU_DEP_4) | instskip(NEXT) | instid1(VALU_DEP_4)
	v_pk_fma_f16 v83, v84, v87, v63 op_sel:[0,1,0]
	v_pk_fma_f16 v84, v85, v87, v64 op_sel_hi:[1,0,1]
	s_waitcnt lgkmcnt(2)
	v_pk_fma_f16 v85, v91, v88, v65 op_sel:[0,1,0]
	ds_load_2addr_b64 v[63:66], v107 offset0:192 offset1:224
	v_pk_fma_f16 v86, v90, v88, v82 op_sel_hi:[1,0,1]
	v_pk_fma_f16 v87, v90, v88, v83 op_sel:[0,1,0]
	v_pk_fma_f16 v88, v91, v88, v84 op_sel_hi:[1,0,1]
	v_pk_fma_f16 v90, v93, v89, v85 op_sel:[0,1,0]
	ds_load_2addr_b64 v[82:85], v106 offset1:32
	v_pk_fma_f16 v91, v92, v89, v86 op_sel_hi:[1,0,1]
	v_pk_fma_f16 v92, v92, v89, v87 op_sel:[0,1,0]
	v_pk_fma_f16 v93, v93, v89, v88 op_sel_hi:[1,0,1]
	s_waitcnt lgkmcnt(2)
	v_pk_fma_f16 v90, v95, v98, v90 op_sel:[0,1,0]
	ds_load_b128 v[86:89], v51 offset:416
	v_pk_fma_f16 v78, v94, v98, v91 op_sel_hi:[1,0,1]
	v_pk_fma_f16 v94, v94, v98, v92 op_sel:[0,1,0]
	v_pk_fma_f16 v95, v95, v98, v93 op_sel_hi:[1,0,1]
	v_pk_fma_f16 v98, v97, v99, v90 op_sel:[0,1,0]
	ds_load_2addr_b64 v[90:93], v106 offset0:64 offset1:96
	v_pk_fma_f16 v78, v96, v99, v78 op_sel_hi:[1,0,1]
	v_pk_fma_f16 v102, v96, v99, v94 op_sel:[0,1,0]
	v_pk_fma_f16 v99, v97, v99, v95 op_sel_hi:[1,0,1]
	ds_load_2addr_b64 v[94:97], v106 offset0:128 offset1:160
	s_waitcnt lgkmcnt(4)
	v_pk_fma_f16 v98, v64, v100, v98 op_sel:[0,1,0]
	v_pk_fma_f16 v78, v63, v100, v78 op_sel_hi:[1,0,1]
	v_pk_fma_f16 v63, v63, v100, v102 op_sel:[0,1,0]
	ds_load_b128 v[102:105], v51 offset:432
	v_pk_fma_f16 v64, v64, v100, v99 op_sel_hi:[1,0,1]
	v_pk_fma_f16 v98, v66, v101, v98 op_sel:[0,1,0]
	v_pk_fma_f16 v78, v65, v101, v78 op_sel_hi:[1,0,1]
	v_pk_fma_f16 v63, v65, v101, v63 op_sel:[0,1,0]
	s_delay_alu instid0(VALU_DEP_4)
	v_pk_fma_f16 v64, v66, v101, v64 op_sel_hi:[1,0,1]
	s_waitcnt lgkmcnt(3)
	v_pk_fma_f16 v65, v83, v86, v98 op_sel:[0,1,0]
	v_add_f32_e32 v66, v71, v72
	v_pk_fma_f16 v71, v82, v86, v78 op_sel_hi:[1,0,1]
	v_pk_fma_f16 v63, v82, v86, v63 op_sel:[0,1,0]
	v_pk_fma_f16 v64, v83, v86, v64 op_sel_hi:[1,0,1]
	v_pk_fma_f16 v65, v85, v87, v65 op_sel:[0,1,0]
	v_add_f32_e32 v70, v70, v66
	v_pk_fma_f16 v71, v84, v87, v71 op_sel_hi:[1,0,1]
	v_pk_fma_f16 v72, v84, v87, v63 op_sel:[0,1,0]
	v_pk_fma_f16 v78, v85, v87, v64 op_sel_hi:[1,0,1]
	s_waitcnt lgkmcnt(2)
	v_pk_fma_f16 v82, v91, v88, v65 op_sel:[0,1,0]
	ds_load_2addr_b64 v[63:66], v106 offset0:192 offset1:224
	v_pk_fma_f16 v71, v90, v88, v71 op_sel_hi:[1,0,1]
	v_pk_fma_f16 v72, v90, v88, v72 op_sel:[0,1,0]
	v_pk_fma_f16 v78, v91, v88, v78 op_sel_hi:[1,0,1]
	v_pk_fma_f16 v86, v93, v89, v82 op_sel:[0,1,0]
	ds_load_2addr_b64 v[82:85], v108 offset1:32
	v_pk_fma_f16 v71, v92, v89, v71 op_sel_hi:[1,0,1]
	v_pk_fma_f16 v72, v92, v89, v72 op_sel:[0,1,0]
	v_pk_fma_f16 v78, v93, v89, v78 op_sel_hi:[1,0,1]
	s_waitcnt lgkmcnt(2)
	v_pk_fma_f16 v90, v95, v102, v86 op_sel:[0,1,0]
	ds_load_b128 v[86:89], v51 offset:448
	ds_load_b128 v[98:101], v51 offset:464
	v_fmac_f32_e32 v70, v62, v81
	v_pk_fma_f16 v62, v94, v102, v71 op_sel_hi:[1,0,1]
	v_pk_fma_f16 v71, v94, v102, v72 op_sel:[0,1,0]
	v_pk_fma_f16 v72, v95, v102, v78 op_sel_hi:[1,0,1]
	v_pk_fma_f16 v78, v97, v103, v90 op_sel:[0,1,0]
	ds_load_2addr_b64 v[90:93], v108 offset0:64 offset1:96
	v_pk_fma_f16 v62, v96, v103, v62 op_sel_hi:[1,0,1]
	v_pk_fma_f16 v71, v96, v103, v71 op_sel:[0,1,0]
	v_pk_fma_f16 v72, v97, v103, v72 op_sel_hi:[1,0,1]
	s_waitcnt lgkmcnt(4)
	v_pk_fma_f16 v78, v64, v104, v78 op_sel:[0,1,0]
	ds_load_2addr_b64 v[94:97], v108 offset0:128 offset1:160
	v_pk_fma_f16 v62, v63, v104, v62 op_sel_hi:[1,0,1]
	v_pk_fma_f16 v63, v63, v104, v71 op_sel:[0,1,0]
	v_pk_fma_f16 v64, v64, v104, v72 op_sel_hi:[1,0,1]
	v_pk_fma_f16 v71, v66, v105, v78 op_sel:[0,1,0]
	s_delay_alu instid0(VALU_DEP_4) | instskip(NEXT) | instid1(VALU_DEP_4)
	v_pk_fma_f16 v62, v65, v105, v62 op_sel_hi:[1,0,1]
	v_pk_fma_f16 v63, v65, v105, v63 op_sel:[0,1,0]
	s_delay_alu instid0(VALU_DEP_4)
	v_pk_fma_f16 v64, v66, v105, v64 op_sel_hi:[1,0,1]
	s_waitcnt lgkmcnt(3)
	v_pk_fma_f16 v65, v83, v86, v71 op_sel:[0,1,0]
	v_add_f32_e32 v66, v79, v80
	v_pk_fma_f16 v71, v82, v86, v62 op_sel_hi:[1,0,1]
	v_pk_fma_f16 v72, v82, v86, v63 op_sel:[0,1,0]
	v_pk_fma_f16 v78, v83, v86, v64 op_sel_hi:[1,0,1]
	v_pk_fma_f16 v79, v85, v87, v65 op_sel:[0,1,0]
	ds_load_2addr_b64 v[62:65], v108 offset0:192 offset1:224
	v_pk_fma_f16 v71, v84, v87, v71 op_sel_hi:[1,0,1]
	v_pk_fma_f16 v72, v84, v87, v72 op_sel:[0,1,0]
	v_pk_fma_f16 v82, v85, v87, v78 op_sel_hi:[1,0,1]
	s_waitcnt lgkmcnt(2)
	v_pk_fma_f16 v83, v91, v88, v79 op_sel:[0,1,0]
	ds_load_2addr_b64 v[78:81], v109 offset1:32
	v_pk_fma_f16 v71, v90, v88, v71 op_sel_hi:[1,0,1]
	v_pk_fma_f16 v72, v90, v88, v72 op_sel:[0,1,0]
	v_pk_fma_f16 v86, v91, v88, v82 op_sel_hi:[1,0,1]
	v_pk_fma_f16 v87, v93, v89, v83 op_sel:[0,1,0]
	ds_load_2addr_b64 v[82:85], v109 offset0:64 offset1:96
	v_pk_fma_f16 v71, v92, v89, v71 op_sel_hi:[1,0,1]
	v_pk_fma_f16 v72, v92, v89, v72 op_sel:[0,1,0]
	v_pk_fma_f16 v90, v93, v89, v86 op_sel_hi:[1,0,1]
	s_waitcnt lgkmcnt(3)
	v_pk_fma_f16 v102, v95, v98, v87 op_sel:[0,1,0]
	ds_load_b128 v[86:89], v51 offset:480
	v_pk_fma_f16 v71, v94, v98, v71 op_sel_hi:[1,0,1]
	v_pk_fma_f16 v72, v94, v98, v72 op_sel:[0,1,0]
	v_pk_fma_f16 v94, v95, v98, v90 op_sel_hi:[1,0,1]
	v_pk_fma_f16 v98, v97, v99, v102 op_sel:[0,1,0]
	ds_load_2addr_b64 v[90:93], v109 offset0:128 offset1:160
	v_pk_fma_f16 v71, v96, v99, v71 op_sel_hi:[1,0,1]
	v_pk_fma_f16 v72, v96, v99, v72 op_sel:[0,1,0]
	v_pk_fma_f16 v99, v97, v99, v94 op_sel_hi:[1,0,1]
	ds_load_b128 v[94:97], v51 offset:496
	s_waitcnt lgkmcnt(5)
	v_pk_fma_f16 v98, v63, v100, v98 op_sel:[0,1,0]
	v_pk_fma_f16 v71, v62, v100, v71 op_sel_hi:[1,0,1]
	v_pk_fma_f16 v62, v62, v100, v72 op_sel:[0,1,0]
	v_pk_fma_f16 v63, v63, v100, v99 op_sel_hi:[1,0,1]
	ds_load_2addr_b64 v[102:105], v109 offset0:192 offset1:224
	v_pk_fma_f16 v72, v65, v101, v98 op_sel:[0,1,0]
	v_pk_fma_f16 v71, v64, v101, v71 op_sel_hi:[1,0,1]
	v_pk_fma_f16 v62, v64, v101, v62 op_sel:[0,1,0]
	v_pk_fma_f16 v63, v65, v101, v63 op_sel_hi:[1,0,1]
	s_waitcnt lgkmcnt(0)
	v_pk_fma_f16 v64, v79, v86, v72 op_sel:[0,1,0]
	v_pk_fma_f16 v65, v78, v86, v71 op_sel_hi:[1,0,1]
	v_pk_fma_f16 v62, v78, v86, v62 op_sel:[0,1,0]
	v_pk_fma_f16 v63, v79, v86, v63 op_sel_hi:[1,0,1]
	s_barrier
	v_pk_fma_f16 v64, v81, v87, v64 op_sel:[0,1,0]
	v_pk_fma_f16 v65, v80, v87, v65 op_sel_hi:[1,0,1]
	v_pk_fma_f16 v62, v80, v87, v62 op_sel:[0,1,0]
	v_pk_fma_f16 v63, v81, v87, v63 op_sel_hi:[1,0,1]
	buffer_gl0_inv
	v_pk_fma_f16 v64, v83, v88, v64 op_sel:[0,1,0]
	v_pk_fma_f16 v65, v82, v88, v65 op_sel_hi:[1,0,1]
	v_pk_fma_f16 v62, v82, v88, v62 op_sel:[0,1,0]
	v_pk_fma_f16 v63, v83, v88, v63 op_sel_hi:[1,0,1]
	s_load_b32 s18, s[4:5], 0x4
	v_pk_fma_f16 v64, v85, v89, v64 op_sel:[0,1,0]
	v_pk_fma_f16 v65, v84, v89, v65 op_sel_hi:[1,0,1]
	v_pk_fma_f16 v62, v84, v89, v62 op_sel:[0,1,0]
	v_pk_fma_f16 v63, v85, v89, v63 op_sel_hi:[1,0,1]
	v_add_f32_e32 v66, v68, v66
	v_pk_fma_f16 v64, v91, v94, v64 op_sel:[0,1,0]
	v_pk_fma_f16 v65, v90, v94, v65 op_sel_hi:[1,0,1]
	v_pk_fma_f16 v62, v90, v94, v62 op_sel:[0,1,0]
	v_pk_fma_f16 v63, v91, v94, v63 op_sel_hi:[1,0,1]
	v_add_f32_e32 v71, v67, v66
	v_pk_fma_f16 v64, v93, v95, v64 op_sel:[0,1,0]
	v_pk_fma_f16 v65, v92, v95, v65 op_sel_hi:[1,0,1]
	v_pk_fma_f16 v62, v92, v95, v62 op_sel:[0,1,0]
	v_pk_fma_f16 v63, v93, v95, v63 op_sel_hi:[1,0,1]
	v_fmac_f32_e32 v71, v61, v69
	v_pk_fma_f16 v61, v103, v96, v64 op_sel:[0,1,0]
	v_pk_fma_f16 v64, v102, v96, v65 op_sel_hi:[1,0,1]
	v_pk_fma_f16 v62, v102, v96, v62 op_sel:[0,1,0]
	v_pk_fma_f16 v66, v103, v96, v63 op_sel_hi:[1,0,1]
	s_waitcnt lgkmcnt(0)
	s_lshl_b32 s18, s18, 7
	v_pk_fma_f16 v63, v105, v97, v61 op_sel:[0,1,0]
	v_pk_fma_f16 v65, v104, v97, v64 op_sel_hi:[1,0,1]
	v_pk_fma_f16 v64, v104, v97, v62 op_sel:[0,1,0]
	v_pk_fma_f16 v66, v105, v97, v66 op_sel_hi:[1,0,1]
	s_add_i32 s3, s18, s3
	s_delay_alu instid0(SALU_CYCLE_1)
	s_cmp_ge_i32 s3, s34
	s_cbranch_scc1 .LBB82_43
; %bb.42:                               ;   in Loop: Header=BB82_9 Depth=1
	v_dual_mov_b32 v68, v35 :: v_dual_mov_b32 v67, v36
	v_dual_mov_b32 v62, v70 :: v_dual_mov_b32 v61, v71
	s_branch .LBB82_9
.LBB82_43:
	v_mov_b32_e32 v3, v38
.LBB82_44:
	v_cmp_lt_i32_e32 vcc_lo, v77, v39
	s_cmp_lg_u64 s[24:25], 0
	s_cselect_b32 s3, -1, 0
	s_cmp_eq_u32 s14, 0
	v_cndmask_b32_e32 v2, v3, v77, vcc_lo
	v_cmp_lt_i32_e32 vcc_lo, v73, v39
	s_cselect_b32 s4, -1, 0
	s_delay_alu instid0(SALU_CYCLE_1) | instskip(SKIP_4) | instid1(VALU_DEP_2)
	s_and_b32 s3, s4, s3
	v_cndmask_b32_e32 v5, v3, v73, vcc_lo
	v_cmp_lt_i32_e32 vcc_lo, v74, v39
	v_cndmask_b32_e32 v7, v3, v74, vcc_lo
	v_cmp_lt_i32_e32 vcc_lo, v75, v39
	v_lshlrev_b32_e32 v7, 2, v7
	v_lshlrev_b32_e32 v2, 2, v2
	ds_bpermute_b32 v4, v2, v70
	ds_bpermute_b32 v2, v2, v71
	s_waitcnt lgkmcnt(1)
	v_dual_add_f32 v4, v70, v4 :: v_dual_lshlrev_b32 v5, 2, v5
	s_waitcnt lgkmcnt(0)
	v_add_f32_e32 v2, v71, v2
	ds_bpermute_b32 v6, v5, v4
	ds_bpermute_b32 v5, v5, v2
	s_waitcnt lgkmcnt(1)
	v_add_f32_e32 v4, v4, v6
	s_waitcnt lgkmcnt(0)
	v_add_f32_e32 v2, v2, v5
	ds_bpermute_b32 v5, v7, v4
	ds_bpermute_b32 v6, v7, v2
	v_cndmask_b32_e32 v7, v3, v75, vcc_lo
	v_cmp_lt_i32_e32 vcc_lo, v76, v39
	s_delay_alu instid0(VALU_DEP_2) | instskip(SKIP_3) | instid1(VALU_DEP_1)
	v_lshlrev_b32_e32 v7, 2, v7
	v_cndmask_b32_e32 v3, v3, v76, vcc_lo
	s_and_b32 vcc_lo, exec_lo, s3
	s_waitcnt lgkmcnt(1)
	v_dual_add_f32 v4, v4, v5 :: v_dual_lshlrev_b32 v3, 2, v3
	s_waitcnt lgkmcnt(0)
	v_add_f32_e32 v2, v2, v6
	ds_bpermute_b32 v5, v7, v4
	ds_bpermute_b32 v6, v7, v2
	s_waitcnt lgkmcnt(0)
	v_dual_add_f32 v4, v4, v5 :: v_dual_add_f32 v5, v2, v6
	ds_bpermute_b32 v2, v3, v4
	ds_bpermute_b32 v3, v3, v5
	s_waitcnt lgkmcnt(0)
	v_dual_add_f32 v2, v4, v2 :: v_dual_add_f32 v3, v5, v3
	s_cbranch_vccz .LBB82_47
; %bb.45:
	s_ashr_i32 s3, s2, 31
	v_mov_b32_e32 v4, 0
	s_lshl_b64 s[4:5], s[2:3], 2
	s_delay_alu instid0(SALU_CYCLE_1)
	s_add_u32 s4, s24, s4
	s_addc_u32 s5, s25, s5
	global_load_b64 v[4:5], v4, s[4:5]
	v_max_f32_e32 v6, v35, v35
	v_max_f32_e32 v8, v36, v36
	s_waitcnt vmcnt(0)
	v_max_f32_e32 v7, v4, v4
	s_delay_alu instid0(VALU_DEP_1) | instskip(NEXT) | instid1(VALU_DEP_1)
	v_dual_max_f32 v9, v5, v5 :: v_dual_max_f32 v6, v6, v7
	v_dual_max_f32 v7, v8, v9 :: v_dual_sub_f32 v8, v35, v6
	s_delay_alu instid0(VALU_DEP_1) | instskip(SKIP_2) | instid1(VALU_DEP_4)
	v_sub_f32_e32 v9, v36, v7
	v_dual_sub_f32 v5, v5, v7 :: v_dual_sub_f32 v4, v4, v6
	v_mov_b32_e32 v36, v7
	v_cmp_ngt_f32_e32 vcc_lo, 0xc2ce8ed0, v8
	s_delay_alu instid0(VALU_DEP_4) | instskip(NEXT) | instid1(VALU_DEP_4)
	v_mul_f32_e32 v12, 0x3fb8aa3b, v9
	v_mul_f32_e32 v13, 0x3fb8aa3b, v5
	;; [unrolled: 1-line block ×3, first 2 shown]
	v_mov_b32_e32 v35, v6
	s_delay_alu instid0(VALU_DEP_4) | instskip(NEXT) | instid1(VALU_DEP_4)
	v_fma_f32 v18, 0x3fb8aa3b, v9, -v12
	v_fma_f32 v20, 0x3fb8aa3b, v5, -v13
	s_delay_alu instid0(VALU_DEP_4)
	v_rndne_f32_e32 v17, v11
	v_mul_f32_e32 v10, 0x3fb8aa3b, v8
	v_fma_f32 v16, 0x3fb8aa3b, v4, -v11
	v_rndne_f32_e32 v21, v13
	v_fmac_f32_e32 v20, 0x32a5705f, v5
	v_sub_f32_e32 v11, v11, v17
	v_fma_f32 v14, 0x3fb8aa3b, v8, -v10
	v_rndne_f32_e32 v15, v10
	v_sub_f32_e32 v13, v13, v21
	v_fmac_f32_e32 v18, 0x32a5705f, v9
	v_fmac_f32_e32 v16, 0x32a5705f, v4
	;; [unrolled: 1-line block ×3, first 2 shown]
	s_delay_alu instid0(VALU_DEP_4) | instskip(SKIP_1) | instid1(VALU_DEP_2)
	v_dual_sub_f32 v10, v10, v15 :: v_dual_add_f32 v13, v13, v20
	v_rndne_f32_e32 v19, v12
	v_dual_add_f32 v11, v11, v16 :: v_dual_add_f32 v10, v10, v14
	s_delay_alu instid0(VALU_DEP_3)
	v_exp_f32_e32 v13, v13
	v_cvt_i32_f32_e32 v14, v15
	v_cvt_i32_f32_e32 v15, v17
	;; [unrolled: 1-line block ×3, first 2 shown]
	v_exp_f32_e32 v10, v10
	v_exp_f32_e32 v11, v11
	v_cvt_i32_f32_e32 v16, v19
	s_delay_alu instid0(TRANS32_DEP_3) | instid1(VALU_DEP_2)
	v_ldexp_f32 v13, v13, v17
	v_sub_f32_e32 v12, v12, v19
	s_waitcnt_depctr 0xfff
	v_ldexp_f32 v10, v10, v14
	v_ldexp_f32 v11, v11, v15
	v_add_f32_e32 v12, v12, v18
	s_delay_alu instid0(VALU_DEP_3) | instskip(SKIP_1) | instid1(VALU_DEP_3)
	v_cndmask_b32_e32 v10, 0, v10, vcc_lo
	v_cmp_ngt_f32_e32 vcc_lo, 0xc2ce8ed0, v4
	v_exp_f32_e32 v12, v12
	v_cndmask_b32_e32 v11, 0, v11, vcc_lo
	v_cmp_ngt_f32_e32 vcc_lo, 0xc2ce8ed0, v9
	s_waitcnt_depctr 0xfff
	v_ldexp_f32 v12, v12, v16
	s_delay_alu instid0(VALU_DEP_1)
	v_cndmask_b32_e32 v12, 0, v12, vcc_lo
	v_cmp_ngt_f32_e32 vcc_lo, 0xc2ce8ed0, v5
	v_cndmask_b32_e32 v13, 0, v13, vcc_lo
	v_cmp_nlt_f32_e32 vcc_lo, 0x42b17218, v8
	v_cndmask_b32_e32 v8, 0x7f800000, v10, vcc_lo
	v_cmp_nlt_f32_e32 vcc_lo, 0x42b17218, v4
	s_delay_alu instid0(VALU_DEP_2) | instskip(SKIP_2) | instid1(VALU_DEP_3)
	v_cvt_f16_f32_e32 v10, v8
	v_cndmask_b32_e32 v4, 0x7f800000, v11, vcc_lo
	v_cmp_nlt_f32_e32 vcc_lo, 0x42b17218, v9
	v_pk_mul_f16 v65, v10, v65 op_sel_hi:[0,1]
	s_delay_alu instid0(VALU_DEP_3) | instskip(SKIP_3) | instid1(VALU_DEP_4)
	v_fmac_f32_e32 v4, v2, v8
	v_cndmask_b32_e32 v9, 0x7f800000, v12, vcc_lo
	v_cmp_nlt_f32_e32 vcc_lo, 0x42b17218, v5
	v_pk_mul_f16 v66, v10, v66 op_sel_hi:[0,1]
	v_mov_b32_e32 v2, v4
	s_delay_alu instid0(VALU_DEP_4) | instskip(SKIP_1) | instid1(VALU_DEP_2)
	v_cvt_f16_f32_e32 v6, v9
	v_cndmask_b32_e32 v5, 0x7f800000, v13, vcc_lo
	v_pk_mul_f16 v64, v6, v64 op_sel_hi:[0,1]
	s_delay_alu instid0(VALU_DEP_2) | instskip(SKIP_1) | instid1(VALU_DEP_2)
	v_fmac_f32_e32 v5, v3, v9
	v_pk_mul_f16 v63, v6, v63 op_sel_hi:[0,1]
	v_mov_b32_e32 v3, v5
	s_mov_b32 s3, exec_lo
	v_cmpx_gt_i32_e64 s6, v1
	s_cbranch_execnz .LBB82_48
.LBB82_46:
	s_nop 0
	s_sendmsg sendmsg(MSG_DEALLOC_VGPRS)
	s_endpgm
.LBB82_47:
	s_delay_alu instid0(VALU_DEP_1)
	v_dual_mov_b32 v5, v3 :: v_dual_mov_b32 v4, v2
	s_mov_b32 s3, exec_lo
	v_cmpx_gt_i32_e64 s6, v1
	s_cbranch_execz .LBB82_46
.LBB82_48:
	s_load_b32 s1, s[0:1], 0xd4
	v_mov_b32_e32 v6, 1.0
	s_waitcnt lgkmcnt(0)
	s_cmp_lg_u32 s1, 1
	s_cselect_b32 s4, -1, 0
	s_cmp_eq_u32 s1, 1
	s_cselect_b32 s3, -1, 0
	s_and_b32 vcc_lo, exec_lo, s4
	s_cbranch_vccnz .LBB82_50
; %bb.49:
	v_div_scale_f32 v6, null, v2, v2, 1.0
	s_delay_alu instid0(VALU_DEP_1) | instskip(SKIP_2) | instid1(VALU_DEP_1)
	v_rcp_f32_e32 v7, v6
	s_waitcnt_depctr 0xfff
	v_fma_f32 v8, -v6, v7, 1.0
	v_fmac_f32_e32 v7, v8, v7
	v_div_scale_f32 v8, vcc_lo, 1.0, v2, 1.0
	s_delay_alu instid0(VALU_DEP_1) | instskip(NEXT) | instid1(VALU_DEP_1)
	v_mul_f32_e32 v9, v8, v7
	v_fma_f32 v10, -v6, v9, v8
	s_delay_alu instid0(VALU_DEP_1) | instskip(NEXT) | instid1(VALU_DEP_1)
	v_fmac_f32_e32 v9, v10, v7
	v_fma_f32 v6, -v6, v9, v8
	s_delay_alu instid0(VALU_DEP_1) | instskip(NEXT) | instid1(VALU_DEP_1)
	v_div_fmas_f32 v6, v6, v7, v9
	v_div_fixup_f32 v6, v6, v2, 1.0
.LBB82_50:
	v_mad_u64_u32 v[7:8], null, s12, s6, v[1:2]
	v_cmp_eq_u32_e32 vcc_lo, 0, v0
	v_lshrrev_b32_e32 v0, 16, v65
	v_cvt_f32_f16_e32 v10, v66
	s_delay_alu instid0(VALU_DEP_2) | instskip(SKIP_2) | instid1(VALU_DEP_2)
	v_cvt_f32_f16_e32 v0, v0
	v_mad_u64_u32 v[8:9], null, v7, s7, s[2:3]
	v_cvt_f32_f16_e32 v9, v65
	v_mad_u64_u32 v[1:2], null, s1, v8, s[14:15]
	v_mov_b32_e32 v8, 0
	v_lshrrev_b32_e32 v2, 16, v66
	s_delay_alu instid0(VALU_DEP_1) | instskip(NEXT) | instid1(VALU_DEP_4)
	v_cvt_f32_f16_e32 v2, v2
	v_lshl_add_u32 v7, v1, 7, v37
	s_delay_alu instid0(VALU_DEP_1)
	v_lshlrev_b64 v[11:12], 2, v[7:8]
	v_mul_f32_e32 v7, v6, v9
	v_mul_f32_e32 v9, v6, v10
	;; [unrolled: 1-line block ×4, first 2 shown]
	v_add_co_u32 v11, s0, s28, v11
	s_delay_alu instid0(VALU_DEP_1)
	v_add_co_ci_u32_e64 v12, s0, s29, v12, s0
	s_and_b32 s0, vcc_lo, s4
	global_store_b128 v[11:12], v[7:10], off
	s_and_saveexec_b32 s2, s0
	s_cbranch_execz .LBB82_52
; %bb.51:
	v_ashrrev_i32_e32 v2, 31, v1
	v_dual_mov_b32 v8, v35 :: v_dual_mov_b32 v9, v4
	s_delay_alu instid0(VALU_DEP_2) | instskip(NEXT) | instid1(VALU_DEP_1)
	v_lshlrev_b64 v[6:7], 3, v[1:2]
	v_add_co_u32 v6, vcc_lo, s30, v6
	s_delay_alu instid0(VALU_DEP_2)
	v_add_co_ci_u32_e32 v7, vcc_lo, s31, v7, vcc_lo
	global_store_b64 v[6:7], v[8:9], off
.LBB82_52:
	s_or_b32 exec_lo, exec_lo, s2
	v_mov_b32_e32 v2, 1.0
	s_and_not1_b32 vcc_lo, exec_lo, s3
	s_cbranch_vccnz .LBB82_54
; %bb.53:
	v_div_scale_f32 v0, null, v3, v3, 1.0
	s_delay_alu instid0(VALU_DEP_1) | instskip(SKIP_2) | instid1(VALU_DEP_1)
	v_rcp_f32_e32 v2, v0
	s_waitcnt_depctr 0xfff
	v_fma_f32 v4, -v0, v2, 1.0
	v_fmac_f32_e32 v2, v4, v2
	v_div_scale_f32 v4, vcc_lo, 1.0, v3, 1.0
	s_delay_alu instid0(VALU_DEP_1) | instskip(NEXT) | instid1(VALU_DEP_1)
	v_mul_f32_e32 v6, v4, v2
	v_fma_f32 v7, -v0, v6, v4
	s_delay_alu instid0(VALU_DEP_1) | instskip(NEXT) | instid1(VALU_DEP_1)
	v_fmac_f32_e32 v6, v7, v2
	v_fma_f32 v0, -v0, v6, v4
	s_delay_alu instid0(VALU_DEP_1) | instskip(NEXT) | instid1(VALU_DEP_1)
	v_div_fmas_f32 v0, v0, v2, v6
	v_div_fixup_f32 v2, v0, v3, 1.0
.LBB82_54:
	v_add_nc_u32_e32 v0, s1, v1
	v_lshrrev_b32_e32 v1, 16, v64
	v_lshrrev_b32_e32 v6, 16, v63
	v_cvt_f32_f16_e32 v7, v64
	v_cvt_f32_f16_e32 v8, v63
	v_lshl_add_u32 v3, v0, 7, v37
	v_cvt_f32_f16_e32 v1, v1
	v_mov_b32_e32 v4, 0
	v_cvt_f32_f16_e32 v9, v6
	v_mul_f32_e32 v6, v2, v7
	v_mul_f32_e32 v8, v2, v8
	;; [unrolled: 1-line block ×3, first 2 shown]
	v_lshlrev_b64 v[3:4], 2, v[3:4]
	v_mul_f32_e32 v9, v2, v9
	s_delay_alu instid0(VALU_DEP_2) | instskip(NEXT) | instid1(VALU_DEP_3)
	v_add_co_u32 v1, vcc_lo, s28, v3
	v_add_co_ci_u32_e32 v2, vcc_lo, s29, v4, vcc_lo
	global_store_b128 v[1:2], v[6:9], off
	s_and_b32 exec_lo, exec_lo, s0
	s_cbranch_execz .LBB82_46
; %bb.55:
	v_ashrrev_i32_e32 v1, 31, v0
	v_mov_b32_e32 v4, v36
	s_delay_alu instid0(VALU_DEP_2) | instskip(NEXT) | instid1(VALU_DEP_1)
	v_lshlrev_b64 v[0:1], 3, v[0:1]
	v_add_co_u32 v0, vcc_lo, s30, v0
	s_delay_alu instid0(VALU_DEP_2)
	v_add_co_ci_u32_e32 v1, vcc_lo, s31, v1, vcc_lo
	global_store_b64 v[0:1], v[4:5], off
	s_nop 0
	s_sendmsg sendmsg(MSG_DEALLOC_VGPRS)
	s_endpgm
	.section	.rodata,"a",@progbits
	.p2align	6, 0x0
	.amdhsa_kernel _ZL15flash_attn_tileILi128ELi128ELi8ELi2ELb1EEvPKcS1_S1_S1_S1_PKiPfP15HIP_vector_typeIfLj2EEffffjfiS5_IjLj3EEiiiiiiiiiiiliiliiiiil
		.amdhsa_group_segment_fixed_size 43008
		.amdhsa_private_segment_fixed_size 0
		.amdhsa_kernarg_size 464
		.amdhsa_user_sgpr_count 13
		.amdhsa_user_sgpr_dispatch_ptr 0
		.amdhsa_user_sgpr_queue_ptr 0
		.amdhsa_user_sgpr_kernarg_segment_ptr 1
		.amdhsa_user_sgpr_dispatch_id 0
		.amdhsa_user_sgpr_private_segment_size 0
		.amdhsa_wavefront_size32 1
		.amdhsa_uses_dynamic_stack 0
		.amdhsa_enable_private_segment 0
		.amdhsa_system_sgpr_workgroup_id_x 1
		.amdhsa_system_sgpr_workgroup_id_y 1
		.amdhsa_system_sgpr_workgroup_id_z 1
		.amdhsa_system_sgpr_workgroup_info 0
		.amdhsa_system_vgpr_workitem_id 1
		.amdhsa_next_free_vgpr 136
		.amdhsa_next_free_sgpr 40
		.amdhsa_reserve_vcc 1
		.amdhsa_float_round_mode_32 0
		.amdhsa_float_round_mode_16_64 0
		.amdhsa_float_denorm_mode_32 3
		.amdhsa_float_denorm_mode_16_64 3
		.amdhsa_dx10_clamp 1
		.amdhsa_ieee_mode 1
		.amdhsa_fp16_overflow 0
		.amdhsa_workgroup_processor_mode 1
		.amdhsa_memory_ordered 1
		.amdhsa_forward_progress 0
		.amdhsa_shared_vgpr_count 0
		.amdhsa_exception_fp_ieee_invalid_op 0
		.amdhsa_exception_fp_denorm_src 0
		.amdhsa_exception_fp_ieee_div_zero 0
		.amdhsa_exception_fp_ieee_overflow 0
		.amdhsa_exception_fp_ieee_underflow 0
		.amdhsa_exception_fp_ieee_inexact 0
		.amdhsa_exception_int_div_zero 0
	.end_amdhsa_kernel
	.section	.text._ZL15flash_attn_tileILi128ELi128ELi8ELi2ELb1EEvPKcS1_S1_S1_S1_PKiPfP15HIP_vector_typeIfLj2EEffffjfiS5_IjLj3EEiiiiiiiiiiiliiliiiiil,"axG",@progbits,_ZL15flash_attn_tileILi128ELi128ELi8ELi2ELb1EEvPKcS1_S1_S1_S1_PKiPfP15HIP_vector_typeIfLj2EEffffjfiS5_IjLj3EEiiiiiiiiiiiliiliiiiil,comdat
.Lfunc_end82:
	.size	_ZL15flash_attn_tileILi128ELi128ELi8ELi2ELb1EEvPKcS1_S1_S1_S1_PKiPfP15HIP_vector_typeIfLj2EEffffjfiS5_IjLj3EEiiiiiiiiiiiliiliiiiil, .Lfunc_end82-_ZL15flash_attn_tileILi128ELi128ELi8ELi2ELb1EEvPKcS1_S1_S1_S1_PKiPfP15HIP_vector_typeIfLj2EEffffjfiS5_IjLj3EEiiiiiiiiiiiliiliiiiil
                                        ; -- End function
	.section	.AMDGPU.csdata,"",@progbits
; Kernel info:
; codeLenInByte = 24632
; NumSgprs: 42
; NumVgprs: 136
; ScratchSize: 0
; MemoryBound: 0
; FloatMode: 240
; IeeeMode: 1
; LDSByteSize: 43008 bytes/workgroup (compile time only)
; SGPRBlocks: 5
; VGPRBlocks: 16
; NumSGPRsForWavesPerEU: 42
; NumVGPRsForWavesPerEU: 136
; Occupancy: 6
; WaveLimiterHint : 1
; COMPUTE_PGM_RSRC2:SCRATCH_EN: 0
; COMPUTE_PGM_RSRC2:USER_SGPR: 13
; COMPUTE_PGM_RSRC2:TRAP_HANDLER: 0
; COMPUTE_PGM_RSRC2:TGID_X_EN: 1
; COMPUTE_PGM_RSRC2:TGID_Y_EN: 1
; COMPUTE_PGM_RSRC2:TGID_Z_EN: 1
; COMPUTE_PGM_RSRC2:TIDIG_COMP_CNT: 1
	.section	.text._ZL15flash_attn_tileILi128ELi128ELi4ELi2ELb1EEvPKcS1_S1_S1_S1_PKiPfP15HIP_vector_typeIfLj2EEffffjfiS5_IjLj3EEiiiiiiiiiiiliiliiiiil,"axG",@progbits,_ZL15flash_attn_tileILi128ELi128ELi4ELi2ELb1EEvPKcS1_S1_S1_S1_PKiPfP15HIP_vector_typeIfLj2EEffffjfiS5_IjLj3EEiiiiiiiiiiiliiliiiiil,comdat
	.globl	_ZL15flash_attn_tileILi128ELi128ELi4ELi2ELb1EEvPKcS1_S1_S1_S1_PKiPfP15HIP_vector_typeIfLj2EEffffjfiS5_IjLj3EEiiiiiiiiiiiliiliiiiil ; -- Begin function _ZL15flash_attn_tileILi128ELi128ELi4ELi2ELb1EEvPKcS1_S1_S1_S1_PKiPfP15HIP_vector_typeIfLj2EEffffjfiS5_IjLj3EEiiiiiiiiiiiliiliiiiil
	.p2align	8
	.type	_ZL15flash_attn_tileILi128ELi128ELi4ELi2ELb1EEvPKcS1_S1_S1_S1_PKiPfP15HIP_vector_typeIfLj2EEffffjfiS5_IjLj3EEiiiiiiiiiiiliiliiiiil,@function
_ZL15flash_attn_tileILi128ELi128ELi4ELi2ELb1EEvPKcS1_S1_S1_S1_PKiPfP15HIP_vector_typeIfLj2EEffffjfiS5_IjLj3EEiiiiiiiiiiiliiliiiiil: ; @_ZL15flash_attn_tileILi128ELi128ELi4ELi2ELb1EEvPKcS1_S1_S1_S1_PKiPfP15HIP_vector_typeIfLj2EEffffjfiS5_IjLj3EEiiiiiiiiiiiliiliiiiil
; %bb.0:
	s_clause 0x3
	s_load_b128 s[4:7], s[0:1], 0x5c
	s_load_b64 s[34:35], s[0:1], 0x80
	s_load_b512 s[16:31], s[0:1], 0x0
	s_load_b64 s[38:39], s[0:1], 0xb8
	s_mov_b64 s[36:37], 0
	s_waitcnt lgkmcnt(0)
	s_lshr_b32 s2, s7, 31
	s_delay_alu instid0(SALU_CYCLE_1) | instskip(NEXT) | instid1(SALU_CYCLE_1)
	s_add_i32 s2, s7, s2
	s_ashr_i32 s2, s2, 1
	s_delay_alu instid0(SALU_CYCLE_1) | instskip(SKIP_1) | instid1(VALU_DEP_1)
	v_cvt_f32_u32_e32 v1, s2
	s_sub_i32 s8, 0, s2
	v_rcp_iflag_f32_e32 v1, v1
	s_waitcnt_depctr 0xfff
	v_mul_f32_e32 v1, 0x4f7ffffe, v1
	s_delay_alu instid0(VALU_DEP_1) | instskip(NEXT) | instid1(VALU_DEP_1)
	v_cvt_u32_f32_e32 v1, v1
	v_readfirstlane_b32 s3, v1
	s_delay_alu instid0(VALU_DEP_1) | instskip(NEXT) | instid1(SALU_CYCLE_1)
	s_mul_i32 s8, s8, s3
	s_mul_hi_u32 s8, s3, s8
	s_delay_alu instid0(SALU_CYCLE_1) | instskip(NEXT) | instid1(SALU_CYCLE_1)
	s_add_i32 s3, s3, s8
	s_mul_hi_u32 s3, s15, s3
	s_delay_alu instid0(SALU_CYCLE_1) | instskip(SKIP_2) | instid1(SALU_CYCLE_1)
	s_mul_i32 s8, s3, s2
	s_add_i32 s9, s3, 1
	s_sub_i32 s8, s15, s8
	s_sub_i32 s10, s8, s2
	s_cmp_ge_u32 s8, s2
	s_cselect_b32 s3, s9, s3
	s_cselect_b32 s8, s10, s8
	s_add_i32 s9, s3, 1
	s_cmp_ge_u32 s8, s2
	s_cselect_b32 s12, s9, s3
	s_abs_i32 s3, s35
	s_abs_i32 s11, s7
	v_cvt_f32_u32_e32 v1, s3
	s_sub_i32 s8, 0, s3
	s_lshl_b32 s9, s15, 1
	s_mul_i32 s10, s12, s7
	s_delay_alu instid0(VALU_DEP_1) | instskip(SKIP_2) | instid1(VALU_DEP_1)
	v_rcp_iflag_f32_e32 v1, v1
	s_waitcnt_depctr 0xfff
	v_mul_f32_e32 v1, 0x4f7ffffe, v1
	v_cvt_u32_f32_e32 v1, v1
	s_delay_alu instid0(VALU_DEP_1) | instskip(NEXT) | instid1(VALU_DEP_1)
	v_readfirstlane_b32 s2, v1
	s_mul_i32 s8, s8, s2
	s_delay_alu instid0(SALU_CYCLE_1) | instskip(NEXT) | instid1(SALU_CYCLE_1)
	s_mul_hi_u32 s8, s2, s8
	s_add_i32 s8, s2, s8
	s_sub_i32 s2, s9, s10
	s_mul_hi_u32 s8, s11, s8
	s_xor_b32 s9, s7, s35
	s_mul_i32 s10, s8, s3
	s_ashr_i32 s9, s9, 31
	s_sub_i32 s10, s11, s10
	s_add_i32 s11, s8, 1
	s_sub_i32 s15, s10, s3
	s_cmp_ge_u32 s10, s3
	s_cselect_b32 s8, s11, s8
	s_cselect_b32 s10, s15, s10
	s_add_i32 s11, s8, 1
	s_cmp_ge_u32 s10, s3
	s_cselect_b32 s3, s11, s8
	s_delay_alu instid0(SALU_CYCLE_1) | instskip(NEXT) | instid1(SALU_CYCLE_1)
	s_xor_b32 s3, s3, s9
	s_sub_i32 s33, s3, s9
	s_delay_alu instid0(SALU_CYCLE_1) | instskip(SKIP_2) | instid1(VALU_DEP_1)
	s_abs_i32 s15, s33
	s_cmp_eq_u64 s[22:23], 0
	v_cvt_f32_u32_e32 v1, s15
	v_rcp_iflag_f32_e32 v1, v1
	s_waitcnt_depctr 0xfff
	v_mul_f32_e32 v1, 0x4f7ffffe, v1
	s_delay_alu instid0(VALU_DEP_1) | instskip(NEXT) | instid1(VALU_DEP_1)
	v_cvt_u32_f32_e32 v1, v1
	v_readfirstlane_b32 s35, v1
	s_cbranch_scc1 .LBB83_2
; %bb.1:
	s_abs_i32 s3, s38
	s_abs_i32 s10, s12
	v_cvt_f32_u32_e32 v1, s3
	s_sub_i32 s9, 0, s3
	s_delay_alu instid0(VALU_DEP_1) | instskip(SKIP_2) | instid1(VALU_DEP_1)
	v_rcp_iflag_f32_e32 v1, v1
	s_waitcnt_depctr 0xfff
	v_mul_f32_e32 v1, 0x4f7ffffe, v1
	v_cvt_u32_f32_e32 v1, v1
	s_delay_alu instid0(VALU_DEP_1) | instskip(NEXT) | instid1(VALU_DEP_1)
	v_readfirstlane_b32 s8, v1
	s_mul_i32 s9, s9, s8
	s_delay_alu instid0(SALU_CYCLE_1) | instskip(NEXT) | instid1(SALU_CYCLE_1)
	s_mul_hi_u32 s9, s8, s9
	s_add_i32 s11, s8, s9
	s_load_b64 s[8:9], s[0:1], 0xc8
	s_mul_hi_u32 s11, s10, s11
	s_delay_alu instid0(SALU_CYCLE_1) | instskip(NEXT) | instid1(SALU_CYCLE_1)
	s_mul_i32 s11, s11, s3
	s_sub_i32 s10, s10, s11
	s_ashr_i32 s11, s12, 31
	s_sub_i32 s36, s10, s3
	s_cmp_ge_u32 s10, s3
	s_cselect_b32 s10, s36, s10
	s_delay_alu instid0(SALU_CYCLE_1) | instskip(SKIP_2) | instid1(SALU_CYCLE_1)
	s_sub_i32 s36, s10, s3
	s_cmp_ge_u32 s10, s3
	s_cselect_b32 s3, s36, s10
	s_xor_b32 s3, s3, s11
	s_delay_alu instid0(SALU_CYCLE_1)
	s_sub_i32 s3, s3, s11
	s_waitcnt lgkmcnt(0)
	s_mul_i32 s9, s3, s9
	s_mul_hi_u32 s10, s3, s8
	s_ashr_i32 s11, s3, 31
	s_add_i32 s9, s10, s9
	s_mul_i32 s11, s11, s8
	s_mul_i32 s3, s3, s8
	s_add_i32 s9, s9, s11
	s_add_u32 s36, s22, s3
	s_addc_u32 s37, s23, s9
.LBB83_2:
	v_bfe_u32 v1, v0, 10, 10
	s_load_b128 s[8:11], s[0:1], 0x70
	v_and_b32_e32 v17, 0x3ff, v0
	s_delay_alu instid0(VALU_DEP_2) | instskip(NEXT) | instid1(VALU_DEP_2)
	v_lshl_add_u32 v16, s13, 2, v1
	v_lshlrev_b32_e32 v0, 4, v17
	v_lshlrev_b32_e32 v11, 1, v17
	s_delay_alu instid0(VALU_DEP_3) | instskip(NEXT) | instid1(VALU_DEP_1)
	v_mul_hi_u32 v2, s4, v16
	v_add_nc_u32_e32 v2, v16, v2
	s_waitcnt lgkmcnt(0)
	s_mul_i32 s3, s12, s10
	s_mul_i32 s4, s2, s9
	s_delay_alu instid0(VALU_DEP_1)
	v_lshrrev_b32_e32 v2, s5, v2
	s_ashr_i32 s5, s3, 31
	s_add_u32 s3, s16, s3
	s_addc_u32 s5, s17, s5
	s_ashr_i32 s10, s4, 31
	v_mul_lo_u32 v2, v2, s6
	s_add_u32 s3, s3, s4
	s_addc_u32 s4, s5, s10
	s_ashr_i32 s5, s8, 31
	s_delay_alu instid0(SALU_CYCLE_1) | instskip(SKIP_1) | instid1(VALU_DEP_2)
	v_alignbit_b32 v5, s5, s8, 2
	s_lshr_b32 s5, s5, 2
	v_sub_nc_u32_e32 v2, v16, v2
	s_delay_alu instid0(VALU_DEP_1) | instskip(NEXT) | instid1(VALU_DEP_1)
	v_mad_u64_u32 v[3:4], null, v5, v2, 0
	v_mad_u64_u32 v[5:6], null, s5, v2, v[4:5]
	s_delay_alu instid0(VALU_DEP_1) | instskip(NEXT) | instid1(VALU_DEP_1)
	v_mov_b32_e32 v4, v5
	v_lshlrev_b64 v[3:4], 2, v[3:4]
	s_delay_alu instid0(VALU_DEP_1) | instskip(NEXT) | instid1(VALU_DEP_2)
	v_add_co_u32 v3, vcc_lo, s3, v3
	v_add_co_ci_u32_e32 v4, vcc_lo, s4, v4, vcc_lo
	s_and_b32 s4, s9, -4
	s_delay_alu instid0(VALU_DEP_2) | instskip(NEXT) | instid1(VALU_DEP_2)
	v_add_co_u32 v3, vcc_lo, v3, v0
	v_add_co_ci_u32_e32 v4, vcc_lo, 0, v4, vcc_lo
	s_ashr_i32 s3, s9, 31
	s_delay_alu instid0(VALU_DEP_2) | instskip(NEXT) | instid1(VALU_DEP_2)
	v_add_co_u32 v7, vcc_lo, v3, s4
	v_add_co_ci_u32_e32 v8, vcc_lo, s3, v4, vcc_lo
	s_load_b32 s3, s[0:1], 0x40
	v_lshlrev_b32_e32 v0, 7, v1
	s_clause 0x1
	global_load_b128 v[3:6], v[3:4], off
	global_load_b128 v[7:10], v[7:8], off
	s_cmp_eq_u64 s[26:27], 0
	v_add_lshl_u32 v0, v11, v0, 2
	s_delay_alu instid0(VALU_DEP_1)
	v_add_nc_u32_e32 v0, 0x2000, v0
	s_waitcnt vmcnt(1) lgkmcnt(0)
	v_fma_mixlo_f16 v12, v5, s3, 0
	v_fma_mixlo_f16 v11, v3, s3, 0
	s_waitcnt vmcnt(0)
	v_fma_mixlo_f16 v14, v9, s3, 0
	v_fma_mixlo_f16 v13, v7, s3, 0
	v_fma_mixhi_f16 v12, v6, s3, 0
	v_fma_mixhi_f16 v11, v4, s3, 0
	s_delay_alu instid0(VALU_DEP_4) | instskip(NEXT) | instid1(VALU_DEP_4)
	v_fma_mixhi_f16 v14, v10, s3, 0
	v_fma_mixhi_f16 v13, v8, s3, 0
	ds_store_2addr_b64 v0, v[11:12], v[13:14] offset0:128 offset1:160
	s_waitcnt lgkmcnt(0)
	s_barrier
	buffer_gl0_inv
	s_cbranch_scc1 .LBB83_4
; %bb.3:
	s_load_b32 s3, s[0:1], 0xd0
	s_mov_b32 s5, 0
	s_waitcnt lgkmcnt(0)
	s_mul_i32 s3, s3, s12
	s_delay_alu instid0(SALU_CYCLE_1) | instskip(NEXT) | instid1(SALU_CYCLE_1)
	s_add_i32 s4, s3, s13
	s_lshl_b64 s[4:5], s[4:5], 2
	s_delay_alu instid0(SALU_CYCLE_1)
	s_add_u32 s4, s26, s4
	s_addc_u32 s5, s27, s5
	s_load_b32 s34, s[4:5], 0x0
.LBB83_4:
	v_mbcnt_lo_u32_b32 v38, -1, 0
	s_lshl_b32 s3, s14, 6
	s_waitcnt lgkmcnt(0)
	s_cmp_lt_i32 s3, s34
	s_cbranch_scc1 .LBB83_6
; %bb.5:
	v_mbcnt_lo_u32_b32 v0, -1, 0
	v_mov_b32_e32 v39, 32
	s_mov_b32 s4, 0
	s_mov_b32 s5, 0xfeffffff
	s_delay_alu instid0(VALU_DEP_2)
	v_xor_b32_e32 v66, 16, v0
	v_xor_b32_e32 v62, 8, v0
	;; [unrolled: 1-line block ×5, first 2 shown]
	s_branch .LBB83_7
.LBB83_6:
	s_mov_b32 s4, -1
                                        ; implicit-def: $sgpr5
                                        ; implicit-def: $vgpr0
                                        ; implicit-def: $vgpr39
                                        ; implicit-def: $vgpr66
                                        ; implicit-def: $vgpr62
                                        ; implicit-def: $vgpr63
                                        ; implicit-def: $vgpr64
                                        ; implicit-def: $vgpr65
.LBB83_7:
	s_delay_alu instid0(SALU_CYCLE_1) | instskip(SKIP_2) | instid1(VALU_DEP_3)
	v_cndmask_b32_e64 v3, 0, 1, s4
	v_dual_mov_b32 v36, s5 :: v_dual_lshlrev_b32 v37, 2, v17
	v_dual_mov_b32 v4, s4 :: v_dual_mov_b32 v35, s5
	v_cmp_ne_u32_e32 vcc_lo, 1, v3
	v_dual_mov_b32 v58, s4 :: v_dual_mov_b32 v3, s4
	v_dual_mov_b32 v59, s4 :: v_dual_mov_b32 v54, s4
	v_mov_b32_e32 v57, s4
	s_cbranch_vccnz .LBB83_28
; %bb.8:
	s_clause 0x1
	s_load_b128 s[8:11], s[0:1], 0x98
	s_load_b64 s[4:5], s[0:1], 0x8c
	s_sub_i32 s13, 0, s15
	s_abs_i32 s22, s2
	s_mul_i32 s13, s13, s35
	s_ashr_i32 s26, s33, 31
	s_mul_hi_u32 s13, s35, s13
	s_ashr_i32 s27, s39, 1
	s_add_i32 s35, s35, s13
	s_ashr_i32 s23, s2, 31
	s_mul_hi_u32 s33, s22, s35
	s_ashr_i32 s35, s12, 31
	s_load_b64 s[16:17], s[0:1], 0xa8
	s_mul_i32 s38, s33, s15
	v_lshrrev_b32_e32 v0, 3, v17
	v_dual_mov_b32 v54, 0 :: v_dual_and_b32 v15, 28, v37
	v_lshrrev_b32_e32 v6, 4, v17
	v_mov_b32_e32 v39, 32
	s_delay_alu instid0(VALU_DEP_4)
	v_lshl_add_u32 v0, v1, 2, v0
	s_waitcnt lgkmcnt(0)
	s_mul_i32 s39, s35, s8
	s_ashr_i32 s13, s4, 2
	s_mul_i32 s4, s12, s9
	s_mul_hi_u32 s9, s12, s8
	s_mul_i32 s8, s12, s8
	s_add_i32 s4, s9, s4
	s_ashr_i32 s10, s10, 2
	s_add_i32 s4, s4, s39
	s_add_u32 s9, s18, s8
	s_addc_u32 s4, s19, s4
	s_sub_i32 s8, s22, s38
	s_xor_b32 s18, s23, s26
	s_add_i32 s19, s33, 1
	s_sub_i32 s22, s8, s15
	s_cmp_ge_u32 s8, s15
	v_mul_lo_u32 v3, s13, v0
	s_cselect_b32 s19, s19, s33
	s_cselect_b32 s8, s22, s8
	s_add_i32 s22, s19, 1
	s_cmp_ge_u32 s8, s15
	s_load_b32 s8, s[0:1], 0x54
	s_cselect_b32 s15, s22, s19
	s_mul_i32 s17, s12, s17
	s_xor_b32 s15, s15, s18
	s_mul_hi_u32 s19, s12, s16
	s_sub_i32 s18, s15, s18
	s_mul_i32 s35, s35, s16
	s_mul_i32 s5, s18, s5
	;; [unrolled: 1-line block ×3, first 2 shown]
	s_ashr_i32 s15, s5, 31
	s_add_u32 s9, s9, s5
	s_addc_u32 s15, s4, s15
	s_add_i32 s4, s19, s17
	s_mul_i32 s5, s12, s16
	s_add_i32 s4, s4, s35
	s_add_u32 s5, s20, s5
	s_addc_u32 s4, s21, s4
	s_ashr_i32 s16, s18, 31
	s_add_u32 s11, s5, s18
	s_addc_u32 s16, s4, s16
	s_lshl_b32 s4, s13, 4
	v_lshlrev_b32_e32 v4, 2, v15
	v_lshl_add_u32 v12, v1, 1, v6
	v_dual_mov_b32 v60, 0xfeffffff :: v_dual_add_nc_u32 v5, s4, v3
	v_and_b32_e32 v29, 60, v37
	s_delay_alu instid0(VALU_DEP_4) | instskip(NEXT) | instid1(VALU_DEP_4)
	v_mad_u32_u24 v40, 0x90, v0, v4
	v_mul_lo_u32 v0, s10, v12
	s_delay_alu instid0(VALU_DEP_4) | instskip(NEXT) | instid1(VALU_DEP_4)
	v_dual_mov_b32 v56, 0 :: v_dual_add_nc_u32 v7, s4, v5
	v_lshlrev_b32_e32 v13, 2, v29
	v_ashrrev_i32_e32 v4, 31, v3
	v_ashrrev_i32_e32 v6, 31, v5
	s_delay_alu instid0(VALU_DEP_4)
	v_add_nc_u32_e32 v9, s4, v7
	s_lshl_b32 s4, s10, 3
	v_lshl_or_b32 v46, v12, 8, v13
	v_add_nc_u32_e32 v11, s4, v0
	v_ashrrev_i32_e32 v8, 31, v7
	v_ashrrev_i32_e32 v10, 31, v9
	v_lshl_add_u32 v45, v1, 9, 0x2400
	v_lshl_add_u32 v47, v1, 8, 0x2c00
	v_add_nc_u32_e32 v13, s4, v11
	v_ashrrev_i32_e32 v1, 31, v0
	v_ashrrev_i32_e32 v12, 31, v11
	v_mad_u64_u32 v[18:19], null, v2, s27, v[17:18]
	s_delay_alu instid0(VALU_DEP_4)
	v_add_nc_u32_e32 v33, s4, v13
	v_ashrrev_i32_e32 v14, 31, v13
	v_lshlrev_b64 v[19:20], 2, v[3:4]
	v_lshlrev_b64 v[21:22], 2, v[5:6]
	;; [unrolled: 1-line block ×3, first 2 shown]
	v_ashrrev_i32_e32 v34, 31, v33
	v_lshlrev_b64 v[25:26], 2, v[9:10]
	v_lshlrev_b64 v[27:28], 2, v[0:1]
	v_lshlrev_b32_e32 v53, 2, v29
	v_lshlrev_b64 v[29:30], 2, v[11:12]
	v_lshlrev_b64 v[31:32], 2, v[13:14]
	;; [unrolled: 1-line block ×3, first 2 shown]
	v_dual_mov_b32 v58, 0 :: v_dual_add_nc_u32 v41, 0x900, v40
	v_dual_mov_b32 v57, 0 :: v_dual_add_nc_u32 v42, 0x1200, v40
	v_add_nc_u32_e32 v43, 0x1b00, v40
	v_mul_u32_u24_e32 v44, 0x90, v17
	v_dual_mov_b32 v59, 0 :: v_dual_add_nc_u32 v48, 0x800, v46
	v_add_nc_u32_e32 v49, 0x1000, v46
	v_dual_mov_b32 v55, 0 :: v_dual_add_nc_u32 v50, 0x1800, v46
	v_lshlrev_b32_e32 v51, 3, v17
	v_dual_mov_b32 v61, 0xfeffffff :: v_dual_lshlrev_b32 v52, 2, v15
	s_add_u32 s4, s0, 0xd0
	s_addc_u32 s5, s1, 0
	s_mov_b32 s17, 0xbbbac73d
.LBB83_9:                               ; =>This Inner Loop Header: Depth=1
	s_mul_hi_i32 s19, s3, s13
	s_mul_i32 s18, s3, s13
	v_mov_b32_e32 v35, 0
	s_lshl_b64 s[18:19], s[18:19], 2
	v_mov_b32_e32 v36, 0
	s_add_u32 s18, s9, s18
	s_addc_u32 s19, s15, s19
	v_add_co_u32 v0, vcc_lo, s18, v19
	v_add_co_ci_u32_e32 v1, vcc_lo, s19, v20, vcc_lo
	v_add_co_u32 v2, vcc_lo, s18, v21
	v_add_co_ci_u32_e32 v3, vcc_lo, s19, v22, vcc_lo
	s_delay_alu instid0(VALU_DEP_4) | instskip(NEXT) | instid1(VALU_DEP_4)
	v_add_co_u32 v0, vcc_lo, v0, v52
	v_add_co_ci_u32_e32 v1, vcc_lo, 0, v1, vcc_lo
	s_delay_alu instid0(VALU_DEP_4) | instskip(NEXT) | instid1(VALU_DEP_4)
	v_add_co_u32 v2, vcc_lo, v2, v52
	v_add_co_ci_u32_e32 v3, vcc_lo, 0, v3, vcc_lo
	v_add_co_u32 v4, vcc_lo, s18, v23
	v_add_co_ci_u32_e32 v5, vcc_lo, s19, v24, vcc_lo
	;; [unrolled: 2-line block ×3, first 2 shown]
	s_delay_alu instid0(VALU_DEP_4) | instskip(NEXT) | instid1(VALU_DEP_4)
	v_add_co_u32 v4, vcc_lo, v4, v52
	v_add_co_ci_u32_e32 v5, vcc_lo, 0, v5, vcc_lo
	s_delay_alu instid0(VALU_DEP_4) | instskip(NEXT) | instid1(VALU_DEP_4)
	v_add_co_u32 v6, vcc_lo, v6, v52
	v_add_co_ci_u32_e32 v7, vcc_lo, 0, v7, vcc_lo
	s_clause 0x3
	global_load_b128 v[8:11], v[0:1], off
	global_load_b128 v[12:15], v[2:3], off
	;; [unrolled: 1-line block ×4, first 2 shown]
	s_waitcnt vmcnt(3)
	ds_store_b128 v40, v[8:11]
	s_waitcnt vmcnt(2)
	ds_store_b128 v41, v[12:15]
	;; [unrolled: 2-line block ×4, first 2 shown]
	s_waitcnt lgkmcnt(0)
	s_barrier
	buffer_gl0_inv
	ds_load_b128 v[10:13], v44
	ds_load_b128 v[62:65], v45
	ds_load_b128 v[66:69], v45 offset:256
	ds_load_b128 v[70:73], v44 offset:4608
	v_dual_mov_b32 v8, 0 :: v_dual_mov_b32 v9, 0
	s_waitcnt lgkmcnt(2)
	;;#ASMSTART
	v_dot2_f32_f16 v8, v10, v62, v8
	;;#ASMEND
	;;#ASMSTART
	v_dot2_f32_f16 v8, v11, v63, v8
	;;#ASMEND
	;;#ASMSTART
	v_dot2_f32_f16 v8, v12, v64, v8
	;;#ASMEND
	;;#ASMSTART
	v_dot2_f32_f16 v8, v13, v65, v8
	;;#ASMEND
	s_waitcnt lgkmcnt(1)
	;;#ASMSTART
	v_dot2_f32_f16 v35, v10, v66, v35
	;;#ASMEND
	;;#ASMSTART
	v_dot2_f32_f16 v35, v11, v67, v35
	;;#ASMEND
	;;#ASMSTART
	v_dot2_f32_f16 v35, v12, v68, v35
	;;#ASMEND
	;;#ASMSTART
	v_dot2_f32_f16 v35, v13, v69, v35
	;;#ASMEND
	s_waitcnt lgkmcnt(0)
	;;#ASMSTART
	v_dot2_f32_f16 v9, v70, v62, v9
	;;#ASMEND
	;;#ASMSTART
	v_dot2_f32_f16 v9, v71, v63, v9
	;;#ASMEND
	;;#ASMSTART
	v_dot2_f32_f16 v9, v72, v64, v9
	;;#ASMEND
	;;#ASMSTART
	v_dot2_f32_f16 v9, v73, v65, v9
	;;#ASMEND
	;;#ASMSTART
	v_dot2_f32_f16 v36, v70, v66, v36
	;;#ASMEND
	;;#ASMSTART
	v_dot2_f32_f16 v36, v71, v67, v36
	;;#ASMEND
	;;#ASMSTART
	v_dot2_f32_f16 v36, v72, v68, v36
	;;#ASMEND
	;;#ASMSTART
	v_dot2_f32_f16 v36, v73, v69, v36
	;;#ASMEND
	ds_load_b128 v[10:13], v44 offset:16
	ds_load_b128 v[62:65], v45 offset:16
	ds_load_b128 v[66:69], v45 offset:272
	ds_load_b128 v[70:73], v44 offset:4624
	s_waitcnt lgkmcnt(2)
	;;#ASMSTART
	v_dot2_f32_f16 v8, v10, v62, v8
	;;#ASMEND
	;;#ASMSTART
	v_dot2_f32_f16 v8, v11, v63, v8
	;;#ASMEND
	;;#ASMSTART
	v_dot2_f32_f16 v8, v12, v64, v8
	;;#ASMEND
	;;#ASMSTART
	v_dot2_f32_f16 v8, v13, v65, v8
	;;#ASMEND
	s_waitcnt lgkmcnt(1)
	;;#ASMSTART
	v_dot2_f32_f16 v35, v10, v66, v35
	;;#ASMEND
	;;#ASMSTART
	v_dot2_f32_f16 v35, v11, v67, v35
	;;#ASMEND
	;;#ASMSTART
	v_dot2_f32_f16 v35, v12, v68, v35
	;;#ASMEND
	;;#ASMSTART
	v_dot2_f32_f16 v35, v13, v69, v35
	;;#ASMEND
	s_waitcnt lgkmcnt(0)
	;;#ASMSTART
	v_dot2_f32_f16 v9, v70, v62, v9
	;;#ASMEND
	;;#ASMSTART
	v_dot2_f32_f16 v9, v71, v63, v9
	;;#ASMEND
	;;#ASMSTART
	v_dot2_f32_f16 v9, v72, v64, v9
	;;#ASMEND
	;;#ASMSTART
	v_dot2_f32_f16 v9, v73, v65, v9
	;;#ASMEND
	;;#ASMSTART
	v_dot2_f32_f16 v36, v70, v66, v36
	;;#ASMEND
	;;#ASMSTART
	v_dot2_f32_f16 v36, v71, v67, v36
	;;#ASMEND
	;;#ASMSTART
	v_dot2_f32_f16 v36, v72, v68, v36
	;;#ASMEND
	;;#ASMSTART
	v_dot2_f32_f16 v36, v73, v69, v36
	;;#ASMEND
	ds_load_b128 v[10:13], v44 offset:32
	ds_load_b128 v[62:65], v45 offset:32
	ds_load_b128 v[66:69], v45 offset:288
	ds_load_b128 v[70:73], v44 offset:4640
	;; [unrolled: 55-line block ×7, first 2 shown]
	s_waitcnt lgkmcnt(2)
	;;#ASMSTART
	v_dot2_f32_f16 v8, v10, v62, v8
	;;#ASMEND
	;;#ASMSTART
	v_dot2_f32_f16 v8, v11, v63, v8
	;;#ASMEND
	;;#ASMSTART
	v_dot2_f32_f16 v8, v12, v64, v8
	;;#ASMEND
	;;#ASMSTART
	v_dot2_f32_f16 v8, v13, v65, v8
	;;#ASMEND
	s_waitcnt lgkmcnt(1)
	;;#ASMSTART
	v_dot2_f32_f16 v35, v10, v66, v35
	;;#ASMEND
	;;#ASMSTART
	v_dot2_f32_f16 v35, v11, v67, v35
	;;#ASMEND
	;;#ASMSTART
	v_dot2_f32_f16 v35, v12, v68, v35
	;;#ASMEND
	;;#ASMSTART
	v_dot2_f32_f16 v35, v13, v69, v35
	;;#ASMEND
	;; [unrolled: 13-line block ×3, first 2 shown]
	;;#ASMSTART
	v_dot2_f32_f16 v36, v70, v66, v36
	;;#ASMEND
	;;#ASMSTART
	v_dot2_f32_f16 v36, v71, v67, v36
	;;#ASMEND
	;; [unrolled: 3-line block ×4, first 2 shown]
	s_barrier
	buffer_gl0_inv
	s_clause 0x3
	global_load_b128 v[10:13], v[0:1], off offset:128
	global_load_b128 v[0:3], v[2:3], off offset:128
	;; [unrolled: 1-line block ×4, first 2 shown]
	s_waitcnt vmcnt(3)
	ds_store_b128 v40, v[10:13]
	s_waitcnt vmcnt(2)
	ds_store_b128 v41, v[0:3]
	;; [unrolled: 2-line block ×4, first 2 shown]
	s_waitcnt lgkmcnt(0)
	s_barrier
	buffer_gl0_inv
	ds_load_b128 v[0:3], v44
	ds_load_b128 v[4:7], v45 offset:128
	ds_load_b128 v[10:13], v45 offset:384
	ds_load_b128 v[62:65], v44 offset:4608
	s_waitcnt lgkmcnt(2)
	;;#ASMSTART
	v_dot2_f32_f16 v8, v0, v4, v8
	;;#ASMEND
	;;#ASMSTART
	v_dot2_f32_f16 v8, v1, v5, v8
	;;#ASMEND
	;;#ASMSTART
	v_dot2_f32_f16 v8, v2, v6, v8
	;;#ASMEND
	;;#ASMSTART
	v_dot2_f32_f16 v8, v3, v7, v8
	;;#ASMEND
	s_waitcnt lgkmcnt(1)
	;;#ASMSTART
	v_dot2_f32_f16 v35, v0, v10, v35
	;;#ASMEND
	;;#ASMSTART
	v_dot2_f32_f16 v35, v1, v11, v35
	;;#ASMEND
	;;#ASMSTART
	v_dot2_f32_f16 v35, v2, v12, v35
	;;#ASMEND
	;;#ASMSTART
	v_dot2_f32_f16 v35, v3, v13, v35
	;;#ASMEND
	s_waitcnt lgkmcnt(0)
	;;#ASMSTART
	v_dot2_f32_f16 v9, v62, v4, v9
	;;#ASMEND
	;;#ASMSTART
	v_dot2_f32_f16 v9, v63, v5, v9
	;;#ASMEND
	;;#ASMSTART
	v_dot2_f32_f16 v9, v64, v6, v9
	;;#ASMEND
	;;#ASMSTART
	v_dot2_f32_f16 v9, v65, v7, v9
	;;#ASMEND
	;;#ASMSTART
	v_dot2_f32_f16 v36, v62, v10, v36
	;;#ASMEND
	;;#ASMSTART
	v_dot2_f32_f16 v36, v63, v11, v36
	;;#ASMEND
	;;#ASMSTART
	v_dot2_f32_f16 v36, v64, v12, v36
	;;#ASMEND
	;;#ASMSTART
	v_dot2_f32_f16 v36, v65, v13, v36
	;;#ASMEND
	ds_load_b128 v[0:3], v44 offset:16
	ds_load_b128 v[4:7], v45 offset:144
	ds_load_b128 v[10:13], v45 offset:400
	ds_load_b128 v[62:65], v44 offset:4624
	s_waitcnt lgkmcnt(2)
	;;#ASMSTART
	v_dot2_f32_f16 v8, v0, v4, v8
	;;#ASMEND
	;;#ASMSTART
	v_dot2_f32_f16 v8, v1, v5, v8
	;;#ASMEND
	;;#ASMSTART
	v_dot2_f32_f16 v8, v2, v6, v8
	;;#ASMEND
	;;#ASMSTART
	v_dot2_f32_f16 v8, v3, v7, v8
	;;#ASMEND
	s_waitcnt lgkmcnt(1)
	;;#ASMSTART
	v_dot2_f32_f16 v35, v0, v10, v35
	;;#ASMEND
	;;#ASMSTART
	v_dot2_f32_f16 v35, v1, v11, v35
	;;#ASMEND
	;;#ASMSTART
	v_dot2_f32_f16 v35, v2, v12, v35
	;;#ASMEND
	;;#ASMSTART
	v_dot2_f32_f16 v35, v3, v13, v35
	;;#ASMEND
	s_waitcnt lgkmcnt(0)
	;;#ASMSTART
	v_dot2_f32_f16 v9, v62, v4, v9
	;;#ASMEND
	;;#ASMSTART
	v_dot2_f32_f16 v9, v63, v5, v9
	;;#ASMEND
	;;#ASMSTART
	v_dot2_f32_f16 v9, v64, v6, v9
	;;#ASMEND
	;;#ASMSTART
	v_dot2_f32_f16 v9, v65, v7, v9
	;;#ASMEND
	;;#ASMSTART
	v_dot2_f32_f16 v36, v62, v10, v36
	;;#ASMEND
	;;#ASMSTART
	v_dot2_f32_f16 v36, v63, v11, v36
	;;#ASMEND
	;;#ASMSTART
	v_dot2_f32_f16 v36, v64, v12, v36
	;;#ASMEND
	;;#ASMSTART
	v_dot2_f32_f16 v36, v65, v13, v36
	;;#ASMEND
	ds_load_b128 v[0:3], v44 offset:32
	;; [unrolled: 55-line block ×7, first 2 shown]
	ds_load_b128 v[4:7], v45 offset:240
	ds_load_b128 v[10:13], v45 offset:496
	;; [unrolled: 1-line block ×3, first 2 shown]
	s_waitcnt lgkmcnt(2)
	;;#ASMSTART
	v_dot2_f32_f16 v8, v0, v4, v8
	;;#ASMEND
	;;#ASMSTART
	v_dot2_f32_f16 v8, v1, v5, v8
	;;#ASMEND
	;; [unrolled: 3-line block ×4, first 2 shown]
	s_waitcnt lgkmcnt(1)
	;;#ASMSTART
	v_dot2_f32_f16 v35, v0, v10, v35
	;;#ASMEND
	;;#ASMSTART
	v_dot2_f32_f16 v35, v1, v11, v35
	;;#ASMEND
	;; [unrolled: 3-line block ×4, first 2 shown]
	s_waitcnt lgkmcnt(0)
	;;#ASMSTART
	v_dot2_f32_f16 v9, v62, v4, v9
	;;#ASMEND
	v_cmp_ngt_f32_e64 s18, 0x3f200000, |v8|
	;;#ASMSTART
	v_dot2_f32_f16 v9, v63, v5, v9
	;;#ASMEND
	;;#ASMSTART
	v_dot2_f32_f16 v9, v64, v6, v9
	;;#ASMEND
	;; [unrolled: 3-line block ×7, first 2 shown]
                                        ; implicit-def: $vgpr2
	s_and_saveexec_b32 s19, s18
	s_delay_alu instid0(SALU_CYCLE_1)
	s_xor_b32 s18, exec_lo, s19
	s_cbranch_execz .LBB83_11
; %bb.10:                               ;   in Loop: Header=BB83_9 Depth=1
	v_add_f32_e64 v0, |v8|, |v8|
	s_delay_alu instid0(VALU_DEP_1) | instskip(SKIP_1) | instid1(VALU_DEP_2)
	v_mul_f32_e32 v1, 0x3fb8aa3b, v0
	v_cmp_ngt_f32_e32 vcc_lo, 0xc2ce8ed0, v0
	v_rndne_f32_e32 v2, v1
	v_fma_f32 v3, 0x3fb8aa3b, v0, -v1
	s_delay_alu instid0(VALU_DEP_2) | instskip(NEXT) | instid1(VALU_DEP_2)
	v_sub_f32_e32 v1, v1, v2
	v_fmac_f32_e32 v3, 0x32a5705f, v0
	v_cvt_i32_f32_e32 v2, v2
	s_delay_alu instid0(VALU_DEP_2) | instskip(NEXT) | instid1(VALU_DEP_1)
	v_add_f32_e32 v1, v1, v3
	v_exp_f32_e32 v1, v1
	s_waitcnt_depctr 0xfff
	v_ldexp_f32 v1, v1, v2
	s_delay_alu instid0(VALU_DEP_1) | instskip(SKIP_1) | instid1(VALU_DEP_2)
	v_cndmask_b32_e32 v1, 0, v1, vcc_lo
	v_cmp_nlt_f32_e32 vcc_lo, 0x42b17218, v0
	v_cndmask_b32_e32 v0, 0x7f800000, v1, vcc_lo
	s_delay_alu instid0(VALU_DEP_1) | instskip(NEXT) | instid1(VALU_DEP_1)
	v_add_f32_e32 v0, 1.0, v0
	v_rcp_f32_e32 v0, v0
	s_waitcnt_depctr 0xfff
	v_fma_f32 v2, v0, -2.0, 1.0
.LBB83_11:                              ;   in Loop: Header=BB83_9 Depth=1
	s_and_not1_saveexec_b32 s18, s18
; %bb.12:                               ;   in Loop: Header=BB83_9 Depth=1
	v_mul_f32_e32 v0, v8, v8
	s_delay_alu instid0(VALU_DEP_1) | instskip(NEXT) | instid1(VALU_DEP_1)
	v_fmaak_f32 v1, s17, v0, 0x3ca908c9
	v_fmaak_f32 v1, v0, v1, 0xbd5c1c4e
	s_delay_alu instid0(VALU_DEP_1) | instskip(NEXT) | instid1(VALU_DEP_1)
	v_fmaak_f32 v1, v0, v1, 0x3e088382
	v_fmaak_f32 v1, v0, v1, 0xbeaaaa99
	s_delay_alu instid0(VALU_DEP_1) | instskip(NEXT) | instid1(VALU_DEP_1)
	v_mul_f32_e64 v1, |v8|, v1
	v_fma_f32 v2, v0, v1, |v8|
; %bb.13:                               ;   in Loop: Header=BB83_9 Depth=1
	s_or_b32 exec_lo, exec_lo, s18
	v_add_nc_u32_e32 v0, s3, v18
	v_cmp_ngt_f32_e64 s18, 0x3f200000, |v9|
                                        ; implicit-def: $vgpr3
	s_delay_alu instid0(VALU_DEP_2) | instskip(NEXT) | instid1(VALU_DEP_1)
	v_ashrrev_i32_e32 v1, 31, v0
	v_lshlrev_b64 v[0:1], 1, v[0:1]
	s_delay_alu instid0(VALU_DEP_1) | instskip(NEXT) | instid1(VALU_DEP_2)
	v_add_co_u32 v0, vcc_lo, s36, v0
	v_add_co_ci_u32_e32 v1, vcc_lo, s37, v1, vcc_lo
	flat_load_u16 v73, v[0:1]
	s_and_saveexec_b32 s19, s18
	s_delay_alu instid0(SALU_CYCLE_1)
	s_xor_b32 s18, exec_lo, s19
	s_cbranch_execz .LBB83_15
; %bb.14:                               ;   in Loop: Header=BB83_9 Depth=1
	v_add_f32_e64 v3, |v9|, |v9|
	s_delay_alu instid0(VALU_DEP_1) | instskip(SKIP_1) | instid1(VALU_DEP_2)
	v_mul_f32_e32 v4, 0x3fb8aa3b, v3
	v_cmp_ngt_f32_e32 vcc_lo, 0xc2ce8ed0, v3
	v_rndne_f32_e32 v5, v4
	v_fma_f32 v6, 0x3fb8aa3b, v3, -v4
	s_delay_alu instid0(VALU_DEP_2) | instskip(NEXT) | instid1(VALU_DEP_2)
	v_sub_f32_e32 v4, v4, v5
	v_fmac_f32_e32 v6, 0x32a5705f, v3
	v_cvt_i32_f32_e32 v5, v5
	s_delay_alu instid0(VALU_DEP_2) | instskip(NEXT) | instid1(VALU_DEP_1)
	v_add_f32_e32 v4, v4, v6
	v_exp_f32_e32 v4, v4
	s_waitcnt_depctr 0xfff
	v_ldexp_f32 v4, v4, v5
	s_delay_alu instid0(VALU_DEP_1) | instskip(SKIP_1) | instid1(VALU_DEP_2)
	v_cndmask_b32_e32 v4, 0, v4, vcc_lo
	v_cmp_nlt_f32_e32 vcc_lo, 0x42b17218, v3
	v_cndmask_b32_e32 v3, 0x7f800000, v4, vcc_lo
	s_delay_alu instid0(VALU_DEP_1) | instskip(NEXT) | instid1(VALU_DEP_1)
	v_add_f32_e32 v3, 1.0, v3
	v_rcp_f32_e32 v3, v3
	s_waitcnt_depctr 0xfff
	v_fma_f32 v3, v3, -2.0, 1.0
.LBB83_15:                              ;   in Loop: Header=BB83_9 Depth=1
	s_and_not1_saveexec_b32 s18, s18
; %bb.16:                               ;   in Loop: Header=BB83_9 Depth=1
	v_mul_f32_e32 v3, v9, v9
	s_delay_alu instid0(VALU_DEP_1) | instskip(NEXT) | instid1(VALU_DEP_1)
	v_fmaak_f32 v4, s17, v3, 0x3ca908c9
	v_fmaak_f32 v4, v3, v4, 0xbd5c1c4e
	s_delay_alu instid0(VALU_DEP_1) | instskip(NEXT) | instid1(VALU_DEP_1)
	v_fmaak_f32 v4, v3, v4, 0x3e088382
	v_fmaak_f32 v4, v3, v4, 0xbeaaaa99
	s_delay_alu instid0(VALU_DEP_1) | instskip(NEXT) | instid1(VALU_DEP_1)
	v_mul_f32_e64 v4, |v9|, v4
	v_fma_f32 v3, v3, v4, |v9|
; %bb.17:                               ;   in Loop: Header=BB83_9 Depth=1
	s_or_b32 exec_lo, exec_lo, s18
	flat_load_u16 v75, v[0:1] offset:64
	v_bfi_b32 v0, 0x7fffffff, v2, v8
	v_bfi_b32 v1, 0x7fffffff, v3, v9
	v_xor_b32_e32 v66, 16, v38
	v_xor_b32_e32 v62, 8, v38
	v_xor_b32_e32 v63, 4, v38
	s_waitcnt vmcnt(1) lgkmcnt(1)
	v_fma_mix_f32 v68, v0, s8, v73 op_sel_hi:[0,0,1]
	v_xor_b32_e32 v64, 2, v38
	v_cmp_gt_i32_e32 vcc_lo, 32, v66
	v_xor_b32_e32 v65, 1, v38
	v_cmp_ngt_f32_e64 s18, 0x3f200000, |v35|
	v_add_f32_e32 v0, 0x40051340, v68
                                        ; implicit-def: $vgpr79
	s_waitcnt vmcnt(0) lgkmcnt(0)
	v_fma_mix_f32 v69, v1, s8, v75 op_sel_hi:[0,0,1]
	v_cndmask_b32_e32 v1, v38, v66, vcc_lo
	v_cmp_gt_i32_e32 vcc_lo, 32, v62
	s_delay_alu instid0(VALU_DEP_3) | instskip(NEXT) | instid1(VALU_DEP_3)
	v_add_f32_e32 v2, 0x40051340, v69
	v_lshlrev_b32_e32 v76, 2, v1
	s_delay_alu instid0(VALU_DEP_2)
	v_max3_f32 v0, v60, v0, v2
	ds_bpermute_b32 v1, v76, v0
	v_cndmask_b32_e32 v2, v38, v62, vcc_lo
	v_cmp_gt_i32_e32 vcc_lo, 32, v63
	s_waitcnt lgkmcnt(0)
	v_max_f32_e32 v1, v1, v1
	s_delay_alu instid0(VALU_DEP_1) | instskip(SKIP_4) | instid1(VALU_DEP_2)
	v_dual_max_f32 v0, v0, v1 :: v_dual_lshlrev_b32 v77, 2, v2
	ds_bpermute_b32 v1, v77, v0
	v_cndmask_b32_e32 v2, v38, v63, vcc_lo
	v_cmp_gt_i32_e32 vcc_lo, 32, v64
	s_waitcnt lgkmcnt(0)
	v_dual_max_f32 v1, v1, v1 :: v_dual_lshlrev_b32 v78, 2, v2
	v_cndmask_b32_e32 v2, v38, v64, vcc_lo
	v_cmp_gt_i32_e32 vcc_lo, 32, v65
	s_delay_alu instid0(VALU_DEP_2)
	v_dual_max_f32 v0, v0, v1 :: v_dual_lshlrev_b32 v67, 2, v2
	v_cndmask_b32_e32 v2, v38, v65, vcc_lo
	ds_bpermute_b32 v1, v78, v0
	v_lshlrev_b32_e32 v71, 2, v2
	s_waitcnt lgkmcnt(0)
	v_max_f32_e32 v1, v1, v1
	s_delay_alu instid0(VALU_DEP_1) | instskip(SKIP_3) | instid1(VALU_DEP_1)
	v_max_f32_e32 v0, v0, v1
	ds_bpermute_b32 v1, v67, v0
	s_waitcnt lgkmcnt(0)
	v_max_f32_e32 v1, v1, v1
	v_max_f32_e32 v70, v0, v1
	ds_bpermute_b32 v72, v71, v70
	s_and_saveexec_b32 s19, s18
	s_delay_alu instid0(SALU_CYCLE_1)
	s_xor_b32 s18, exec_lo, s19
	s_cbranch_execz .LBB83_19
; %bb.18:                               ;   in Loop: Header=BB83_9 Depth=1
	v_add_f32_e64 v0, |v35|, |v35|
	s_delay_alu instid0(VALU_DEP_1) | instskip(SKIP_1) | instid1(VALU_DEP_2)
	v_mul_f32_e32 v1, 0x3fb8aa3b, v0
	v_cmp_ngt_f32_e32 vcc_lo, 0xc2ce8ed0, v0
	v_rndne_f32_e32 v2, v1
	v_fma_f32 v3, 0x3fb8aa3b, v0, -v1
	s_delay_alu instid0(VALU_DEP_2) | instskip(NEXT) | instid1(VALU_DEP_2)
	v_sub_f32_e32 v1, v1, v2
	v_fmac_f32_e32 v3, 0x32a5705f, v0
	v_cvt_i32_f32_e32 v2, v2
	s_delay_alu instid0(VALU_DEP_2) | instskip(NEXT) | instid1(VALU_DEP_1)
	v_add_f32_e32 v1, v1, v3
	v_exp_f32_e32 v1, v1
	s_waitcnt_depctr 0xfff
	v_ldexp_f32 v1, v1, v2
	s_delay_alu instid0(VALU_DEP_1) | instskip(SKIP_1) | instid1(VALU_DEP_2)
	v_cndmask_b32_e32 v1, 0, v1, vcc_lo
	v_cmp_nlt_f32_e32 vcc_lo, 0x42b17218, v0
	v_cndmask_b32_e32 v0, 0x7f800000, v1, vcc_lo
	s_delay_alu instid0(VALU_DEP_1) | instskip(NEXT) | instid1(VALU_DEP_1)
	v_add_f32_e32 v0, 1.0, v0
	v_rcp_f32_e32 v0, v0
	s_waitcnt_depctr 0xfff
	v_fma_f32 v79, v0, -2.0, 1.0
.LBB83_19:                              ;   in Loop: Header=BB83_9 Depth=1
	s_and_not1_saveexec_b32 s18, s18
; %bb.20:                               ;   in Loop: Header=BB83_9 Depth=1
	v_mul_f32_e32 v0, v35, v35
	s_delay_alu instid0(VALU_DEP_1) | instskip(NEXT) | instid1(VALU_DEP_1)
	v_fmaak_f32 v1, s17, v0, 0x3ca908c9
	v_fmaak_f32 v1, v0, v1, 0xbd5c1c4e
	s_delay_alu instid0(VALU_DEP_1) | instskip(NEXT) | instid1(VALU_DEP_1)
	v_fmaak_f32 v1, v0, v1, 0x3e088382
	v_fmaak_f32 v1, v0, v1, 0xbeaaaa99
	s_delay_alu instid0(VALU_DEP_1) | instskip(NEXT) | instid1(VALU_DEP_1)
	v_mul_f32_e64 v1, |v35|, v1
	v_fma_f32 v79, v0, v1, |v35|
; %bb.21:                               ;   in Loop: Header=BB83_9 Depth=1
	s_or_b32 exec_lo, exec_lo, s18
	v_cmp_ngt_f32_e64 s18, 0x3f200000, |v36|
                                        ; implicit-def: $vgpr80
	s_delay_alu instid0(VALU_DEP_1) | instskip(NEXT) | instid1(SALU_CYCLE_1)
	s_and_saveexec_b32 s19, s18
	s_xor_b32 s18, exec_lo, s19
	s_cbranch_execz .LBB83_23
; %bb.22:                               ;   in Loop: Header=BB83_9 Depth=1
	v_add_f32_e64 v0, |v36|, |v36|
	s_delay_alu instid0(VALU_DEP_1) | instskip(SKIP_1) | instid1(VALU_DEP_2)
	v_mul_f32_e32 v1, 0x3fb8aa3b, v0
	v_cmp_ngt_f32_e32 vcc_lo, 0xc2ce8ed0, v0
	v_rndne_f32_e32 v2, v1
	v_fma_f32 v3, 0x3fb8aa3b, v0, -v1
	s_delay_alu instid0(VALU_DEP_2) | instskip(NEXT) | instid1(VALU_DEP_2)
	v_sub_f32_e32 v1, v1, v2
	v_fmac_f32_e32 v3, 0x32a5705f, v0
	v_cvt_i32_f32_e32 v2, v2
	s_delay_alu instid0(VALU_DEP_2) | instskip(NEXT) | instid1(VALU_DEP_1)
	v_add_f32_e32 v1, v1, v3
	v_exp_f32_e32 v1, v1
	s_waitcnt_depctr 0xfff
	v_ldexp_f32 v1, v1, v2
	s_delay_alu instid0(VALU_DEP_1) | instskip(SKIP_1) | instid1(VALU_DEP_2)
	v_cndmask_b32_e32 v1, 0, v1, vcc_lo
	v_cmp_nlt_f32_e32 vcc_lo, 0x42b17218, v0
	v_cndmask_b32_e32 v0, 0x7f800000, v1, vcc_lo
	s_delay_alu instid0(VALU_DEP_1) | instskip(NEXT) | instid1(VALU_DEP_1)
	v_add_f32_e32 v0, 1.0, v0
	v_rcp_f32_e32 v0, v0
	s_waitcnt_depctr 0xfff
	v_fma_f32 v80, v0, -2.0, 1.0
.LBB83_23:                              ;   in Loop: Header=BB83_9 Depth=1
	s_and_not1_saveexec_b32 s18, s18
; %bb.24:                               ;   in Loop: Header=BB83_9 Depth=1
	v_mul_f32_e32 v0, v36, v36
	s_delay_alu instid0(VALU_DEP_1) | instskip(NEXT) | instid1(VALU_DEP_1)
	v_fmaak_f32 v1, s17, v0, 0x3ca908c9
	v_fmaak_f32 v1, v0, v1, 0xbd5c1c4e
	s_delay_alu instid0(VALU_DEP_1) | instskip(NEXT) | instid1(VALU_DEP_1)
	v_fmaak_f32 v1, v0, v1, 0x3e088382
	v_fmaak_f32 v1, v0, v1, 0xbeaaaa99
	s_delay_alu instid0(VALU_DEP_1) | instskip(NEXT) | instid1(VALU_DEP_1)
	v_mul_f32_e64 v1, |v36|, v1
	v_fma_f32 v80, v0, v1, |v36|
; %bb.25:                               ;   in Loop: Header=BB83_9 Depth=1
	s_or_b32 exec_lo, exec_lo, s18
	s_mul_hi_i32 s19, s3, s10
	s_mul_i32 s18, s3, s10
	s_waitcnt lgkmcnt(0)
	s_lshl_b64 s[18:19], s[18:19], 2
	s_barrier
	s_add_u32 s18, s11, s18
	s_addc_u32 s19, s16, s19
	v_add_co_u32 v0, vcc_lo, s18, v27
	v_add_co_ci_u32_e32 v1, vcc_lo, s19, v28, vcc_lo
	v_add_co_u32 v2, vcc_lo, s18, v29
	v_add_co_ci_u32_e32 v3, vcc_lo, s19, v30, vcc_lo
	s_delay_alu instid0(VALU_DEP_4) | instskip(NEXT) | instid1(VALU_DEP_4)
	v_add_co_u32 v0, vcc_lo, v0, v53
	v_add_co_ci_u32_e32 v1, vcc_lo, 0, v1, vcc_lo
	s_delay_alu instid0(VALU_DEP_4) | instskip(NEXT) | instid1(VALU_DEP_4)
	v_add_co_u32 v4, vcc_lo, v2, v53
	v_add_co_ci_u32_e32 v5, vcc_lo, 0, v3, vcc_lo
	v_add_co_u32 v2, vcc_lo, s18, v31
	v_add_co_ci_u32_e32 v3, vcc_lo, s19, v32, vcc_lo
	;; [unrolled: 2-line block ×3, first 2 shown]
	s_delay_alu instid0(VALU_DEP_4) | instskip(NEXT) | instid1(VALU_DEP_4)
	v_add_co_u32 v8, vcc_lo, v2, v53
	v_add_co_ci_u32_e32 v9, vcc_lo, 0, v3, vcc_lo
	s_delay_alu instid0(VALU_DEP_4) | instskip(NEXT) | instid1(VALU_DEP_4)
	v_add_co_u32 v12, vcc_lo, v6, v53
	v_add_co_ci_u32_e32 v13, vcc_lo, 0, v7, vcc_lo
	buffer_gl0_inv
	s_clause 0x3
	global_load_b128 v[0:3], v[0:1], off
	global_load_b128 v[4:7], v[4:5], off
	;; [unrolled: 1-line block ×4, first 2 shown]
	v_cvt_f32_f16_e32 v74, v73
	v_cvt_f32_f16_e32 v73, v75
	v_bfi_b32 v35, 0x7fffffff, v79, v35
	v_bfi_b32 v36, 0x7fffffff, v80, v36
	v_max_f32_e32 v75, v72, v72
	s_or_b32 s18, s3, 32
	v_add_nc_u32_e32 v72, 0x800, v51
	s_delay_alu instid0(VALU_DEP_3) | instskip(SKIP_2) | instid1(VALU_DEP_1)
	v_dual_fmac_f32 v74, s8, v35 :: v_dual_fmac_f32 v73, s8, v36
	s_mul_hi_i32 s19, s18, s10
	s_mul_i32 s18, s18, s10
	v_dual_add_f32 v35, 0x40051340, v74 :: v_dual_add_f32 v36, 0x40051340, v73
	s_lshl_b64 s[18:19], s[18:19], 2
	s_delay_alu instid0(SALU_CYCLE_1) | instskip(SKIP_1) | instid1(VALU_DEP_1)
	s_add_u32 s18, s11, s18
	s_addc_u32 s19, s16, s19
	v_max3_f32 v35, v61, v35, v36
	ds_bpermute_b32 v36, v76, v35
	v_max_f32_e32 v76, v70, v70
	v_add_nc_u32_e32 v70, 0x1000, v51
	s_waitcnt lgkmcnt(0)
	v_max_f32_e32 v36, v36, v36
	s_delay_alu instid0(VALU_DEP_1) | instskip(SKIP_3) | instid1(VALU_DEP_1)
	v_max_f32_e32 v35, v35, v36
	ds_bpermute_b32 v36, v77, v35
	s_waitcnt lgkmcnt(0)
	v_dual_max_f32 v36, v36, v36 :: v_dual_add_nc_u32 v77, v47, v37
	v_max_f32_e32 v35, v35, v36
	ds_bpermute_b32 v36, v78, v35
	s_waitcnt lgkmcnt(0)
	v_max_f32_e32 v36, v36, v36
	s_delay_alu instid0(VALU_DEP_1) | instskip(SKIP_3) | instid1(VALU_DEP_1)
	v_max_f32_e32 v35, v35, v36
	ds_bpermute_b32 v36, v67, v35
	s_waitcnt lgkmcnt(0)
	v_dual_max_f32 v36, v36, v36 :: v_dual_add_nc_u32 v67, 0x1800, v51
	v_dual_max_f32 v36, v35, v36 :: v_dual_max_f32 v35, v76, v75
	v_add_co_u32 v75, vcc_lo, s18, v27
	v_add_co_ci_u32_e32 v76, vcc_lo, s19, v28, vcc_lo
	ds_bpermute_b32 v71, v71, v36
	v_sub_f32_e32 v69, v69, v35
	v_add_co_u32 v78, vcc_lo, s18, v29
	v_add_co_ci_u32_e32 v79, vcc_lo, s19, v30, vcc_lo
	s_delay_alu instid0(VALU_DEP_3) | instskip(SKIP_2) | instid1(VALU_DEP_3)
	v_mul_f32_e32 v82, 0x3fb8aa3b, v69
	v_add_co_u32 v80, vcc_lo, s18, v31
	v_add_co_ci_u32_e32 v81, vcc_lo, s19, v32, vcc_lo
	v_rndne_f32_e32 v86, v82
	v_add_co_u32 v84, vcc_lo, s18, v33
	v_add_co_ci_u32_e32 v85, vcc_lo, s19, v34, vcc_lo
	v_add_co_u32 v158, vcc_lo, v75, v53
	v_add_co_ci_u32_e32 v159, vcc_lo, 0, v76, vcc_lo
	s_waitcnt lgkmcnt(0)
	v_max_f32_e32 v71, v71, v71
	v_cmp_ngt_f32_e32 vcc_lo, 0xc2ce8ed0, v69
	s_delay_alu instid0(VALU_DEP_2) | instskip(SKIP_1) | instid1(VALU_DEP_2)
	v_max_f32_e32 v36, v36, v71
	v_fma_f32 v71, 0x3fb8aa3b, v69, -v82
	v_dual_sub_f32 v68, v68, v35 :: v_dual_sub_f32 v89, v73, v36
	s_delay_alu instid0(VALU_DEP_2) | instskip(SKIP_3) | instid1(VALU_DEP_3)
	v_fmac_f32_e32 v71, 0x32a5705f, v69
	v_sub_f32_e32 v73, v82, v86
	v_sub_f32_e32 v74, v74, v36
	v_cvt_i32_f32_e32 v86, v86
	v_add_f32_e32 v71, v73, v71
	s_delay_alu instid0(VALU_DEP_3) | instskip(NEXT) | instid1(VALU_DEP_2)
	v_dual_mul_f32 v83, 0x3fb8aa3b, v68 :: v_dual_mul_f32 v82, 0x3fb8aa3b, v74
	v_exp_f32_e32 v71, v71
	s_delay_alu instid0(VALU_DEP_1) | instskip(NEXT) | instid1(VALU_DEP_2)
	v_rndne_f32_e32 v88, v83
	v_rndne_f32_e32 v91, v82
	v_fma_f32 v87, 0x3fb8aa3b, v68, -v83
	v_fma_f32 v73, 0x3fb8aa3b, v74, -v82
	s_delay_alu instid0(VALU_DEP_3) | instskip(SKIP_1) | instid1(TRANS32_DEP_1)
	v_dual_sub_f32 v82, v82, v91 :: v_dual_sub_f32 v83, v83, v88
	v_mul_f32_e32 v90, 0x3fb8aa3b, v89
	v_ldexp_f32 v71, v71, v86
	v_cvt_i32_f32_e32 v88, v88
	s_delay_alu instid0(VALU_DEP_3) | instskip(SKIP_4) | instid1(VALU_DEP_4)
	v_fma_f32 v92, 0x3fb8aa3b, v89, -v90
	v_fmac_f32_e32 v87, 0x32a5705f, v68
	v_rndne_f32_e32 v93, v90
	v_cndmask_b32_e32 v71, 0, v71, vcc_lo
	v_cmp_ngt_f32_e32 vcc_lo, 0xc2ce8ed0, v68
	v_dual_fmac_f32 v92, 0x32a5705f, v89 :: v_dual_add_f32 v83, v83, v87
	s_delay_alu instid0(VALU_DEP_4) | instskip(SKIP_1) | instid1(VALU_DEP_3)
	v_sub_f32_e32 v87, v90, v93
	v_fmac_f32_e32 v73, 0x32a5705f, v74
	v_exp_f32_e32 v83, v83
	s_delay_alu instid0(VALU_DEP_1) | instskip(NEXT) | instid1(VALU_DEP_1)
	v_dual_add_f32 v73, v82, v73 :: v_dual_add_f32 v82, v87, v92
	v_exp_f32_e32 v73, v73
	s_delay_alu instid0(VALU_DEP_1) | instskip(SKIP_1) | instid1(TRANS32_DEP_3)
	v_exp_f32_e32 v75, v82
	v_cvt_i32_f32_e32 v82, v91
	v_ldexp_f32 v76, v83, v88
	v_cvt_i32_f32_e32 v83, v93
	s_delay_alu instid0(VALU_DEP_2) | instskip(SKIP_1) | instid1(TRANS32_DEP_2)
	v_cndmask_b32_e32 v76, 0, v76, vcc_lo
	v_cmp_nlt_f32_e32 vcc_lo, 0x42b17218, v69
	v_ldexp_f32 v73, v73, v82
	s_delay_alu instid0(TRANS32_DEP_1) | instid1(VALU_DEP_4)
	v_ldexp_f32 v75, v75, v83
	v_cndmask_b32_e32 v71, 0x7f800000, v71, vcc_lo
	v_cmp_ngt_f32_e32 vcc_lo, 0xc2ce8ed0, v74
	s_delay_alu instid0(VALU_DEP_4)
	v_cndmask_b32_e32 v69, 0, v73, vcc_lo
	v_cmp_ngt_f32_e32 vcc_lo, 0xc2ce8ed0, v89
	v_cndmask_b32_e32 v75, 0, v75, vcc_lo
	v_cmp_nlt_f32_e32 vcc_lo, 0x42b17218, v68
	v_cndmask_b32_e32 v73, 0x7f800000, v76, vcc_lo
	v_cmp_nlt_f32_e32 vcc_lo, 0x42b17218, v74
	v_cvt_f16_f32_e32 v74, v71
	v_cndmask_b32_e32 v68, 0x7f800000, v69, vcc_lo
	v_cmp_nlt_f32_e32 vcc_lo, 0x42b17218, v89
	s_delay_alu instid0(VALU_DEP_2) | instskip(SKIP_4) | instid1(VALU_DEP_4)
	v_cvt_f16_f32_e32 v76, v68
	v_cndmask_b32_e32 v69, 0x7f800000, v75, vcc_lo
	v_add_co_u32 v162, vcc_lo, v78, v53
	v_cvt_f16_f32_e32 v75, v73
	v_add_co_ci_u32_e32 v163, vcc_lo, 0, v79, vcc_lo
	v_cvt_f16_f32_e32 v78, v69
	v_add_co_u32 v166, vcc_lo, v80, v53
	v_add_co_ci_u32_e32 v167, vcc_lo, 0, v81, vcc_lo
	v_pack_b32_f16 v75, v75, v76
	s_delay_alu instid0(VALU_DEP_4)
	v_pack_b32_f16 v74, v74, v78
	v_add_co_u32 v170, vcc_lo, v84, v53
	v_add_co_ci_u32_e32 v171, vcc_lo, 0, v85, vcc_lo
	ds_store_2addr_b32 v77, v75, v74 offset1:32
	s_waitcnt vmcnt(3)
	ds_store_b128 v46, v[0:3]
	s_waitcnt vmcnt(2)
	ds_store_b128 v48, v[4:7]
	;; [unrolled: 2-line block ×4, first 2 shown]
	s_waitcnt lgkmcnt(0)
	s_barrier
	buffer_gl0_inv
	ds_load_2addr_b64 v[2:5], v51 offset1:32
	ds_load_b128 v[6:9], v47
	ds_load_b128 v[10:13], v47 offset:16
	ds_load_b128 v[74:77], v47 offset:32
	;; [unrolled: 1-line block ×3, first 2 shown]
	ds_load_2addr_b64 v[82:85], v51 offset0:64 offset1:96
	ds_load_2addr_b64 v[86:89], v51 offset0:128 offset1:160
	;; [unrolled: 1-line block ×3, first 2 shown]
	ds_load_2addr_b64 v[94:97], v72 offset1:32
	ds_load_2addr_b64 v[98:101], v72 offset0:64 offset1:96
	ds_load_2addr_b64 v[102:105], v72 offset0:128 offset1:160
	;; [unrolled: 1-line block ×3, first 2 shown]
	ds_load_2addr_b64 v[110:113], v70 offset1:32
	ds_load_2addr_b64 v[114:117], v70 offset0:64 offset1:96
	ds_load_2addr_b64 v[118:121], v70 offset0:128 offset1:160
	ds_load_b128 v[122:125], v47 offset:64
	ds_load_b128 v[126:129], v47 offset:80
	ds_load_2addr_b64 v[130:133], v70 offset0:192 offset1:224
	ds_load_2addr_b64 v[134:137], v67 offset1:32
	ds_load_2addr_b64 v[138:141], v67 offset0:64 offset1:96
	ds_load_2addr_b64 v[142:145], v67 offset0:128 offset1:160
	ds_load_b128 v[146:149], v47 offset:96
	ds_load_b128 v[150:153], v47 offset:112
	ds_load_2addr_b64 v[154:157], v67 offset0:192 offset1:224
	s_waitcnt lgkmcnt(0)
	s_barrier
	buffer_gl0_inv
	s_clause 0x3
	global_load_b128 v[158:161], v[158:159], off
	global_load_b128 v[162:165], v[162:163], off
	;; [unrolled: 1-line block ×4, first 2 shown]
	v_dual_sub_f32 v0, v61, v36 :: v_dual_sub_f32 v1, v60, v35
	s_waitcnt vmcnt(3)
	ds_store_b128 v46, v[158:161]
	s_waitcnt vmcnt(2)
	ds_store_b128 v48, v[162:165]
	;; [unrolled: 2-line block ×4, first 2 shown]
	v_mul_f32_e32 v14, 0x3fb8aa3b, v0
	v_cmp_ngt_f32_e32 vcc_lo, 0xc2ce8ed0, v0
	s_waitcnt lgkmcnt(0)
	s_barrier
	buffer_gl0_inv
	v_fma_f32 v60, 0x3fb8aa3b, v0, -v14
	v_rndne_f32_e32 v61, v14
	s_delay_alu instid0(VALU_DEP_2) | instskip(NEXT) | instid1(VALU_DEP_2)
	v_fmac_f32_e32 v60, 0x32a5705f, v0
	v_sub_f32_e32 v14, v14, v61
	s_delay_alu instid0(VALU_DEP_1) | instskip(SKIP_1) | instid1(VALU_DEP_2)
	v_add_f32_e32 v14, v14, v60
	v_cvt_i32_f32_e32 v60, v61
	v_exp_f32_e32 v14, v14
	s_waitcnt_depctr 0xfff
	v_ldexp_f32 v14, v14, v60
	v_mul_f32_e32 v15, 0x3fb8aa3b, v1
	v_pk_mul_f16 v60, v2, v6 op_sel_hi:[1,0]
	v_pk_mul_f16 v2, v2, v6 op_sel:[0,1]
	s_delay_alu instid0(VALU_DEP_4) | instskip(NEXT) | instid1(VALU_DEP_4)
	v_cndmask_b32_e32 v14, 0, v14, vcc_lo
	v_fma_f32 v174, 0x3fb8aa3b, v1, -v15
	v_rndne_f32_e32 v175, v15
	v_cmp_ngt_f32_e32 vcc_lo, 0xc2ce8ed0, v1
	s_delay_alu instid0(VALU_DEP_2) | instskip(SKIP_1) | instid1(VALU_DEP_2)
	v_dual_fmac_f32 v174, 0x32a5705f, v1 :: v_dual_sub_f32 v15, v15, v175
	v_cvt_i32_f32_e32 v61, v175
	v_add_f32_e32 v15, v15, v174
	s_delay_alu instid0(VALU_DEP_1) | instskip(SKIP_3) | instid1(VALU_DEP_2)
	v_exp_f32_e32 v15, v15
	s_waitcnt_depctr 0xfff
	v_ldexp_f32 v15, v15, v61
	v_pk_mul_f16 v61, v3, v6 op_sel_hi:[1,0]
	v_cndmask_b32_e32 v15, 0, v15, vcc_lo
	v_cmp_nlt_f32_e32 vcc_lo, 0x42b17218, v0
	v_cndmask_b32_e32 v0, 0x7f800000, v14, vcc_lo
	v_cmp_nlt_f32_e32 vcc_lo, 0x42b17218, v1
	s_delay_alu instid0(VALU_DEP_2) | instskip(SKIP_1) | instid1(VALU_DEP_2)
	v_cvt_f16_f32_e32 v14, v0
	v_cndmask_b32_e32 v1, 0x7f800000, v15, vcc_lo
	v_pk_mul_f16 v54, v14, v54 op_sel_hi:[0,1]
	s_delay_alu instid0(VALU_DEP_2) | instskip(SKIP_1) | instid1(VALU_DEP_3)
	v_cvt_f16_f32_e32 v15, v1
	v_pk_fma_f16 v2, v57, v14, v2 op_sel_hi:[1,0,1]
	v_pk_fma_f16 v3, v3, v6, v54 op_sel:[0,1,0]
	s_delay_alu instid0(VALU_DEP_3) | instskip(SKIP_1) | instid1(VALU_DEP_4)
	v_pk_fma_f16 v6, v15, v58, v60 op_sel_hi:[0,1,1]
	v_pk_fma_f16 v14, v15, v59, v61 op_sel_hi:[0,1,1]
	v_pk_fma_f16 v2, v4, v7, v2 op_sel:[0,1,0]
	s_delay_alu instid0(VALU_DEP_4) | instskip(NEXT) | instid1(VALU_DEP_4)
	v_pk_fma_f16 v3, v5, v7, v3 op_sel:[0,1,0]
	v_pk_fma_f16 v6, v4, v7, v6 op_sel_hi:[1,0,1]
	s_delay_alu instid0(VALU_DEP_4) | instskip(NEXT) | instid1(VALU_DEP_4)
	v_pk_fma_f16 v4, v5, v7, v14 op_sel_hi:[1,0,1]
	v_pk_fma_f16 v2, v82, v8, v2 op_sel:[0,1,0]
	s_delay_alu instid0(VALU_DEP_4) | instskip(NEXT) | instid1(VALU_DEP_4)
	v_pk_fma_f16 v3, v83, v8, v3 op_sel:[0,1,0]
	v_pk_fma_f16 v5, v82, v8, v6 op_sel_hi:[1,0,1]
	s_delay_alu instid0(VALU_DEP_4) | instskip(NEXT) | instid1(VALU_DEP_4)
	;; [unrolled: 6-line block ×27, first 2 shown]
	v_pk_fma_f16 v11, v141, v149, v4 op_sel_hi:[1,0,1]
	v_pk_fma_f16 v10, v142, v150, v10 op_sel:[0,1,0]
	s_delay_alu instid0(VALU_DEP_4) | instskip(NEXT) | instid1(VALU_DEP_4)
	v_pk_fma_f16 v12, v143, v150, v3 op_sel:[0,1,0]
	v_pk_fma_f16 v13, v142, v150, v5 op_sel_hi:[1,0,1]
	ds_load_2addr_b64 v[2:5], v51 offset1:32
	ds_load_b128 v[6:9], v47 offset:128
	v_pk_fma_f16 v11, v143, v150, v11 op_sel_hi:[1,0,1]
	v_pk_fma_f16 v14, v144, v151, v10 op_sel:[0,1,0]
	v_pk_fma_f16 v12, v145, v151, v12 op_sel:[0,1,0]
	v_pk_fma_f16 v13, v144, v151, v13 op_sel_hi:[1,0,1]
	s_delay_alu instid0(VALU_DEP_4) | instskip(NEXT) | instid1(VALU_DEP_4)
	v_pk_fma_f16 v15, v145, v151, v11 op_sel_hi:[1,0,1]
	v_pk_fma_f16 v14, v154, v152, v14 op_sel:[0,1,0]
	s_delay_alu instid0(VALU_DEP_4) | instskip(NEXT) | instid1(VALU_DEP_4)
	v_pk_fma_f16 v54, v155, v152, v12 op_sel:[0,1,0]
	v_pk_fma_f16 v57, v154, v152, v13 op_sel_hi:[1,0,1]
	ds_load_2addr_b64 v[10:13], v51 offset0:64 offset1:96
	v_pk_fma_f16 v15, v155, v152, v15 op_sel_hi:[1,0,1]
	v_pk_fma_f16 v14, v156, v153, v14 op_sel:[0,1,0]
	v_pk_fma_f16 v54, v157, v153, v54 op_sel:[0,1,0]
	v_pk_fma_f16 v61, v156, v153, v57 op_sel_hi:[1,0,1]
	ds_load_b128 v[57:60], v47 offset:144
	ds_load_2addr_b64 v[74:77], v51 offset0:128 offset1:160
	v_pk_fma_f16 v15, v157, v153, v15 op_sel_hi:[1,0,1]
	ds_load_2addr_b64 v[78:81], v72 offset1:32
	ds_load_2addr_b64 v[82:85], v72 offset0:128 offset1:160
	s_waitcnt lgkmcnt(5)
	v_pk_fma_f16 v61, v2, v6, v61 op_sel_hi:[1,0,1]
	v_pk_fma_f16 v2, v2, v6, v14 op_sel:[0,1,0]
	v_pk_fma_f16 v14, v3, v6, v15 op_sel_hi:[1,0,1]
	v_pk_fma_f16 v3, v3, v6, v54 op_sel:[0,1,0]
	s_delay_alu instid0(VALU_DEP_4) | instskip(NEXT) | instid1(VALU_DEP_4)
	v_pk_fma_f16 v6, v4, v7, v61 op_sel_hi:[1,0,1]
	v_pk_fma_f16 v15, v4, v7, v2 op_sel:[0,1,0]
	s_delay_alu instid0(VALU_DEP_4) | instskip(NEXT) | instid1(VALU_DEP_4)
	v_pk_fma_f16 v14, v5, v7, v14 op_sel_hi:[1,0,1]
	v_pk_fma_f16 v7, v5, v7, v3 op_sel:[0,1,0]
	ds_load_2addr_b64 v[2:5], v51 offset0:192 offset1:224
	s_waitcnt lgkmcnt(5)
	v_pk_fma_f16 v6, v10, v8, v6 op_sel_hi:[1,0,1]
	v_pk_fma_f16 v10, v10, v8, v15 op_sel:[0,1,0]
	v_pk_fma_f16 v14, v11, v8, v14 op_sel_hi:[1,0,1]
	v_pk_fma_f16 v7, v11, v8, v7 op_sel:[0,1,0]
	s_delay_alu instid0(VALU_DEP_4) | instskip(NEXT) | instid1(VALU_DEP_4)
	v_pk_fma_f16 v6, v12, v9, v6 op_sel_hi:[1,0,1]
	v_pk_fma_f16 v10, v12, v9, v10 op_sel:[0,1,0]
	s_delay_alu instid0(VALU_DEP_4) | instskip(NEXT) | instid1(VALU_DEP_4)
	v_pk_fma_f16 v11, v13, v9, v14 op_sel_hi:[1,0,1]
	v_pk_fma_f16 v12, v13, v9, v7 op_sel:[0,1,0]
	s_waitcnt lgkmcnt(3)
	v_pk_fma_f16 v13, v74, v57, v6 op_sel_hi:[1,0,1]
	ds_load_b128 v[6:9], v47 offset:160
	v_pk_fma_f16 v14, v74, v57, v10 op_sel:[0,1,0]
	v_pk_fma_f16 v15, v75, v57, v11 op_sel_hi:[1,0,1]
	v_pk_fma_f16 v54, v75, v57, v12 op_sel:[0,1,0]
	v_pk_fma_f16 v57, v76, v58, v13 op_sel_hi:[1,0,1]
	ds_load_2addr_b64 v[10:13], v72 offset0:64 offset1:96
	v_pk_fma_f16 v14, v76, v58, v14 op_sel:[0,1,0]
	v_pk_fma_f16 v15, v77, v58, v15 op_sel_hi:[1,0,1]
	v_pk_fma_f16 v54, v77, v58, v54 op_sel:[0,1,0]
	ds_load_b128 v[74:77], v47 offset:176
	s_waitcnt lgkmcnt(3)
	v_pk_fma_f16 v57, v2, v59, v57 op_sel_hi:[1,0,1]
	v_pk_fma_f16 v2, v2, v59, v14 op_sel:[0,1,0]
	v_pk_fma_f16 v14, v3, v59, v15 op_sel_hi:[1,0,1]
	v_pk_fma_f16 v3, v3, v59, v54 op_sel:[0,1,0]
	s_delay_alu instid0(VALU_DEP_4) | instskip(NEXT) | instid1(VALU_DEP_4)
	v_pk_fma_f16 v15, v4, v60, v57 op_sel_hi:[1,0,1]
	v_pk_fma_f16 v2, v4, v60, v2 op_sel:[0,1,0]
	s_delay_alu instid0(VALU_DEP_4) | instskip(NEXT) | instid1(VALU_DEP_4)
	v_pk_fma_f16 v4, v5, v60, v14 op_sel_hi:[1,0,1]
	v_pk_fma_f16 v3, v5, v60, v3 op_sel:[0,1,0]
	ds_load_2addr_b64 v[57:60], v70 offset1:32
	s_waitcnt lgkmcnt(3)
	v_pk_fma_f16 v5, v78, v6, v15 op_sel_hi:[1,0,1]
	v_pk_fma_f16 v2, v78, v6, v2 op_sel:[0,1,0]
	v_pk_fma_f16 v4, v79, v6, v4 op_sel_hi:[1,0,1]
	v_pk_fma_f16 v3, v79, v6, v3 op_sel:[0,1,0]
	s_delay_alu instid0(VALU_DEP_4) | instskip(NEXT) | instid1(VALU_DEP_4)
	v_pk_fma_f16 v5, v80, v7, v5 op_sel_hi:[1,0,1]
	v_pk_fma_f16 v6, v80, v7, v2 op_sel:[0,1,0]
	s_delay_alu instid0(VALU_DEP_4) | instskip(NEXT) | instid1(VALU_DEP_4)
	v_pk_fma_f16 v14, v81, v7, v4 op_sel_hi:[1,0,1]
	v_pk_fma_f16 v7, v81, v7, v3 op_sel:[0,1,0]
	ds_load_2addr_b64 v[78:81], v70 offset0:128 offset1:160
	s_waitcnt lgkmcnt(3)
	v_pk_fma_f16 v15, v10, v8, v5 op_sel_hi:[1,0,1]
	ds_load_2addr_b64 v[2:5], v72 offset0:192 offset1:224
	v_pk_fma_f16 v6, v10, v8, v6 op_sel:[0,1,0]
	v_pk_fma_f16 v10, v11, v8, v14 op_sel_hi:[1,0,1]
	v_pk_fma_f16 v7, v11, v8, v7 op_sel:[0,1,0]
	v_pk_fma_f16 v8, v12, v9, v15 op_sel_hi:[1,0,1]
	s_delay_alu instid0(VALU_DEP_4) | instskip(NEXT) | instid1(VALU_DEP_4)
	v_pk_fma_f16 v11, v12, v9, v6 op_sel:[0,1,0]
	v_pk_fma_f16 v10, v13, v9, v10 op_sel_hi:[1,0,1]
	s_delay_alu instid0(VALU_DEP_4)
	v_pk_fma_f16 v12, v13, v9, v7 op_sel:[0,1,0]
	s_waitcnt lgkmcnt(3)
	v_pk_fma_f16 v13, v82, v74, v8 op_sel_hi:[1,0,1]
	ds_load_b128 v[6:9], v47 offset:192
	v_pk_fma_f16 v14, v82, v74, v11 op_sel:[0,1,0]
	v_pk_fma_f16 v15, v83, v74, v10 op_sel_hi:[1,0,1]
	v_pk_fma_f16 v54, v83, v74, v12 op_sel:[0,1,0]
	v_pk_fma_f16 v61, v84, v75, v13 op_sel_hi:[1,0,1]
	ds_load_2addr_b64 v[10:13], v70 offset0:64 offset1:96
	v_pk_fma_f16 v14, v84, v75, v14 op_sel:[0,1,0]
	v_pk_fma_f16 v15, v85, v75, v15 op_sel_hi:[1,0,1]
	v_pk_fma_f16 v54, v85, v75, v54 op_sel:[0,1,0]
	ds_load_b128 v[82:85], v47 offset:208
	s_waitcnt lgkmcnt(3)
	v_pk_fma_f16 v61, v2, v76, v61 op_sel_hi:[1,0,1]
	v_pk_fma_f16 v2, v2, v76, v14 op_sel:[0,1,0]
	v_pk_fma_f16 v14, v3, v76, v15 op_sel_hi:[1,0,1]
	v_pk_fma_f16 v3, v3, v76, v54 op_sel:[0,1,0]
	s_delay_alu instid0(VALU_DEP_4) | instskip(NEXT) | instid1(VALU_DEP_4)
	v_pk_fma_f16 v15, v4, v77, v61 op_sel_hi:[1,0,1]
	v_pk_fma_f16 v2, v4, v77, v2 op_sel:[0,1,0]
	s_delay_alu instid0(VALU_DEP_4) | instskip(NEXT) | instid1(VALU_DEP_4)
	v_pk_fma_f16 v4, v5, v77, v14 op_sel_hi:[1,0,1]
	v_pk_fma_f16 v5, v5, v77, v3 op_sel:[0,1,0]
	v_add_f32_e32 v3, v73, v71
	s_waitcnt lgkmcnt(2)
	v_pk_fma_f16 v14, v57, v6, v15 op_sel_hi:[1,0,1]
	v_pk_fma_f16 v2, v57, v6, v2 op_sel:[0,1,0]
	v_pk_fma_f16 v4, v58, v6, v4 op_sel_hi:[1,0,1]
	v_pk_fma_f16 v5, v58, v6, v5 op_sel:[0,1,0]
	ds_load_2addr_b64 v[70:73], v70 offset0:192 offset1:224
	v_pk_fma_f16 v6, v59, v7, v14 op_sel_hi:[1,0,1]
	v_pk_fma_f16 v2, v59, v7, v2 op_sel:[0,1,0]
	v_pk_fma_f16 v14, v60, v7, v4 op_sel_hi:[1,0,1]
	v_pk_fma_f16 v15, v60, v7, v5 op_sel:[0,1,0]
	ds_load_2addr_b64 v[57:60], v67 offset0:64 offset1:96
	s_waitcnt lgkmcnt(3)
	v_pk_fma_f16 v54, v10, v8, v6 op_sel_hi:[1,0,1]
	v_pk_fma_f16 v2, v10, v8, v2 op_sel:[0,1,0]
	v_pk_fma_f16 v10, v11, v8, v14 op_sel_hi:[1,0,1]
	v_pk_fma_f16 v8, v11, v8, v15 op_sel:[0,1,0]
	ds_load_2addr_b64 v[4:7], v67 offset1:32
	v_pk_fma_f16 v11, v12, v9, v54 op_sel_hi:[1,0,1]
	v_pk_fma_f16 v2, v12, v9, v2 op_sel:[0,1,0]
	v_pk_fma_f16 v12, v13, v9, v10 op_sel_hi:[1,0,1]
	v_pk_fma_f16 v13, v13, v9, v8 op_sel:[0,1,0]
	v_fmac_f32_e32 v3, v56, v1
	s_waitcnt lgkmcnt(3)
	v_pk_fma_f16 v54, v78, v82, v11 op_sel_hi:[1,0,1]
	ds_load_b128 v[8:11], v47 offset:224
	v_pk_fma_f16 v2, v78, v82, v2 op_sel:[0,1,0]
	v_pk_fma_f16 v61, v79, v82, v12 op_sel_hi:[1,0,1]
	v_pk_fma_f16 v74, v79, v82, v13 op_sel:[0,1,0]
	v_pk_fma_f16 v54, v80, v83, v54 op_sel_hi:[1,0,1]
	ds_load_2addr_b64 v[12:15], v67 offset0:128 offset1:160
	v_pk_fma_f16 v2, v80, v83, v2 op_sel:[0,1,0]
	v_pk_fma_f16 v61, v81, v83, v61 op_sel_hi:[1,0,1]
	v_pk_fma_f16 v78, v81, v83, v74 op_sel:[0,1,0]
	ds_load_b128 v[74:77], v47 offset:240
	s_waitcnt lgkmcnt(5)
	v_pk_fma_f16 v54, v70, v84, v54 op_sel_hi:[1,0,1]
	v_pk_fma_f16 v2, v70, v84, v2 op_sel:[0,1,0]
	v_pk_fma_f16 v61, v71, v84, v61 op_sel_hi:[1,0,1]
	v_pk_fma_f16 v70, v71, v84, v78 op_sel:[0,1,0]
	ds_load_2addr_b64 v[78:81], v67 offset0:192 offset1:224
	v_pk_fma_f16 v54, v72, v85, v54 op_sel_hi:[1,0,1]
	v_pk_fma_f16 v2, v72, v85, v2 op_sel:[0,1,0]
	v_pk_fma_f16 v61, v73, v85, v61 op_sel_hi:[1,0,1]
	v_pk_fma_f16 v67, v73, v85, v70 op_sel:[0,1,0]
	s_waitcnt lgkmcnt(0)
	v_pk_fma_f16 v54, v4, v8, v54 op_sel_hi:[1,0,1]
	v_pk_fma_f16 v2, v4, v8, v2 op_sel:[0,1,0]
	v_pk_fma_f16 v4, v5, v8, v61 op_sel_hi:[1,0,1]
	v_pk_fma_f16 v5, v5, v8, v67 op_sel:[0,1,0]
	s_barrier
	v_pk_fma_f16 v8, v6, v9, v54 op_sel_hi:[1,0,1]
	v_pk_fma_f16 v2, v6, v9, v2 op_sel:[0,1,0]
	v_pk_fma_f16 v4, v7, v9, v4 op_sel_hi:[1,0,1]
	v_pk_fma_f16 v5, v7, v9, v5 op_sel:[0,1,0]
	buffer_gl0_inv
	v_pk_fma_f16 v6, v57, v10, v8 op_sel_hi:[1,0,1]
	v_pk_fma_f16 v2, v57, v10, v2 op_sel:[0,1,0]
	v_pk_fma_f16 v4, v58, v10, v4 op_sel_hi:[1,0,1]
	v_pk_fma_f16 v5, v58, v10, v5 op_sel:[0,1,0]
	s_load_b32 s18, s[4:5], 0x4
	v_pk_fma_f16 v6, v59, v11, v6 op_sel_hi:[1,0,1]
	v_pk_fma_f16 v2, v59, v11, v2 op_sel:[0,1,0]
	v_pk_fma_f16 v4, v60, v11, v4 op_sel_hi:[1,0,1]
	v_pk_fma_f16 v5, v60, v11, v5 op_sel:[0,1,0]
	s_delay_alu instid0(VALU_DEP_4) | instskip(NEXT) | instid1(VALU_DEP_4)
	v_pk_fma_f16 v1, v12, v74, v6 op_sel_hi:[1,0,1]
	v_pk_fma_f16 v2, v12, v74, v2 op_sel:[0,1,0]
	s_delay_alu instid0(VALU_DEP_4) | instskip(NEXT) | instid1(VALU_DEP_4)
	v_pk_fma_f16 v6, v13, v74, v4 op_sel_hi:[1,0,1]
	v_pk_fma_f16 v5, v13, v74, v5 op_sel:[0,1,0]
	v_add_f32_e32 v4, v68, v69
	v_pk_fma_f16 v1, v14, v75, v1 op_sel_hi:[1,0,1]
	v_pk_fma_f16 v2, v14, v75, v2 op_sel:[0,1,0]
	v_pk_fma_f16 v6, v15, v75, v6 op_sel_hi:[1,0,1]
	v_pk_fma_f16 v5, v15, v75, v5 op_sel:[0,1,0]
	v_fmac_f32_e32 v4, v55, v0
	v_pk_fma_f16 v0, v78, v76, v1 op_sel_hi:[1,0,1]
	v_pk_fma_f16 v1, v78, v76, v2 op_sel:[0,1,0]
	v_pk_fma_f16 v2, v79, v76, v6 op_sel_hi:[1,0,1]
	v_pk_fma_f16 v5, v79, v76, v5 op_sel:[0,1,0]
	s_waitcnt lgkmcnt(0)
	s_lshl_b32 s18, s18, 6
	v_pk_fma_f16 v58, v80, v77, v0 op_sel_hi:[1,0,1]
	v_pk_fma_f16 v57, v80, v77, v1 op_sel:[0,1,0]
	v_pk_fma_f16 v59, v81, v77, v2 op_sel_hi:[1,0,1]
	v_pk_fma_f16 v54, v81, v77, v5 op_sel:[0,1,0]
	s_add_i32 s3, s18, s3
	s_delay_alu instid0(SALU_CYCLE_1)
	s_cmp_ge_i32 s3, s34
	s_cbranch_scc1 .LBB83_27
; %bb.26:                               ;   in Loop: Header=BB83_9 Depth=1
	v_dual_mov_b32 v60, v35 :: v_dual_mov_b32 v61, v36
	v_dual_mov_b32 v56, v3 :: v_dual_mov_b32 v55, v4
	s_branch .LBB83_9
.LBB83_27:
	v_mov_b32_e32 v0, v38
.LBB83_28:
	v_cmp_lt_i32_e32 vcc_lo, v66, v39
	s_cmp_lg_u64 s[24:25], 0
	s_cselect_b32 s3, -1, 0
	s_cmp_eq_u32 s14, 0
	v_cndmask_b32_e32 v1, v0, v66, vcc_lo
	v_cmp_lt_i32_e32 vcc_lo, v62, v39
	s_cselect_b32 s4, -1, 0
	s_delay_alu instid0(SALU_CYCLE_1) | instskip(NEXT) | instid1(VALU_DEP_2)
	s_and_b32 s3, s4, s3
	v_lshlrev_b32_e32 v1, 2, v1
	v_cndmask_b32_e32 v5, v0, v62, vcc_lo
	v_cmp_lt_i32_e32 vcc_lo, v63, v39
	ds_bpermute_b32 v2, v1, v3
	s_waitcnt lgkmcnt(0)
	v_dual_add_f32 v2, v3, v2 :: v_dual_lshlrev_b32 v5, 2, v5
	ds_bpermute_b32 v1, v1, v4
	ds_bpermute_b32 v3, v5, v2
	s_waitcnt lgkmcnt(0)
	v_dual_add_f32 v1, v4, v1 :: v_dual_add_f32 v2, v2, v3
	ds_bpermute_b32 v4, v5, v1
	v_cndmask_b32_e32 v5, v0, v63, vcc_lo
	v_cmp_lt_i32_e32 vcc_lo, v64, v39
	s_delay_alu instid0(VALU_DEP_2)
	v_lshlrev_b32_e32 v5, 2, v5
	ds_bpermute_b32 v3, v5, v2
	s_waitcnt lgkmcnt(1)
	v_add_f32_e32 v1, v1, v4
	ds_bpermute_b32 v4, v5, v1
	v_cndmask_b32_e32 v5, v0, v64, vcc_lo
	v_cmp_lt_i32_e32 vcc_lo, v65, v39
	s_delay_alu instid0(VALU_DEP_2) | instskip(SKIP_4) | instid1(VALU_DEP_2)
	v_lshlrev_b32_e32 v5, 2, v5
	v_cndmask_b32_e32 v0, v0, v65, vcc_lo
	s_waitcnt lgkmcnt(1)
	v_add_f32_e32 v2, v2, v3
	s_and_b32 vcc_lo, exec_lo, s3
	v_lshlrev_b32_e32 v0, 2, v0
	ds_bpermute_b32 v3, v5, v2
	s_waitcnt lgkmcnt(1)
	v_add_f32_e32 v1, v1, v4
	ds_bpermute_b32 v4, v5, v1
	s_waitcnt lgkmcnt(1)
	v_add_f32_e32 v2, v2, v3
	;; [unrolled: 3-line block ×3, first 2 shown]
	ds_bpermute_b32 v4, v0, v1
	s_waitcnt lgkmcnt(0)
	v_dual_add_f32 v0, v2, v3 :: v_dual_add_f32 v1, v1, v4
	s_cbranch_vccz .LBB83_31
; %bb.29:
	s_ashr_i32 s3, s2, 31
	v_mov_b32_e32 v2, 0
	s_lshl_b64 s[4:5], s[2:3], 2
	s_delay_alu instid0(SALU_CYCLE_1)
	s_add_u32 s4, s24, s4
	s_addc_u32 s5, s25, s5
	global_load_b64 v[2:3], v2, s[4:5]
	v_max_f32_e32 v4, v35, v35
	s_waitcnt vmcnt(0)
	v_dual_max_f32 v6, v36, v36 :: v_dual_max_f32 v5, v2, v2
	s_delay_alu instid0(VALU_DEP_1) | instskip(NEXT) | instid1(VALU_DEP_1)
	v_dual_max_f32 v7, v3, v3 :: v_dual_max_f32 v4, v4, v5
	v_dual_max_f32 v5, v6, v7 :: v_dual_sub_f32 v6, v35, v4
	s_delay_alu instid0(VALU_DEP_1) | instskip(SKIP_2) | instid1(VALU_DEP_4)
	v_sub_f32_e32 v7, v36, v5
	v_dual_sub_f32 v3, v3, v5 :: v_dual_sub_f32 v2, v2, v4
	v_mov_b32_e32 v36, v5
	v_cmp_ngt_f32_e32 vcc_lo, 0xc2ce8ed0, v6
	s_delay_alu instid0(VALU_DEP_4) | instskip(NEXT) | instid1(VALU_DEP_4)
	v_mul_f32_e32 v10, 0x3fb8aa3b, v7
	v_mul_f32_e32 v11, 0x3fb8aa3b, v3
	;; [unrolled: 1-line block ×3, first 2 shown]
	v_mov_b32_e32 v35, v4
	s_delay_alu instid0(VALU_DEP_4) | instskip(NEXT) | instid1(VALU_DEP_4)
	v_fma_f32 v18, 0x3fb8aa3b, v7, -v10
	v_fma_f32 v20, 0x3fb8aa3b, v3, -v11
	s_delay_alu instid0(VALU_DEP_4)
	v_rndne_f32_e32 v15, v9
	v_mul_f32_e32 v8, 0x3fb8aa3b, v6
	v_fma_f32 v14, 0x3fb8aa3b, v2, -v9
	v_rndne_f32_e32 v21, v11
	v_fmac_f32_e32 v20, 0x32a5705f, v3
	v_sub_f32_e32 v9, v9, v15
	v_fma_f32 v12, 0x3fb8aa3b, v6, -v8
	v_rndne_f32_e32 v13, v8
	v_dual_sub_f32 v11, v11, v21 :: v_dual_fmac_f32 v14, 0x32a5705f, v2
	v_rndne_f32_e32 v19, v10
	s_delay_alu instid0(VALU_DEP_2) | instskip(NEXT) | instid1(VALU_DEP_3)
	v_dual_fmac_f32 v12, 0x32a5705f, v6 :: v_dual_add_f32 v11, v11, v20
	v_dual_sub_f32 v8, v8, v13 :: v_dual_add_f32 v9, v9, v14
	s_delay_alu instid0(VALU_DEP_3) | instskip(SKIP_1) | instid1(VALU_DEP_4)
	v_sub_f32_e32 v10, v10, v19
	v_cvt_i32_f32_e32 v14, v19
	v_exp_f32_e32 v11, v11
	s_delay_alu instid0(VALU_DEP_3)
	v_add_f32_e32 v8, v8, v12
	v_exp_f32_e32 v9, v9
	v_cvt_i32_f32_e32 v12, v13
	v_cvt_i32_f32_e32 v13, v15
	;; [unrolled: 1-line block ×3, first 2 shown]
	v_exp_f32_e32 v8, v8
	s_delay_alu instid0(TRANS32_DEP_3) | instid1(VALU_DEP_1)
	v_ldexp_f32 v11, v11, v15
	s_waitcnt_depctr 0xfff
	v_ldexp_f32 v9, v9, v13
	v_ldexp_f32 v8, v8, v12
	s_delay_alu instid0(VALU_DEP_1) | instskip(SKIP_1) | instid1(VALU_DEP_4)
	v_cndmask_b32_e32 v8, 0, v8, vcc_lo
	v_cmp_ngt_f32_e32 vcc_lo, 0xc2ce8ed0, v2
	v_dual_fmac_f32 v18, 0x32a5705f, v7 :: v_dual_cndmask_b32 v9, 0, v9
	s_delay_alu instid0(VALU_DEP_1) | instskip(SKIP_1) | instid1(VALU_DEP_2)
	v_add_f32_e32 v10, v10, v18
	v_cmp_ngt_f32_e32 vcc_lo, 0xc2ce8ed0, v7
	v_exp_f32_e32 v10, v10
	s_waitcnt_depctr 0xfff
	v_ldexp_f32 v10, v10, v14
	s_delay_alu instid0(VALU_DEP_1)
	v_cndmask_b32_e32 v10, 0, v10, vcc_lo
	v_cmp_ngt_f32_e32 vcc_lo, 0xc2ce8ed0, v3
	v_cndmask_b32_e32 v11, 0, v11, vcc_lo
	v_cmp_nlt_f32_e32 vcc_lo, 0x42b17218, v6
	v_cndmask_b32_e32 v6, 0x7f800000, v8, vcc_lo
	v_cmp_nlt_f32_e32 vcc_lo, 0x42b17218, v2
	s_delay_alu instid0(VALU_DEP_2) | instskip(SKIP_2) | instid1(VALU_DEP_3)
	v_cvt_f16_f32_e32 v8, v6
	v_cndmask_b32_e32 v2, 0x7f800000, v9, vcc_lo
	v_cmp_nlt_f32_e32 vcc_lo, 0x42b17218, v7
	v_pk_mul_f16 v58, v8, v58 op_sel_hi:[0,1]
	s_delay_alu instid0(VALU_DEP_3) | instskip(SKIP_3) | instid1(VALU_DEP_4)
	v_fmac_f32_e32 v2, v0, v6
	v_cndmask_b32_e32 v7, 0x7f800000, v10, vcc_lo
	v_cmp_nlt_f32_e32 vcc_lo, 0x42b17218, v3
	v_pk_mul_f16 v59, v8, v59 op_sel_hi:[0,1]
	v_mov_b32_e32 v0, v2
	s_delay_alu instid0(VALU_DEP_4) | instskip(SKIP_1) | instid1(VALU_DEP_2)
	v_cvt_f16_f32_e32 v4, v7
	v_cndmask_b32_e32 v3, 0x7f800000, v11, vcc_lo
	v_pk_mul_f16 v57, v4, v57 op_sel_hi:[0,1]
	s_delay_alu instid0(VALU_DEP_2) | instskip(SKIP_1) | instid1(VALU_DEP_2)
	v_fmac_f32_e32 v3, v1, v7
	v_pk_mul_f16 v54, v4, v54 op_sel_hi:[0,1]
	v_mov_b32_e32 v1, v3
	s_mov_b32 s3, exec_lo
	v_cmpx_gt_i32_e64 s6, v16
	s_cbranch_execnz .LBB83_32
.LBB83_30:
	s_nop 0
	s_sendmsg sendmsg(MSG_DEALLOC_VGPRS)
	s_endpgm
.LBB83_31:
	s_delay_alu instid0(VALU_DEP_1)
	v_dual_mov_b32 v3, v1 :: v_dual_mov_b32 v2, v0
	s_mov_b32 s3, exec_lo
	v_cmpx_gt_i32_e64 s6, v16
	s_cbranch_execz .LBB83_30
.LBB83_32:
	s_load_b32 s1, s[0:1], 0xd4
	v_mov_b32_e32 v6, 1.0
	s_waitcnt lgkmcnt(0)
	s_cmp_lg_u32 s1, 1
	s_cselect_b32 s4, -1, 0
	s_cmp_eq_u32 s1, 1
	s_cselect_b32 s3, -1, 0
	s_and_b32 vcc_lo, exec_lo, s4
	s_cbranch_vccnz .LBB83_34
; %bb.33:
	v_div_scale_f32 v4, null, v0, v0, 1.0
	s_delay_alu instid0(VALU_DEP_1) | instskip(SKIP_2) | instid1(VALU_DEP_1)
	v_rcp_f32_e32 v5, v4
	s_waitcnt_depctr 0xfff
	v_fma_f32 v6, -v4, v5, 1.0
	v_fmac_f32_e32 v5, v6, v5
	v_div_scale_f32 v6, vcc_lo, 1.0, v0, 1.0
	s_delay_alu instid0(VALU_DEP_1) | instskip(NEXT) | instid1(VALU_DEP_1)
	v_mul_f32_e32 v7, v6, v5
	v_fma_f32 v8, -v4, v7, v6
	s_delay_alu instid0(VALU_DEP_1) | instskip(NEXT) | instid1(VALU_DEP_1)
	v_fmac_f32_e32 v7, v8, v5
	v_fma_f32 v4, -v4, v7, v6
	s_delay_alu instid0(VALU_DEP_1) | instskip(NEXT) | instid1(VALU_DEP_1)
	v_div_fmas_f32 v4, v4, v5, v7
	v_div_fixup_f32 v6, v4, v0, 1.0
.LBB83_34:
	v_mad_u64_u32 v[4:5], null, s12, s6, v[16:17]
	v_cvt_f32_f16_e32 v9, v58
	v_lshrrev_b32_e32 v0, 16, v58
	v_cvt_f32_f16_e32 v10, v59
	v_cmp_eq_u32_e32 vcc_lo, 0, v17
	s_delay_alu instid0(VALU_DEP_3) | instskip(SKIP_2) | instid1(VALU_DEP_2)
	v_cvt_f32_f16_e32 v0, v0
	v_mad_u64_u32 v[7:8], null, v4, s7, s[2:3]
	v_mov_b32_e32 v8, 0
	v_mad_u64_u32 v[4:5], null, s1, v7, s[14:15]
	v_lshrrev_b32_e32 v5, 16, v59
	s_delay_alu instid0(VALU_DEP_1) | instskip(NEXT) | instid1(VALU_DEP_3)
	v_cvt_f32_f16_e32 v5, v5
	v_lshl_add_u32 v7, v4, 7, v37
	s_delay_alu instid0(VALU_DEP_1)
	v_lshlrev_b64 v[11:12], 2, v[7:8]
	v_mul_f32_e32 v7, v6, v9
	v_mul_f32_e32 v9, v6, v10
	;; [unrolled: 1-line block ×4, first 2 shown]
	v_add_co_u32 v5, s0, s28, v11
	s_delay_alu instid0(VALU_DEP_1)
	v_add_co_ci_u32_e64 v6, s0, s29, v12, s0
	s_and_b32 s0, vcc_lo, s4
	global_store_b128 v[5:6], v[7:10], off
	s_and_saveexec_b32 s2, s0
	s_cbranch_execz .LBB83_36
; %bb.35:
	v_ashrrev_i32_e32 v5, 31, v4
	v_dual_mov_b32 v7, v35 :: v_dual_mov_b32 v8, v2
	s_delay_alu instid0(VALU_DEP_2) | instskip(NEXT) | instid1(VALU_DEP_1)
	v_lshlrev_b64 v[5:6], 3, v[4:5]
	v_add_co_u32 v5, vcc_lo, s30, v5
	s_delay_alu instid0(VALU_DEP_2)
	v_add_co_ci_u32_e32 v6, vcc_lo, s31, v6, vcc_lo
	global_store_b64 v[5:6], v[7:8], off
.LBB83_36:
	s_or_b32 exec_lo, exec_lo, s2
	v_mov_b32_e32 v2, 1.0
	s_and_not1_b32 vcc_lo, exec_lo, s3
	s_cbranch_vccnz .LBB83_38
; %bb.37:
	v_div_scale_f32 v0, null, v1, v1, 1.0
	s_delay_alu instid0(VALU_DEP_1) | instskip(SKIP_2) | instid1(VALU_DEP_1)
	v_rcp_f32_e32 v2, v0
	s_waitcnt_depctr 0xfff
	v_fma_f32 v5, -v0, v2, 1.0
	v_fmac_f32_e32 v2, v5, v2
	v_div_scale_f32 v5, vcc_lo, 1.0, v1, 1.0
	s_delay_alu instid0(VALU_DEP_1) | instskip(NEXT) | instid1(VALU_DEP_1)
	v_mul_f32_e32 v6, v5, v2
	v_fma_f32 v7, -v0, v6, v5
	s_delay_alu instid0(VALU_DEP_1) | instskip(NEXT) | instid1(VALU_DEP_1)
	v_fmac_f32_e32 v6, v7, v2
	v_fma_f32 v0, -v0, v6, v5
	s_delay_alu instid0(VALU_DEP_1) | instskip(NEXT) | instid1(VALU_DEP_1)
	v_div_fmas_f32 v0, v0, v2, v6
	v_div_fixup_f32 v2, v0, v1, 1.0
.LBB83_38:
	v_dual_mov_b32 v5, 0 :: v_dual_add_nc_u32 v0, s1, v4
	v_lshrrev_b32_e32 v1, 16, v57
	v_lshrrev_b32_e32 v6, 16, v54
	v_cvt_f32_f16_e32 v7, v57
	s_delay_alu instid0(VALU_DEP_4) | instskip(SKIP_3) | instid1(VALU_DEP_4)
	v_lshl_add_u32 v4, v0, 7, v37
	v_cvt_f32_f16_e32 v10, v54
	v_cvt_f32_f16_e32 v1, v1
	;; [unrolled: 1-line block ×3, first 2 shown]
	v_lshlrev_b64 v[8:9], 2, v[4:5]
	v_mul_f32_e32 v4, v2, v7
	s_delay_alu instid0(VALU_DEP_4)
	v_mul_f32_e32 v5, v2, v1
	v_mul_f32_e32 v6, v2, v10
	;; [unrolled: 1-line block ×3, first 2 shown]
	v_add_co_u32 v1, vcc_lo, s28, v8
	v_add_co_ci_u32_e32 v2, vcc_lo, s29, v9, vcc_lo
	global_store_b128 v[1:2], v[4:7], off
	s_and_b32 exec_lo, exec_lo, s0
	s_cbranch_execz .LBB83_30
; %bb.39:
	v_ashrrev_i32_e32 v1, 31, v0
	v_mov_b32_e32 v2, v36
	s_delay_alu instid0(VALU_DEP_2) | instskip(NEXT) | instid1(VALU_DEP_1)
	v_lshlrev_b64 v[0:1], 3, v[0:1]
	v_add_co_u32 v0, vcc_lo, s30, v0
	s_delay_alu instid0(VALU_DEP_2)
	v_add_co_ci_u32_e32 v1, vcc_lo, s31, v1, vcc_lo
	global_store_b64 v[0:1], v[2:3], off
	s_nop 0
	s_sendmsg sendmsg(MSG_DEALLOC_VGPRS)
	s_endpgm
	.section	.rodata,"a",@progbits
	.p2align	6, 0x0
	.amdhsa_kernel _ZL15flash_attn_tileILi128ELi128ELi4ELi2ELb1EEvPKcS1_S1_S1_S1_PKiPfP15HIP_vector_typeIfLj2EEffffjfiS5_IjLj3EEiiiiiiiiiiiliiliiiiil
		.amdhsa_group_segment_fixed_size 12288
		.amdhsa_private_segment_fixed_size 0
		.amdhsa_kernarg_size 464
		.amdhsa_user_sgpr_count 13
		.amdhsa_user_sgpr_dispatch_ptr 0
		.amdhsa_user_sgpr_queue_ptr 0
		.amdhsa_user_sgpr_kernarg_segment_ptr 1
		.amdhsa_user_sgpr_dispatch_id 0
		.amdhsa_user_sgpr_private_segment_size 0
		.amdhsa_wavefront_size32 1
		.amdhsa_uses_dynamic_stack 0
		.amdhsa_enable_private_segment 0
		.amdhsa_system_sgpr_workgroup_id_x 1
		.amdhsa_system_sgpr_workgroup_id_y 1
		.amdhsa_system_sgpr_workgroup_id_z 1
		.amdhsa_system_sgpr_workgroup_info 0
		.amdhsa_system_vgpr_workitem_id 1
		.amdhsa_next_free_vgpr 176
		.amdhsa_next_free_sgpr 40
		.amdhsa_reserve_vcc 1
		.amdhsa_float_round_mode_32 0
		.amdhsa_float_round_mode_16_64 0
		.amdhsa_float_denorm_mode_32 3
		.amdhsa_float_denorm_mode_16_64 3
		.amdhsa_dx10_clamp 1
		.amdhsa_ieee_mode 1
		.amdhsa_fp16_overflow 0
		.amdhsa_workgroup_processor_mode 1
		.amdhsa_memory_ordered 1
		.amdhsa_forward_progress 0
		.amdhsa_shared_vgpr_count 0
		.amdhsa_exception_fp_ieee_invalid_op 0
		.amdhsa_exception_fp_denorm_src 0
		.amdhsa_exception_fp_ieee_div_zero 0
		.amdhsa_exception_fp_ieee_overflow 0
		.amdhsa_exception_fp_ieee_underflow 0
		.amdhsa_exception_fp_ieee_inexact 0
		.amdhsa_exception_int_div_zero 0
	.end_amdhsa_kernel
	.section	.text._ZL15flash_attn_tileILi128ELi128ELi4ELi2ELb1EEvPKcS1_S1_S1_S1_PKiPfP15HIP_vector_typeIfLj2EEffffjfiS5_IjLj3EEiiiiiiiiiiiliiliiiiil,"axG",@progbits,_ZL15flash_attn_tileILi128ELi128ELi4ELi2ELb1EEvPKcS1_S1_S1_S1_PKiPfP15HIP_vector_typeIfLj2EEffffjfiS5_IjLj3EEiiiiiiiiiiiliiliiiiil,comdat
.Lfunc_end83:
	.size	_ZL15flash_attn_tileILi128ELi128ELi4ELi2ELb1EEvPKcS1_S1_S1_S1_PKiPfP15HIP_vector_typeIfLj2EEffffjfiS5_IjLj3EEiiiiiiiiiiiliiliiiiil, .Lfunc_end83-_ZL15flash_attn_tileILi128ELi128ELi4ELi2ELb1EEvPKcS1_S1_S1_S1_PKiPfP15HIP_vector_typeIfLj2EEffffjfiS5_IjLj3EEiiiiiiiiiiiliiliiiiil
                                        ; -- End function
	.section	.AMDGPU.csdata,"",@progbits
; Kernel info:
; codeLenInByte = 14864
; NumSgprs: 42
; NumVgprs: 176
; ScratchSize: 0
; MemoryBound: 0
; FloatMode: 240
; IeeeMode: 1
; LDSByteSize: 12288 bytes/workgroup (compile time only)
; SGPRBlocks: 5
; VGPRBlocks: 21
; NumSGPRsForWavesPerEU: 42
; NumVGPRsForWavesPerEU: 176
; Occupancy: 8
; WaveLimiterHint : 1
; COMPUTE_PGM_RSRC2:SCRATCH_EN: 0
; COMPUTE_PGM_RSRC2:USER_SGPR: 13
; COMPUTE_PGM_RSRC2:TRAP_HANDLER: 0
; COMPUTE_PGM_RSRC2:TGID_X_EN: 1
; COMPUTE_PGM_RSRC2:TGID_Y_EN: 1
; COMPUTE_PGM_RSRC2:TGID_Z_EN: 1
; COMPUTE_PGM_RSRC2:TIDIG_COMP_CNT: 1
	.section	.text._ZL15flash_attn_tileILi128ELi128ELi2ELi2ELb1EEvPKcS1_S1_S1_S1_PKiPfP15HIP_vector_typeIfLj2EEffffjfiS5_IjLj3EEiiiiiiiiiiiliiliiiiil,"axG",@progbits,_ZL15flash_attn_tileILi128ELi128ELi2ELi2ELb1EEvPKcS1_S1_S1_S1_PKiPfP15HIP_vector_typeIfLj2EEffffjfiS5_IjLj3EEiiiiiiiiiiiliiliiiiil,comdat
	.globl	_ZL15flash_attn_tileILi128ELi128ELi2ELi2ELb1EEvPKcS1_S1_S1_S1_PKiPfP15HIP_vector_typeIfLj2EEffffjfiS5_IjLj3EEiiiiiiiiiiiliiliiiiil ; -- Begin function _ZL15flash_attn_tileILi128ELi128ELi2ELi2ELb1EEvPKcS1_S1_S1_S1_PKiPfP15HIP_vector_typeIfLj2EEffffjfiS5_IjLj3EEiiiiiiiiiiiliiliiiiil
	.p2align	8
	.type	_ZL15flash_attn_tileILi128ELi128ELi2ELi2ELb1EEvPKcS1_S1_S1_S1_PKiPfP15HIP_vector_typeIfLj2EEffffjfiS5_IjLj3EEiiiiiiiiiiiliiliiiiil,@function
_ZL15flash_attn_tileILi128ELi128ELi2ELi2ELb1EEvPKcS1_S1_S1_S1_PKiPfP15HIP_vector_typeIfLj2EEffffjfiS5_IjLj3EEiiiiiiiiiiiliiliiiiil: ; @_ZL15flash_attn_tileILi128ELi128ELi2ELi2ELb1EEvPKcS1_S1_S1_S1_PKiPfP15HIP_vector_typeIfLj2EEffffjfiS5_IjLj3EEiiiiiiiiiiiliiliiiiil
; %bb.0:
	s_clause 0x1
	s_load_b128 s[4:7], s[0:1], 0x5c
	s_load_b64 s[2:3], s[0:1], 0x80
	s_mov_b64 s[34:35], 0
	s_waitcnt lgkmcnt(0)
	s_lshr_b32 s8, s7, 31
	s_delay_alu instid0(SALU_CYCLE_1) | instskip(NEXT) | instid1(SALU_CYCLE_1)
	s_add_i32 s8, s7, s8
	s_ashr_i32 s8, s8, 1
	s_delay_alu instid0(SALU_CYCLE_1) | instskip(SKIP_1) | instid1(VALU_DEP_1)
	v_cvt_f32_u32_e32 v1, s8
	s_sub_i32 s10, 0, s8
	v_rcp_iflag_f32_e32 v1, v1
	s_waitcnt_depctr 0xfff
	v_mul_f32_e32 v1, 0x4f7ffffe, v1
	s_delay_alu instid0(VALU_DEP_1) | instskip(NEXT) | instid1(VALU_DEP_1)
	v_cvt_u32_f32_e32 v1, v1
	v_readfirstlane_b32 s9, v1
	s_delay_alu instid0(VALU_DEP_1) | instskip(NEXT) | instid1(SALU_CYCLE_1)
	s_mul_i32 s10, s10, s9
	s_mul_hi_u32 s10, s9, s10
	s_delay_alu instid0(SALU_CYCLE_1) | instskip(NEXT) | instid1(SALU_CYCLE_1)
	s_add_i32 s9, s9, s10
	s_mul_hi_u32 s9, s15, s9
	s_delay_alu instid0(SALU_CYCLE_1) | instskip(SKIP_2) | instid1(SALU_CYCLE_1)
	s_mul_i32 s10, s9, s8
	s_add_i32 s11, s9, 1
	s_sub_i32 s10, s15, s10
	s_sub_i32 s12, s10, s8
	s_cmp_ge_u32 s10, s8
	s_cselect_b32 s9, s11, s9
	s_cselect_b32 s10, s12, s10
	s_add_i32 s11, s9, 1
	s_cmp_ge_u32 s10, s8
	s_cselect_b32 s12, s11, s9
	s_abs_i32 s8, s3
	s_abs_i32 s16, s7
	v_cvt_f32_u32_e32 v1, s8
	s_sub_i32 s10, 0, s8
	s_lshl_b32 s11, s15, 1
	s_mul_i32 s15, s12, s7
	s_xor_b32 s3, s7, s3
	v_rcp_iflag_f32_e32 v1, v1
	s_sub_i32 s15, s11, s15
	s_ashr_i32 s3, s3, 31
	s_waitcnt_depctr 0xfff
	v_mul_f32_e32 v1, 0x4f7ffffe, v1
	s_delay_alu instid0(VALU_DEP_1) | instskip(NEXT) | instid1(VALU_DEP_1)
	v_cvt_u32_f32_e32 v1, v1
	v_readfirstlane_b32 s9, v1
	s_delay_alu instid0(VALU_DEP_1) | instskip(NEXT) | instid1(SALU_CYCLE_1)
	s_mul_i32 s10, s10, s9
	s_mul_hi_u32 s10, s9, s10
	s_delay_alu instid0(SALU_CYCLE_1) | instskip(NEXT) | instid1(SALU_CYCLE_1)
	s_add_i32 s9, s9, s10
	s_mul_hi_u32 s9, s16, s9
	s_delay_alu instid0(SALU_CYCLE_1) | instskip(SKIP_2) | instid1(SALU_CYCLE_1)
	s_mul_i32 s10, s9, s8
	s_add_i32 s11, s9, 1
	s_sub_i32 s10, s16, s10
	s_sub_i32 s16, s10, s8
	s_cmp_ge_u32 s10, s8
	s_cselect_b32 s9, s11, s9
	s_cselect_b32 s10, s16, s10
	s_add_i32 s11, s9, 1
	s_cmp_ge_u32 s10, s8
	s_clause 0x1
	s_load_b512 s[16:31], s[0:1], 0x0
	s_load_b64 s[36:37], s[0:1], 0xb8
	s_cselect_b32 s8, s11, s9
	s_delay_alu instid0(SALU_CYCLE_1) | instskip(NEXT) | instid1(SALU_CYCLE_1)
	s_xor_b32 s8, s8, s3
	s_sub_i32 s38, s8, s3
	s_delay_alu instid0(SALU_CYCLE_1) | instskip(NEXT) | instid1(SALU_CYCLE_1)
	s_abs_i32 s33, s38
	v_cvt_f32_u32_e32 v1, s33
	s_delay_alu instid0(VALU_DEP_1) | instskip(SKIP_4) | instid1(VALU_DEP_1)
	v_rcp_iflag_f32_e32 v1, v1
	s_waitcnt lgkmcnt(0)
	s_cmp_eq_u64 s[22:23], 0
	s_waitcnt_depctr 0xfff
	v_mul_f32_e32 v1, 0x4f7ffffe, v1
	v_cvt_u32_f32_e32 v1, v1
	s_delay_alu instid0(VALU_DEP_1)
	v_readfirstlane_b32 s39, v1
	s_cbranch_scc1 .LBB84_2
; %bb.1:
	s_abs_i32 s3, s36
	s_abs_i32 s10, s12
	v_cvt_f32_u32_e32 v1, s3
	s_sub_i32 s9, 0, s3
	s_delay_alu instid0(VALU_DEP_1) | instskip(SKIP_2) | instid1(VALU_DEP_1)
	v_rcp_iflag_f32_e32 v1, v1
	s_waitcnt_depctr 0xfff
	v_mul_f32_e32 v1, 0x4f7ffffe, v1
	v_cvt_u32_f32_e32 v1, v1
	s_delay_alu instid0(VALU_DEP_1) | instskip(NEXT) | instid1(VALU_DEP_1)
	v_readfirstlane_b32 s8, v1
	s_mul_i32 s9, s9, s8
	s_delay_alu instid0(SALU_CYCLE_1) | instskip(NEXT) | instid1(SALU_CYCLE_1)
	s_mul_hi_u32 s9, s8, s9
	s_add_i32 s11, s8, s9
	s_load_b64 s[8:9], s[0:1], 0xc8
	s_mul_hi_u32 s11, s10, s11
	s_delay_alu instid0(SALU_CYCLE_1) | instskip(NEXT) | instid1(SALU_CYCLE_1)
	s_mul_i32 s11, s11, s3
	s_sub_i32 s10, s10, s11
	s_ashr_i32 s11, s12, 31
	s_sub_i32 s34, s10, s3
	s_cmp_ge_u32 s10, s3
	s_cselect_b32 s10, s34, s10
	s_delay_alu instid0(SALU_CYCLE_1) | instskip(SKIP_2) | instid1(SALU_CYCLE_1)
	s_sub_i32 s34, s10, s3
	s_cmp_ge_u32 s10, s3
	s_cselect_b32 s3, s34, s10
	s_xor_b32 s3, s3, s11
	s_delay_alu instid0(SALU_CYCLE_1)
	s_sub_i32 s3, s3, s11
	s_waitcnt lgkmcnt(0)
	s_mul_i32 s9, s3, s9
	s_mul_hi_u32 s10, s3, s8
	s_ashr_i32 s11, s3, 31
	s_add_i32 s9, s10, s9
	s_mul_i32 s11, s11, s8
	s_mul_i32 s3, s3, s8
	s_add_i32 s9, s9, s11
	s_add_u32 s34, s22, s3
	s_addc_u32 s35, s23, s9
.LBB84_2:
	v_bfe_u32 v1, v0, 10, 10
	s_load_b128 s[8:11], s[0:1], 0x70
	v_and_b32_e32 v16, 0x3ff, v0
	s_delay_alu instid0(VALU_DEP_2) | instskip(NEXT) | instid1(VALU_DEP_2)
	v_lshrrev_b32_e32 v2, 1, v1
	v_lshlrev_b32_e32 v9, 1, v16
	s_delay_alu instid0(VALU_DEP_2) | instskip(NEXT) | instid1(VALU_DEP_1)
	v_lshl_add_u32 v17, s13, 1, v2
	v_mul_hi_u32 v2, s4, v17
	s_waitcnt lgkmcnt(0)
	s_mul_i32 s3, s12, s10
	s_mul_i32 s4, s15, s9
	s_delay_alu instid0(VALU_DEP_1) | instskip(NEXT) | instid1(VALU_DEP_1)
	v_add_nc_u32_e32 v2, v17, v2
	v_lshrrev_b32_e32 v2, s5, v2
	s_ashr_i32 s5, s3, 31
	s_add_u32 s3, s16, s3
	s_addc_u32 s5, s17, s5
	s_ashr_i32 s10, s4, 31
	v_mul_lo_u32 v2, v2, s6
	s_add_u32 s3, s3, s4
	s_addc_u32 s4, s5, s10
	s_ashr_i32 s5, s8, 31
	s_delay_alu instid0(SALU_CYCLE_1) | instskip(SKIP_2) | instid1(VALU_DEP_2)
	v_alignbit_b32 v5, s5, s8, 2
	s_ashr_i32 s8, s9, 31
	s_lshr_b32 s5, s5, 2
	v_sub_nc_u32_e32 v2, v17, v2
	s_lshr_b32 s10, s8, 2
	s_cmp_eq_u64 s[26:27], 0
	s_delay_alu instid0(VALU_DEP_1) | instskip(SKIP_1) | instid1(VALU_DEP_1)
	v_mad_u64_u32 v[3:4], null, v5, v2, 0
	v_alignbit_b32 v5, s8, s9, 2
	v_mad_u64_u32 v[7:8], null, s5, v2, v[4:5]
	s_delay_alu instid0(VALU_DEP_1) | instskip(NEXT) | instid1(VALU_DEP_1)
	v_dual_mov_b32 v4, v7 :: v_dual_and_b32 v37, 1, v1
	v_mul_lo_u32 v6, s10, v37
	v_mul_lo_u32 v5, v5, v37
	s_delay_alu instid0(VALU_DEP_3) | instskip(NEXT) | instid1(VALU_DEP_2)
	v_lshlrev_b64 v[3:4], 2, v[3:4]
	v_lshlrev_b64 v[5:6], 2, v[5:6]
	s_delay_alu instid0(VALU_DEP_1) | instskip(NEXT) | instid1(VALU_DEP_2)
	v_add_co_u32 v0, vcc_lo, s3, v5
	v_add_co_ci_u32_e32 v5, vcc_lo, s4, v6, vcc_lo
	v_lshlrev_b32_e32 v6, 4, v16
	s_delay_alu instid0(VALU_DEP_3) | instskip(NEXT) | instid1(VALU_DEP_3)
	v_add_co_u32 v0, vcc_lo, v0, v3
	v_add_co_ci_u32_e32 v4, vcc_lo, v5, v4, vcc_lo
	s_load_b32 s3, s[0:1], 0x40
	s_delay_alu instid0(VALU_DEP_2) | instskip(NEXT) | instid1(VALU_DEP_2)
	v_add_co_u32 v3, vcc_lo, v0, v6
	v_add_co_ci_u32_e32 v4, vcc_lo, 0, v4, vcc_lo
	v_lshlrev_b32_e32 v0, 6, v1
	global_load_b128 v[3:6], v[3:4], off
	v_add_lshl_u32 v0, v0, v9, 2
	s_waitcnt vmcnt(0) lgkmcnt(0)
	v_fma_mixlo_f16 v8, v5, s3, 0
	v_fma_mixlo_f16 v7, v3, s3, 0
	s_delay_alu instid0(VALU_DEP_2) | instskip(NEXT) | instid1(VALU_DEP_2)
	v_fma_mixhi_f16 v8, v6, s3, 0
	v_fma_mixhi_f16 v7, v4, s3, 0
	ds_store_b64 v0, v[7:8] offset:9216
	s_waitcnt lgkmcnt(0)
	s_barrier
	buffer_gl0_inv
	s_cbranch_scc1 .LBB84_4
; %bb.3:
	s_load_b32 s2, s[0:1], 0xd0
	s_mov_b32 s3, 0
	s_waitcnt lgkmcnt(0)
	s_mul_i32 s2, s2, s12
	s_delay_alu instid0(SALU_CYCLE_1) | instskip(NEXT) | instid1(SALU_CYCLE_1)
	s_add_i32 s2, s2, s13
	s_lshl_b64 s[2:3], s[2:3], 2
	s_delay_alu instid0(SALU_CYCLE_1)
	s_add_u32 s2, s26, s2
	s_addc_u32 s3, s27, s3
	s_load_b32 s2, s[2:3], 0x0
.LBB84_4:
	v_mbcnt_lo_u32_b32 v36, -1, 0
	s_lshl_b32 s3, s14, 6
	s_waitcnt lgkmcnt(0)
	s_cmp_lt_i32 s3, s2
	s_cbranch_scc1 .LBB84_6
; %bb.5:
	v_mbcnt_lo_u32_b32 v3, -1, 0
	v_mov_b32_e32 v0, 32
	s_mov_b32 s4, 0
	s_mov_b32 s5, 0xfeffffff
	s_delay_alu instid0(VALU_DEP_2)
	v_xor_b32_e32 v58, 16, v3
	v_xor_b32_e32 v59, 8, v3
	;; [unrolled: 1-line block ×5, first 2 shown]
	s_branch .LBB84_7
.LBB84_6:
	s_mov_b32 s4, -1
                                        ; implicit-def: $sgpr5
                                        ; implicit-def: $vgpr3
                                        ; implicit-def: $vgpr0
                                        ; implicit-def: $vgpr58
                                        ; implicit-def: $vgpr59
                                        ; implicit-def: $vgpr60
                                        ; implicit-def: $vgpr61
                                        ; implicit-def: $vgpr62
.LBB84_7:
	s_delay_alu instid0(SALU_CYCLE_1) | instskip(SKIP_3) | instid1(VALU_DEP_4)
	v_cndmask_b32_e64 v4, 0, 1, s4
	v_dual_mov_b32 v56, s4 :: v_dual_mov_b32 v35, s5
	v_lshlrev_b32_e32 v38, 2, v16
	v_mov_b32_e32 v54, s4
	v_cmp_ne_u32_e32 vcc_lo, 1, v4
	v_mov_b32_e32 v4, s4
	s_cbranch_vccnz .LBB84_20
; %bb.8:
	s_clause 0x1
	s_load_b128 s[8:11], s[0:1], 0x98
	s_load_b64 s[4:5], s[0:1], 0x8c
	s_sub_i32 s13, 0, s33
	s_abs_i32 s22, s15
	s_mul_i32 s13, s13, s39
	s_ashr_i32 s27, s37, 1
	s_mul_hi_u32 s13, s39, s13
	s_ashr_i32 s37, s12, 31
	s_add_i32 s39, s39, s13
	s_ashr_i32 s23, s15, 31
	s_mul_hi_u32 s36, s22, s39
	s_ashr_i32 s26, s38, 31
	s_load_b64 s[16:17], s[0:1], 0xa8
	s_mul_i32 s38, s36, s33
	v_lshrrev_b32_e32 v0, 3, v16
	v_dual_mov_b32 v54, 0 :: v_dual_and_b32 v15, 28, v38
	v_lshrrev_b32_e32 v6, 4, v16
	v_mov_b32_e32 v57, 0xfeffffff
	s_delay_alu instid0(VALU_DEP_4)
	v_lshl_add_u32 v0, v1, 2, v0
	s_waitcnt lgkmcnt(0)
	s_mul_i32 s39, s37, s8
	s_ashr_i32 s13, s4, 2
	s_mul_i32 s4, s12, s9
	s_mul_hi_u32 s9, s12, s8
	s_mul_i32 s8, s12, s8
	s_add_i32 s4, s9, s4
	s_ashr_i32 s10, s10, 2
	s_add_i32 s4, s4, s39
	s_add_u32 s8, s18, s8
	s_addc_u32 s4, s19, s4
	s_sub_i32 s18, s22, s38
	s_xor_b32 s9, s23, s26
	s_add_i32 s19, s36, 1
	s_sub_i32 s22, s18, s33
	s_cmp_ge_u32 s18, s33
	s_mul_i32 s17, s12, s17
	s_cselect_b32 s19, s19, s36
	s_cselect_b32 s18, s22, s18
	s_add_i32 s22, s19, 1
	s_cmp_ge_u32 s18, s33
	s_mul_i32 s37, s37, s16
	s_cselect_b32 s18, s22, s19
	s_mul_hi_u32 s19, s12, s16
	s_xor_b32 s18, s18, s9
	v_mul_lo_u32 v3, s13, v0
	s_sub_i32 s18, s18, s9
	s_mul_i32 s16, s12, s16
	s_mul_i32 s5, s18, s5
	;; [unrolled: 1-line block ×3, first 2 shown]
	s_ashr_i32 s9, s5, 31
	s_add_u32 s8, s8, s5
	s_addc_u32 s9, s4, s9
	s_add_i32 s4, s19, s17
	v_lshlrev_b32_e32 v4, 2, v15
	s_add_i32 s4, s4, s37
	s_add_u32 s5, s20, s16
	s_addc_u32 s4, s21, s4
	s_ashr_i32 s16, s18, 31
	s_add_u32 s11, s5, s18
	s_addc_u32 s16, s4, s16
	s_lshl_b32 s4, s13, 4
	v_lshl_add_u32 v12, v1, 1, v6
	v_dual_mov_b32 v56, 0 :: v_dual_add_nc_u32 v5, s4, v3
	v_mad_u32_u24 v39, 0x90, v0, v4
	v_and_b32_e32 v29, 60, v38
	s_delay_alu instid0(VALU_DEP_4) | instskip(NEXT) | instid1(VALU_DEP_4)
	v_mul_lo_u32 v0, s10, v12
	v_add_nc_u32_e32 v7, s4, v5
	s_load_b32 s17, s[0:1], 0x54
	v_ashrrev_i32_e32 v4, 31, v3
	v_lshlrev_b32_e32 v13, 2, v29
	v_ashrrev_i32_e32 v6, 31, v5
	v_add_nc_u32_e32 v9, s4, v7
	s_lshl_b32 s4, s10, 3
	v_ashrrev_i32_e32 v8, 31, v7
	v_add_nc_u32_e32 v11, s4, v0
	v_lshl_or_b32 v46, v12, 8, v13
	v_ashrrev_i32_e32 v10, 31, v9
	v_lshl_add_u32 v43, v1, 8, 0x2400
	v_lshl_add_u32 v45, v1, 7, 0x2800
	v_add_nc_u32_e32 v13, s4, v11
	v_ashrrev_i32_e32 v1, 31, v0
	v_ashrrev_i32_e32 v12, 31, v11
	v_mad_u64_u32 v[18:19], null, v2, s27, v[16:17]
	s_delay_alu instid0(VALU_DEP_4)
	v_add_nc_u32_e32 v33, s4, v13
	v_ashrrev_i32_e32 v14, 31, v13
	v_lshlrev_b64 v[19:20], 2, v[3:4]
	v_lshlrev_b64 v[21:22], 2, v[5:6]
	;; [unrolled: 1-line block ×3, first 2 shown]
	v_ashrrev_i32_e32 v34, 31, v33
	v_lshlrev_b64 v[25:26], 2, v[9:10]
	v_lshlrev_b64 v[27:28], 2, v[0:1]
	v_lshlrev_b32_e32 v53, 2, v29
	v_lshlrev_b64 v[29:30], 2, v[11:12]
	v_lshlrev_b64 v[31:32], 2, v[13:14]
	;; [unrolled: 1-line block ×3, first 2 shown]
	v_dual_mov_b32 v55, 0 :: v_dual_add_nc_u32 v40, 0x900, v39
	v_add_nc_u32_e32 v41, 0x1200, v39
	v_add_nc_u32_e32 v42, 0x1b00, v39
	v_mul_u32_u24_e32 v44, 0x90, v16
	v_lshl_add_u32 v47, v16, 1, v45
	v_add_nc_u32_e32 v48, 0x800, v46
	v_add_nc_u32_e32 v49, 0x1000, v46
	v_add_nc_u32_e32 v50, 0x1800, v46
	v_lshlrev_b32_e32 v51, 3, v16
	v_lshlrev_b32_e32 v52, 2, v15
	s_add_u32 s4, s0, 0xd0
	s_addc_u32 s5, s1, 0
	s_mov_b32 s18, 0xbbbac73d
.LBB84_9:                               ; =>This Inner Loop Header: Depth=1
	s_mul_hi_i32 s21, s3, s13
	s_mul_i32 s20, s3, s13
	v_dual_mov_b32 v35, 0 :: v_dual_mov_b32 v58, 0
	s_lshl_b64 s[20:21], s[20:21], 2
	s_delay_alu instid0(SALU_CYCLE_1)
	s_add_u32 s19, s8, s20
	s_addc_u32 s20, s9, s21
	v_add_co_u32 v0, vcc_lo, s19, v19
	v_add_co_ci_u32_e32 v1, vcc_lo, s20, v20, vcc_lo
	v_add_co_u32 v2, vcc_lo, s19, v21
	v_add_co_ci_u32_e32 v3, vcc_lo, s20, v22, vcc_lo
	s_delay_alu instid0(VALU_DEP_4) | instskip(NEXT) | instid1(VALU_DEP_4)
	v_add_co_u32 v59, vcc_lo, v0, v52
	v_add_co_ci_u32_e32 v60, vcc_lo, 0, v1, vcc_lo
	s_delay_alu instid0(VALU_DEP_4) | instskip(NEXT) | instid1(VALU_DEP_4)
	v_add_co_u32 v61, vcc_lo, v2, v52
	v_add_co_ci_u32_e32 v62, vcc_lo, 0, v3, vcc_lo
	v_add_co_u32 v0, vcc_lo, s19, v23
	v_add_co_ci_u32_e32 v1, vcc_lo, s20, v24, vcc_lo
	;; [unrolled: 2-line block ×3, first 2 shown]
	s_delay_alu instid0(VALU_DEP_4) | instskip(NEXT) | instid1(VALU_DEP_4)
	v_add_co_u32 v63, vcc_lo, v0, v52
	v_add_co_ci_u32_e32 v64, vcc_lo, 0, v1, vcc_lo
	s_delay_alu instid0(VALU_DEP_4) | instskip(NEXT) | instid1(VALU_DEP_4)
	v_add_co_u32 v65, vcc_lo, v2, v52
	v_add_co_ci_u32_e32 v66, vcc_lo, 0, v3, vcc_lo
	s_clause 0x3
	global_load_b128 v[0:3], v[59:60], off
	global_load_b128 v[4:7], v[61:62], off
	;; [unrolled: 1-line block ×4, first 2 shown]
	s_waitcnt vmcnt(3)
	ds_store_b128 v39, v[0:3]
	s_waitcnt vmcnt(2)
	ds_store_b128 v40, v[4:7]
	;; [unrolled: 2-line block ×4, first 2 shown]
	s_waitcnt lgkmcnt(0)
	s_barrier
	buffer_gl0_inv
	ds_load_b128 v[0:3], v44
	ds_load_b128 v[4:7], v43
	ds_load_b128 v[8:11], v44 offset:4608
	s_waitcnt lgkmcnt(1)
	;;#ASMSTART
	v_dot2_f32_f16 v35, v0, v4, v35
	;;#ASMEND
	;;#ASMSTART
	v_dot2_f32_f16 v35, v1, v5, v35
	;;#ASMEND
	;;#ASMSTART
	v_dot2_f32_f16 v35, v2, v6, v35
	;;#ASMEND
	;;#ASMSTART
	v_dot2_f32_f16 v35, v3, v7, v35
	;;#ASMEND
	s_waitcnt lgkmcnt(0)
	;;#ASMSTART
	v_dot2_f32_f16 v58, v8, v4, v58
	;;#ASMEND
	;;#ASMSTART
	v_dot2_f32_f16 v58, v9, v5, v58
	;;#ASMEND
	;;#ASMSTART
	v_dot2_f32_f16 v58, v10, v6, v58
	;;#ASMEND
	;;#ASMSTART
	v_dot2_f32_f16 v58, v11, v7, v58
	;;#ASMEND
	ds_load_b128 v[0:3], v44 offset:16
	ds_load_b128 v[4:7], v43 offset:16
	ds_load_b128 v[8:11], v44 offset:4624
	s_waitcnt lgkmcnt(1)
	;;#ASMSTART
	v_dot2_f32_f16 v35, v0, v4, v35
	;;#ASMEND
	;;#ASMSTART
	v_dot2_f32_f16 v35, v1, v5, v35
	;;#ASMEND
	;;#ASMSTART
	v_dot2_f32_f16 v35, v2, v6, v35
	;;#ASMEND
	;;#ASMSTART
	v_dot2_f32_f16 v35, v3, v7, v35
	;;#ASMEND
	s_waitcnt lgkmcnt(0)
	;;#ASMSTART
	v_dot2_f32_f16 v58, v8, v4, v58
	;;#ASMEND
	;;#ASMSTART
	v_dot2_f32_f16 v58, v9, v5, v58
	;;#ASMEND
	;;#ASMSTART
	v_dot2_f32_f16 v58, v10, v6, v58
	;;#ASMEND
	;;#ASMSTART
	v_dot2_f32_f16 v58, v11, v7, v58
	;;#ASMEND
	ds_load_b128 v[0:3], v44 offset:32
	ds_load_b128 v[4:7], v43 offset:32
	;; [unrolled: 29-line block ×7, first 2 shown]
	ds_load_b128 v[8:11], v44 offset:4720
	s_waitcnt lgkmcnt(1)
	;;#ASMSTART
	v_dot2_f32_f16 v35, v0, v4, v35
	;;#ASMEND
	;;#ASMSTART
	v_dot2_f32_f16 v35, v1, v5, v35
	;;#ASMEND
	;; [unrolled: 3-line block ×4, first 2 shown]
	s_waitcnt lgkmcnt(0)
	;;#ASMSTART
	v_dot2_f32_f16 v58, v8, v4, v58
	;;#ASMEND
	;;#ASMSTART
	v_dot2_f32_f16 v58, v9, v5, v58
	;;#ASMEND
	;; [unrolled: 3-line block ×4, first 2 shown]
	s_barrier
	buffer_gl0_inv
	s_clause 0x3
	global_load_b128 v[0:3], v[59:60], off offset:128
	global_load_b128 v[4:7], v[61:62], off offset:128
	;; [unrolled: 1-line block ×4, first 2 shown]
                                        ; implicit-def: $vgpr59
	s_waitcnt vmcnt(3)
	ds_store_b128 v39, v[0:3]
	s_waitcnt vmcnt(2)
	ds_store_b128 v40, v[4:7]
	;; [unrolled: 2-line block ×4, first 2 shown]
	s_waitcnt lgkmcnt(0)
	s_barrier
	buffer_gl0_inv
	ds_load_b128 v[0:3], v44
	ds_load_b128 v[4:7], v43 offset:128
	ds_load_b128 v[8:11], v44 offset:4608
	s_waitcnt lgkmcnt(1)
	;;#ASMSTART
	v_dot2_f32_f16 v35, v0, v4, v35
	;;#ASMEND
	;;#ASMSTART
	v_dot2_f32_f16 v35, v1, v5, v35
	;;#ASMEND
	;;#ASMSTART
	v_dot2_f32_f16 v35, v2, v6, v35
	;;#ASMEND
	;;#ASMSTART
	v_dot2_f32_f16 v35, v3, v7, v35
	;;#ASMEND
	s_waitcnt lgkmcnt(0)
	;;#ASMSTART
	v_dot2_f32_f16 v58, v8, v4, v58
	;;#ASMEND
	;;#ASMSTART
	v_dot2_f32_f16 v58, v9, v5, v58
	;;#ASMEND
	;;#ASMSTART
	v_dot2_f32_f16 v58, v10, v6, v58
	;;#ASMEND
	;;#ASMSTART
	v_dot2_f32_f16 v58, v11, v7, v58
	;;#ASMEND
	ds_load_b128 v[0:3], v44 offset:16
	ds_load_b128 v[4:7], v43 offset:144
	ds_load_b128 v[8:11], v44 offset:4624
	s_waitcnt lgkmcnt(1)
	;;#ASMSTART
	v_dot2_f32_f16 v35, v0, v4, v35
	;;#ASMEND
	;;#ASMSTART
	v_dot2_f32_f16 v35, v1, v5, v35
	;;#ASMEND
	;;#ASMSTART
	v_dot2_f32_f16 v35, v2, v6, v35
	;;#ASMEND
	;;#ASMSTART
	v_dot2_f32_f16 v35, v3, v7, v35
	;;#ASMEND
	s_waitcnt lgkmcnt(0)
	;;#ASMSTART
	v_dot2_f32_f16 v58, v8, v4, v58
	;;#ASMEND
	;;#ASMSTART
	v_dot2_f32_f16 v58, v9, v5, v58
	;;#ASMEND
	;;#ASMSTART
	v_dot2_f32_f16 v58, v10, v6, v58
	;;#ASMEND
	;;#ASMSTART
	v_dot2_f32_f16 v58, v11, v7, v58
	;;#ASMEND
	ds_load_b128 v[0:3], v44 offset:32
	;; [unrolled: 29-line block ×7, first 2 shown]
	ds_load_b128 v[4:7], v43 offset:240
	ds_load_b128 v[8:11], v44 offset:4720
	s_waitcnt lgkmcnt(1)
	;;#ASMSTART
	v_dot2_f32_f16 v35, v0, v4, v35
	;;#ASMEND
	;;#ASMSTART
	v_dot2_f32_f16 v35, v1, v5, v35
	;;#ASMEND
	;; [unrolled: 3-line block ×4, first 2 shown]
	v_cmp_ngt_f32_e64 s19, 0x3f200000, |v35|
	s_waitcnt lgkmcnt(0)
	;;#ASMSTART
	v_dot2_f32_f16 v58, v8, v4, v58
	;;#ASMEND
	;;#ASMSTART
	v_dot2_f32_f16 v58, v9, v5, v58
	;;#ASMEND
	;;#ASMSTART
	v_dot2_f32_f16 v58, v10, v6, v58
	;;#ASMEND
	;;#ASMSTART
	v_dot2_f32_f16 v58, v11, v7, v58
	;;#ASMEND
	s_and_saveexec_b32 s20, s19
	s_delay_alu instid0(SALU_CYCLE_1)
	s_xor_b32 s19, exec_lo, s20
	s_cbranch_execz .LBB84_11
; %bb.10:                               ;   in Loop: Header=BB84_9 Depth=1
	v_add_f32_e64 v0, |v35|, |v35|
	s_delay_alu instid0(VALU_DEP_1) | instskip(SKIP_1) | instid1(VALU_DEP_2)
	v_mul_f32_e32 v1, 0x3fb8aa3b, v0
	v_cmp_ngt_f32_e32 vcc_lo, 0xc2ce8ed0, v0
	v_rndne_f32_e32 v2, v1
	v_fma_f32 v3, 0x3fb8aa3b, v0, -v1
	s_delay_alu instid0(VALU_DEP_2) | instskip(NEXT) | instid1(VALU_DEP_2)
	v_sub_f32_e32 v1, v1, v2
	v_fmac_f32_e32 v3, 0x32a5705f, v0
	v_cvt_i32_f32_e32 v2, v2
	s_delay_alu instid0(VALU_DEP_2) | instskip(NEXT) | instid1(VALU_DEP_1)
	v_add_f32_e32 v1, v1, v3
	v_exp_f32_e32 v1, v1
	s_waitcnt_depctr 0xfff
	v_ldexp_f32 v1, v1, v2
	s_delay_alu instid0(VALU_DEP_1) | instskip(SKIP_1) | instid1(VALU_DEP_2)
	v_cndmask_b32_e32 v1, 0, v1, vcc_lo
	v_cmp_nlt_f32_e32 vcc_lo, 0x42b17218, v0
	v_cndmask_b32_e32 v0, 0x7f800000, v1, vcc_lo
	s_delay_alu instid0(VALU_DEP_1) | instskip(NEXT) | instid1(VALU_DEP_1)
	v_add_f32_e32 v0, 1.0, v0
	v_rcp_f32_e32 v0, v0
	s_waitcnt_depctr 0xfff
	v_fma_f32 v59, v0, -2.0, 1.0
.LBB84_11:                              ;   in Loop: Header=BB84_9 Depth=1
	s_and_not1_saveexec_b32 s19, s19
; %bb.12:                               ;   in Loop: Header=BB84_9 Depth=1
	v_mul_f32_e32 v0, v35, v35
	s_delay_alu instid0(VALU_DEP_1) | instskip(NEXT) | instid1(VALU_DEP_1)
	v_fmaak_f32 v1, s18, v0, 0x3ca908c9
	v_fmaak_f32 v1, v0, v1, 0xbd5c1c4e
	s_delay_alu instid0(VALU_DEP_1) | instskip(NEXT) | instid1(VALU_DEP_1)
	v_fmaak_f32 v1, v0, v1, 0x3e088382
	v_fmaak_f32 v1, v0, v1, 0xbeaaaa99
	s_delay_alu instid0(VALU_DEP_1) | instskip(NEXT) | instid1(VALU_DEP_1)
	v_mul_f32_e64 v1, |v35|, v1
	v_fma_f32 v59, v0, v1, |v35|
; %bb.13:                               ;   in Loop: Header=BB84_9 Depth=1
	s_or_b32 exec_lo, exec_lo, s19
	v_add_nc_u32_e32 v0, s3, v18
	v_cmp_ngt_f32_e64 s19, 0x3f200000, |v58|
                                        ; implicit-def: $vgpr61
	s_delay_alu instid0(VALU_DEP_2) | instskip(NEXT) | instid1(VALU_DEP_1)
	v_ashrrev_i32_e32 v1, 31, v0
	v_lshlrev_b64 v[0:1], 1, v[0:1]
	s_delay_alu instid0(VALU_DEP_1) | instskip(NEXT) | instid1(VALU_DEP_2)
	v_add_co_u32 v0, vcc_lo, s34, v0
	v_add_co_ci_u32_e32 v1, vcc_lo, s35, v1, vcc_lo
	flat_load_u16 v60, v[0:1]
	s_and_saveexec_b32 s20, s19
	s_delay_alu instid0(SALU_CYCLE_1)
	s_xor_b32 s19, exec_lo, s20
	s_cbranch_execz .LBB84_15
; %bb.14:                               ;   in Loop: Header=BB84_9 Depth=1
	v_add_f32_e64 v2, |v58|, |v58|
	s_delay_alu instid0(VALU_DEP_1) | instskip(SKIP_1) | instid1(VALU_DEP_2)
	v_mul_f32_e32 v3, 0x3fb8aa3b, v2
	v_cmp_ngt_f32_e32 vcc_lo, 0xc2ce8ed0, v2
	v_rndne_f32_e32 v4, v3
	v_fma_f32 v5, 0x3fb8aa3b, v2, -v3
	s_delay_alu instid0(VALU_DEP_2) | instskip(NEXT) | instid1(VALU_DEP_2)
	v_sub_f32_e32 v3, v3, v4
	v_fmac_f32_e32 v5, 0x32a5705f, v2
	v_cvt_i32_f32_e32 v4, v4
	s_delay_alu instid0(VALU_DEP_2) | instskip(NEXT) | instid1(VALU_DEP_1)
	v_add_f32_e32 v3, v3, v5
	v_exp_f32_e32 v3, v3
	s_waitcnt_depctr 0xfff
	v_ldexp_f32 v3, v3, v4
	s_delay_alu instid0(VALU_DEP_1) | instskip(SKIP_1) | instid1(VALU_DEP_2)
	v_cndmask_b32_e32 v3, 0, v3, vcc_lo
	v_cmp_nlt_f32_e32 vcc_lo, 0x42b17218, v2
	v_cndmask_b32_e32 v2, 0x7f800000, v3, vcc_lo
	s_delay_alu instid0(VALU_DEP_1) | instskip(NEXT) | instid1(VALU_DEP_1)
	v_add_f32_e32 v2, 1.0, v2
	v_rcp_f32_e32 v2, v2
	s_waitcnt_depctr 0xfff
	v_fma_f32 v61, v2, -2.0, 1.0
.LBB84_15:                              ;   in Loop: Header=BB84_9 Depth=1
	s_and_not1_saveexec_b32 s19, s19
; %bb.16:                               ;   in Loop: Header=BB84_9 Depth=1
	v_mul_f32_e32 v2, v58, v58
	s_delay_alu instid0(VALU_DEP_1) | instskip(NEXT) | instid1(VALU_DEP_1)
	v_fmaak_f32 v3, s18, v2, 0x3ca908c9
	v_fmaak_f32 v3, v2, v3, 0xbd5c1c4e
	s_delay_alu instid0(VALU_DEP_1) | instskip(NEXT) | instid1(VALU_DEP_1)
	v_fmaak_f32 v3, v2, v3, 0x3e088382
	v_fmaak_f32 v3, v2, v3, 0xbeaaaa99
	s_delay_alu instid0(VALU_DEP_1) | instskip(NEXT) | instid1(VALU_DEP_1)
	v_mul_f32_e64 v3, |v58|, v3
	v_fma_f32 v61, v2, v3, |v58|
; %bb.17:                               ;   in Loop: Header=BB84_9 Depth=1
	s_or_b32 exec_lo, exec_lo, s19
	flat_load_u16 v62, v[0:1] offset:64
	s_mul_hi_i32 s21, s3, s10
	s_mul_i32 s20, s3, s10
	s_waitcnt vmcnt(0) lgkmcnt(0)
	s_lshl_b64 s[20:21], s[20:21], 2
	s_barrier
	s_add_u32 s19, s11, s20
	s_addc_u32 s20, s16, s21
	v_add_co_u32 v0, vcc_lo, s19, v27
	v_add_co_ci_u32_e32 v1, vcc_lo, s20, v28, vcc_lo
	v_add_co_u32 v2, vcc_lo, s19, v29
	v_add_co_ci_u32_e32 v3, vcc_lo, s20, v30, vcc_lo
	v_add_co_u32 v6, vcc_lo, s19, v31
	v_add_co_ci_u32_e32 v7, vcc_lo, s20, v32, vcc_lo
	v_add_co_u32 v10, vcc_lo, s19, v33
	v_add_co_ci_u32_e32 v11, vcc_lo, s20, v34, vcc_lo
	v_add_co_u32 v0, vcc_lo, v0, v53
	v_add_co_ci_u32_e32 v1, vcc_lo, 0, v1, vcc_lo
	v_add_co_u32 v4, vcc_lo, v2, v53
	v_add_co_ci_u32_e32 v5, vcc_lo, 0, v3, vcc_lo
	v_add_co_u32 v8, vcc_lo, v6, v53
	v_add_co_ci_u32_e32 v9, vcc_lo, 0, v7, vcc_lo
	v_add_co_u32 v12, vcc_lo, v10, v53
	v_add_co_ci_u32_e32 v13, vcc_lo, 0, v11, vcc_lo
	buffer_gl0_inv
	s_clause 0x3
	global_load_b128 v[0:3], v[0:1], off
	global_load_b128 v[4:7], v[4:5], off
	;; [unrolled: 1-line block ×4, first 2 shown]
	v_bfi_b32 v35, 0x7fffffff, v59, v35
	v_bfi_b32 v59, 0x7fffffff, v61, v58
	v_xor_b32_e32 v58, 16, v36
	s_or_b32 s19, s3, 32
	s_delay_alu instid0(VALU_DEP_3) | instskip(SKIP_1) | instid1(VALU_DEP_2)
	v_fma_mix_f32 v65, v35, s17, v60 op_sel_hi:[0,0,1]
	s_mul_hi_i32 s21, s19, s10
	v_cmp_gt_i32_e32 vcc_lo, 32, v58
	s_mul_i32 s20, s19, s10
	s_delay_alu instid0(SALU_CYCLE_1) | instskip(SKIP_3) | instid1(VALU_DEP_1)
	s_lshl_b64 s[20:21], s[20:21], 2
	v_cndmask_b32_e32 v35, v36, v58, vcc_lo
	s_add_u32 s19, s11, s20
	s_addc_u32 s20, s16, s21
	v_lshlrev_b32_e32 v35, 2, v35
	v_fma_mix_f32 v66, v59, s17, v62 op_sel_hi:[0,0,1]
	s_delay_alu instid0(VALU_DEP_1) | instskip(NEXT) | instid1(VALU_DEP_1)
	v_dual_add_f32 v59, 0x40051340, v65 :: v_dual_add_f32 v60, 0x40051340, v66
	v_max3_f32 v60, v57, v59, v60
	v_xor_b32_e32 v59, 8, v36
	ds_bpermute_b32 v35, v35, v60
	v_cmp_gt_i32_e32 vcc_lo, 32, v59
	v_cndmask_b32_e32 v61, v36, v59, vcc_lo
	s_waitcnt lgkmcnt(0)
	v_max_f32_e32 v35, v35, v35
	s_delay_alu instid0(VALU_DEP_1) | instskip(SKIP_1) | instid1(VALU_DEP_1)
	v_max_f32_e32 v35, v60, v35
	v_xor_b32_e32 v60, 4, v36
	v_cmp_gt_i32_e32 vcc_lo, 32, v60
	v_cndmask_b32_e32 v62, v36, v60, vcc_lo
	s_delay_alu instid0(VALU_DEP_1) | instskip(SKIP_4) | instid1(VALU_DEP_1)
	v_lshlrev_b32_e32 v62, 2, v62
	v_lshlrev_b32_e32 v61, 2, v61
	ds_bpermute_b32 v61, v61, v35
	s_waitcnt lgkmcnt(0)
	v_max_f32_e32 v61, v61, v61
	v_max_f32_e32 v35, v35, v61
	v_xor_b32_e32 v61, 2, v36
	ds_bpermute_b32 v62, v62, v35
	v_cmp_gt_i32_e32 vcc_lo, 32, v61
	v_cndmask_b32_e32 v63, v36, v61, vcc_lo
	s_waitcnt lgkmcnt(0)
	s_delay_alu instid0(VALU_DEP_1) | instskip(NEXT) | instid1(VALU_DEP_1)
	v_dual_max_f32 v62, v62, v62 :: v_dual_lshlrev_b32 v63, 2, v63
	v_max_f32_e32 v35, v35, v62
	v_xor_b32_e32 v62, 1, v36
	ds_bpermute_b32 v63, v63, v35
	v_cmp_gt_i32_e32 vcc_lo, 32, v62
	v_cndmask_b32_e32 v64, v36, v62, vcc_lo
	v_add_co_u32 v74, vcc_lo, s19, v27
	v_add_co_ci_u32_e32 v75, vcc_lo, s20, v28, vcc_lo
	s_waitcnt lgkmcnt(0)
	s_delay_alu instid0(VALU_DEP_3) | instskip(NEXT) | instid1(VALU_DEP_1)
	v_dual_max_f32 v63, v63, v63 :: v_dual_lshlrev_b32 v64, 2, v64
	v_max_f32_e32 v35, v35, v63
	ds_bpermute_b32 v63, v64, v35
	v_add_nc_u32_e32 v64, 0x800, v51
	s_waitcnt lgkmcnt(0)
	v_max_f32_e32 v63, v63, v63
	s_delay_alu instid0(VALU_DEP_1) | instskip(NEXT) | instid1(VALU_DEP_1)
	v_max_f32_e32 v35, v35, v63
	v_sub_f32_e32 v57, v57, v35
	s_delay_alu instid0(VALU_DEP_1) | instskip(NEXT) | instid1(VALU_DEP_1)
	v_mul_f32_e32 v148, 0x3fb8aa3b, v57
	v_fma_f32 v149, 0x3fb8aa3b, v57, -v148
	v_rndne_f32_e32 v150, v148
	s_delay_alu instid0(VALU_DEP_1) | instskip(SKIP_2) | instid1(VALU_DEP_3)
	v_dual_fmac_f32 v149, 0x32a5705f, v57 :: v_dual_sub_f32 v148, v148, v150
	v_add_nc_u32_e32 v63, 0x1000, v51
	v_sub_f32_e32 v66, v66, v35
	v_add_f32_e32 v148, v148, v149
	v_cvt_i32_f32_e32 v149, v150
	s_delay_alu instid0(VALU_DEP_2) | instskip(SKIP_3) | instid1(VALU_DEP_1)
	v_exp_f32_e32 v148, v148
	s_waitcnt_depctr 0xfff
	v_ldexp_f32 v148, v148, v149
	v_sub_f32_e32 v67, v65, v35
	v_mul_f32_e32 v68, 0x3fb8aa3b, v67
	s_delay_alu instid0(VALU_DEP_1) | instskip(SKIP_2) | instid1(VALU_DEP_3)
	v_fma_f32 v70, 0x3fb8aa3b, v67, -v68
	v_rndne_f32_e32 v71, v68
	v_mul_f32_e32 v69, 0x3fb8aa3b, v66
	v_fmac_f32_e32 v70, 0x32a5705f, v67
	s_delay_alu instid0(VALU_DEP_3) | instskip(NEXT) | instid1(VALU_DEP_3)
	v_sub_f32_e32 v68, v68, v71
	v_fma_f32 v72, 0x3fb8aa3b, v66, -v69
	v_rndne_f32_e32 v73, v69
	v_cvt_i32_f32_e32 v71, v71
	s_delay_alu instid0(VALU_DEP_4) | instskip(NEXT) | instid1(VALU_DEP_3)
	v_add_f32_e32 v68, v68, v70
	v_dual_fmac_f32 v72, 0x32a5705f, v66 :: v_dual_sub_f32 v69, v69, v73
	v_add_co_u32 v70, vcc_lo, s19, v29
	s_delay_alu instid0(VALU_DEP_3) | instskip(SKIP_1) | instid1(VALU_DEP_3)
	v_exp_f32_e32 v68, v68
	v_cvt_i32_f32_e32 v73, v73
	v_add_f32_e32 v69, v69, v72
	v_add_co_ci_u32_e32 v72, vcc_lo, s20, v30, vcc_lo
	v_add_co_u32 v76, vcc_lo, s19, v31
	v_add_co_ci_u32_e32 v77, vcc_lo, s20, v32, vcc_lo
	v_add_co_u32 v78, vcc_lo, s19, v33
	v_exp_f32_e32 v69, v69
	v_add_co_ci_u32_e32 v79, vcc_lo, s20, v34, vcc_lo
	v_add_co_u32 v130, vcc_lo, v74, v53
	v_add_co_ci_u32_e32 v131, vcc_lo, 0, v75, vcc_lo
	v_ldexp_f32 v68, v68, v71
	v_cmp_ngt_f32_e32 vcc_lo, 0xc2ce8ed0, v67
	s_waitcnt_depctr 0xfff
	v_ldexp_f32 v69, v69, v73
	v_cndmask_b32_e32 v68, 0, v68, vcc_lo
	v_cmp_ngt_f32_e32 vcc_lo, 0xc2ce8ed0, v66
	s_delay_alu instid0(VALU_DEP_3)
	v_cndmask_b32_e32 v69, 0, v69, vcc_lo
	v_add_co_u32 v134, vcc_lo, v70, v53
	v_add_co_ci_u32_e32 v135, vcc_lo, 0, v72, vcc_lo
	v_cmp_nlt_f32_e32 vcc_lo, 0x42b17218, v67
	v_cndmask_b32_e32 v146, 0x7f800000, v68, vcc_lo
	v_cmp_nlt_f32_e32 vcc_lo, 0x42b17218, v66
	s_delay_alu instid0(VALU_DEP_2)
	v_cvt_f16_f32_e64 v66, v146
	v_cndmask_b32_e32 v147, 0x7f800000, v69, vcc_lo
	v_add_co_u32 v138, vcc_lo, v76, v53
	v_add_co_ci_u32_e32 v139, vcc_lo, 0, v77, vcc_lo
	v_add_co_u32 v142, vcc_lo, v78, v53
	v_add_co_ci_u32_e32 v143, vcc_lo, 0, v79, vcc_lo
	v_cmp_ngt_f32_e32 vcc_lo, 0xc2ce8ed0, v57
	v_cvt_f16_f32_e64 v67, v147
	ds_store_b16 v47, v66
	ds_store_b16 v47, v67 offset:64
	s_waitcnt vmcnt(3)
	ds_store_b128 v46, v[0:3]
	s_waitcnt vmcnt(2)
	ds_store_b128 v48, v[4:7]
	;; [unrolled: 2-line block ×4, first 2 shown]
	v_cndmask_b32_e32 v148, 0, v148, vcc_lo
	v_cmp_nlt_f32_e32 vcc_lo, 0x42b17218, v57
	s_waitcnt lgkmcnt(0)
	s_barrier
	buffer_gl0_inv
	v_cndmask_b32_e32 v57, 0x7f800000, v148, vcc_lo
	v_add_nc_u32_e32 v65, 0x1800, v51
	ds_load_2addr_b64 v[0:3], v51 offset1:32
	ds_load_2addr_b64 v[4:7], v51 offset0:64 offset1:96
	ds_load_2addr_b64 v[8:11], v51 offset0:128 offset1:160
	ds_load_b128 v[12:15], v45
	ds_load_b128 v[66:69], v45 offset:16
	ds_load_b128 v[70:73], v45 offset:32
	;; [unrolled: 1-line block ×3, first 2 shown]
	ds_load_2addr_b64 v[78:81], v51 offset0:192 offset1:224
	ds_load_2addr_b64 v[82:85], v64 offset1:32
	ds_load_2addr_b64 v[86:89], v64 offset0:64 offset1:96
	ds_load_2addr_b64 v[90:93], v64 offset0:128 offset1:160
	ds_load_2addr_b64 v[94:97], v64 offset0:192 offset1:224
	ds_load_2addr_b64 v[98:101], v63 offset1:32
	ds_load_2addr_b64 v[102:105], v63 offset0:64 offset1:96
	ds_load_2addr_b64 v[106:109], v63 offset0:128 offset1:160
	;; [unrolled: 4-line block ×3, first 2 shown]
	ds_load_2addr_b64 v[126:129], v65 offset0:192 offset1:224
	s_waitcnt lgkmcnt(0)
	s_barrier
	buffer_gl0_inv
	s_clause 0x3
	global_load_b128 v[130:133], v[130:131], off
	global_load_b128 v[134:137], v[134:135], off
	;; [unrolled: 1-line block ×4, first 2 shown]
	v_cvt_f16_f32_e64 v148, v57
	v_pk_mul_f16 v0, v0, v12 op_sel_hi:[1,0]
	v_pk_mul_f16 v1, v1, v12 op_sel_hi:[1,0]
	s_waitcnt vmcnt(3)
	ds_store_b128 v46, v[130:133]
	s_waitcnt vmcnt(2)
	ds_store_b128 v48, v[134:137]
	;; [unrolled: 2-line block ×4, first 2 shown]
	v_pk_fma_f16 v0, v54, v148, v0 op_sel_hi:[1,0,1]
	v_pk_fma_f16 v1, v56, v148, v1 op_sel_hi:[1,0,1]
	s_waitcnt lgkmcnt(0)
	s_barrier
	buffer_gl0_inv
	v_pk_fma_f16 v0, v2, v12, v0 op_sel:[0,1,0]
	v_pk_fma_f16 v1, v3, v12, v1 op_sel:[0,1,0]
	s_delay_alu instid0(VALU_DEP_2) | instskip(NEXT) | instid1(VALU_DEP_2)
	v_pk_fma_f16 v0, v4, v13, v0 op_sel_hi:[1,0,1]
	v_pk_fma_f16 v1, v5, v13, v1 op_sel_hi:[1,0,1]
	s_delay_alu instid0(VALU_DEP_2) | instskip(NEXT) | instid1(VALU_DEP_2)
	v_pk_fma_f16 v0, v6, v13, v0 op_sel:[0,1,0]
	v_pk_fma_f16 v1, v7, v13, v1 op_sel:[0,1,0]
	s_delay_alu instid0(VALU_DEP_2) | instskip(NEXT) | instid1(VALU_DEP_2)
	v_pk_fma_f16 v0, v8, v14, v0 op_sel_hi:[1,0,1]
	v_pk_fma_f16 v1, v9, v14, v1 op_sel_hi:[1,0,1]
	s_delay_alu instid0(VALU_DEP_2) | instskip(NEXT) | instid1(VALU_DEP_2)
	;; [unrolled: 6-line block ×13, first 2 shown]
	v_pk_fma_f16 v0, v120, v75, v0 op_sel:[0,1,0]
	v_pk_fma_f16 v8, v121, v75, v1 op_sel:[0,1,0]
	s_delay_alu instid0(VALU_DEP_2) | instskip(SKIP_4) | instid1(VALU_DEP_2)
	v_pk_fma_f16 v9, v122, v76, v0 op_sel_hi:[1,0,1]
	ds_load_2addr_b64 v[0:3], v51 offset1:32
	ds_load_b128 v[4:7], v45 offset:64
	v_pk_fma_f16 v8, v123, v76, v8 op_sel_hi:[1,0,1]
	v_pk_fma_f16 v9, v124, v76, v9 op_sel:[0,1,0]
	v_pk_fma_f16 v12, v125, v76, v8 op_sel:[0,1,0]
	s_delay_alu instid0(VALU_DEP_2) | instskip(SKIP_3) | instid1(VALU_DEP_2)
	v_pk_fma_f16 v13, v126, v77, v9 op_sel_hi:[1,0,1]
	ds_load_2addr_b64 v[8:11], v51 offset0:64 offset1:96
	v_pk_fma_f16 v12, v127, v77, v12 op_sel_hi:[1,0,1]
	v_pk_fma_f16 v54, v128, v77, v13 op_sel:[0,1,0]
	v_pk_fma_f16 v56, v129, v77, v12 op_sel:[0,1,0]
	ds_load_2addr_b64 v[12:15], v51 offset0:128 offset1:160
	ds_load_b128 v[66:69], v45 offset:80
	s_waitcnt lgkmcnt(3)
	v_pk_fma_f16 v0, v0, v4, v54 op_sel_hi:[1,0,1]
	v_pk_fma_f16 v1, v1, v4, v56 op_sel_hi:[1,0,1]
	s_delay_alu instid0(VALU_DEP_2) | instskip(NEXT) | instid1(VALU_DEP_2)
	v_pk_fma_f16 v54, v2, v4, v0 op_sel:[0,1,0]
	v_pk_fma_f16 v4, v3, v4, v1 op_sel:[0,1,0]
	ds_load_2addr_b64 v[0:3], v51 offset0:192 offset1:224
	s_waitcnt lgkmcnt(3)
	v_pk_fma_f16 v8, v8, v5, v54 op_sel_hi:[1,0,1]
	v_pk_fma_f16 v4, v9, v5, v4 op_sel_hi:[1,0,1]
	s_delay_alu instid0(VALU_DEP_2) | instskip(NEXT) | instid1(VALU_DEP_2)
	v_pk_fma_f16 v54, v10, v5, v8 op_sel:[0,1,0]
	v_pk_fma_f16 v4, v11, v5, v4 op_sel:[0,1,0]
	ds_load_2addr_b64 v[8:11], v64 offset1:32
	s_waitcnt lgkmcnt(3)
	v_pk_fma_f16 v5, v12, v6, v54 op_sel_hi:[1,0,1]
	v_pk_fma_f16 v4, v13, v6, v4 op_sel_hi:[1,0,1]
	s_delay_alu instid0(VALU_DEP_2) | instskip(NEXT) | instid1(VALU_DEP_2)
	v_pk_fma_f16 v5, v14, v6, v5 op_sel:[0,1,0]
	v_pk_fma_f16 v4, v15, v6, v4 op_sel:[0,1,0]
	ds_load_2addr_b64 v[12:15], v64 offset0:64 offset1:96
	s_waitcnt lgkmcnt(2)
	v_pk_fma_f16 v0, v0, v7, v5 op_sel_hi:[1,0,1]
	v_pk_fma_f16 v1, v1, v7, v4 op_sel_hi:[1,0,1]
	s_delay_alu instid0(VALU_DEP_2) | instskip(NEXT) | instid1(VALU_DEP_2)
	v_pk_fma_f16 v4, v2, v7, v0 op_sel:[0,1,0]
	v_pk_fma_f16 v5, v3, v7, v1 op_sel:[0,1,0]
	ds_load_2addr_b64 v[0:3], v64 offset0:128 offset1:160
	s_waitcnt lgkmcnt(2)
	v_pk_fma_f16 v4, v8, v66, v4 op_sel_hi:[1,0,1]
	v_pk_fma_f16 v5, v9, v66, v5 op_sel_hi:[1,0,1]
	s_delay_alu instid0(VALU_DEP_2) | instskip(NEXT) | instid1(VALU_DEP_2)
	v_pk_fma_f16 v4, v10, v66, v4 op_sel:[0,1,0]
	v_pk_fma_f16 v8, v11, v66, v5 op_sel:[0,1,0]
	s_waitcnt lgkmcnt(1)
	s_delay_alu instid0(VALU_DEP_2) | instskip(SKIP_3) | instid1(VALU_DEP_2)
	v_pk_fma_f16 v9, v12, v67, v4 op_sel_hi:[1,0,1]
	ds_load_2addr_b64 v[4:7], v64 offset0:192 offset1:224
	v_pk_fma_f16 v8, v13, v67, v8 op_sel_hi:[1,0,1]
	v_pk_fma_f16 v12, v14, v67, v9 op_sel:[0,1,0]
	v_pk_fma_f16 v54, v15, v67, v8 op_sel:[0,1,0]
	ds_load_2addr_b64 v[8:11], v63 offset1:32
	s_waitcnt lgkmcnt(2)
	v_pk_fma_f16 v0, v0, v68, v12 op_sel_hi:[1,0,1]
	ds_load_b128 v[12:15], v45 offset:96
	v_pk_fma_f16 v1, v1, v68, v54 op_sel_hi:[1,0,1]
	v_pk_fma_f16 v54, v2, v68, v0 op_sel:[0,1,0]
	s_delay_alu instid0(VALU_DEP_2) | instskip(SKIP_4) | instid1(VALU_DEP_2)
	v_pk_fma_f16 v56, v3, v68, v1 op_sel:[0,1,0]
	ds_load_2addr_b64 v[0:3], v63 offset0:64 offset1:96
	s_waitcnt lgkmcnt(3)
	v_pk_fma_f16 v4, v4, v69, v54 op_sel_hi:[1,0,1]
	v_pk_fma_f16 v5, v5, v69, v56 op_sel_hi:[1,0,1]
	v_pk_fma_f16 v54, v6, v69, v4 op_sel:[0,1,0]
	s_delay_alu instid0(VALU_DEP_2)
	v_pk_fma_f16 v56, v7, v69, v5 op_sel:[0,1,0]
	ds_load_2addr_b64 v[4:7], v63 offset0:128 offset1:160
	ds_load_b128 v[66:69], v45 offset:112
	s_waitcnt lgkmcnt(3)
	v_pk_fma_f16 v8, v8, v12, v54 op_sel_hi:[1,0,1]
	v_pk_fma_f16 v9, v9, v12, v56 op_sel_hi:[1,0,1]
	s_delay_alu instid0(VALU_DEP_2) | instskip(NEXT) | instid1(VALU_DEP_2)
	v_pk_fma_f16 v54, v10, v12, v8 op_sel:[0,1,0]
	v_pk_fma_f16 v12, v11, v12, v9 op_sel:[0,1,0]
	ds_load_2addr_b64 v[8:11], v63 offset0:192 offset1:224
	s_waitcnt lgkmcnt(3)
	v_pk_fma_f16 v0, v0, v13, v54 op_sel_hi:[1,0,1]
	v_pk_fma_f16 v1, v1, v13, v12 op_sel_hi:[1,0,1]
	s_delay_alu instid0(VALU_DEP_2) | instskip(NEXT) | instid1(VALU_DEP_2)
	v_pk_fma_f16 v12, v2, v13, v0 op_sel:[0,1,0]
	v_pk_fma_f16 v13, v3, v13, v1 op_sel:[0,1,0]
	ds_load_2addr_b64 v[0:3], v65 offset1:32
	s_waitcnt lgkmcnt(3)
	v_pk_fma_f16 v4, v4, v14, v12 op_sel_hi:[1,0,1]
	v_pk_fma_f16 v5, v5, v14, v13 op_sel_hi:[1,0,1]
	s_delay_alu instid0(VALU_DEP_2) | instskip(NEXT) | instid1(VALU_DEP_2)
	v_pk_fma_f16 v12, v6, v14, v4 op_sel:[0,1,0]
	v_pk_fma_f16 v13, v7, v14, v5 op_sel:[0,1,0]
	ds_load_2addr_b64 v[4:7], v65 offset0:64 offset1:96
	s_waitcnt lgkmcnt(2)
	v_pk_fma_f16 v8, v8, v15, v12 op_sel_hi:[1,0,1]
	v_pk_fma_f16 v9, v9, v15, v13 op_sel_hi:[1,0,1]
	s_delay_alu instid0(VALU_DEP_2) | instskip(NEXT) | instid1(VALU_DEP_2)
	v_pk_fma_f16 v12, v10, v15, v8 op_sel:[0,1,0]
	v_pk_fma_f16 v13, v11, v15, v9 op_sel:[0,1,0]
	ds_load_2addr_b64 v[8:11], v65 offset0:128 offset1:160
	s_waitcnt lgkmcnt(2)
	v_pk_fma_f16 v0, v0, v66, v12 op_sel_hi:[1,0,1]
	v_pk_fma_f16 v1, v1, v66, v13 op_sel_hi:[1,0,1]
	s_delay_alu instid0(VALU_DEP_2) | instskip(NEXT) | instid1(VALU_DEP_2)
	v_pk_fma_f16 v12, v2, v66, v0 op_sel:[0,1,0]
	v_pk_fma_f16 v13, v3, v66, v1 op_sel:[0,1,0]
	s_waitcnt lgkmcnt(1)
	s_delay_alu instid0(VALU_DEP_2) | instskip(NEXT) | instid1(VALU_DEP_2)
	v_pk_fma_f16 v4, v4, v67, v12 op_sel_hi:[1,0,1]
	v_pk_fma_f16 v5, v5, v67, v13 op_sel_hi:[1,0,1]
	s_delay_alu instid0(VALU_DEP_2) | instskip(NEXT) | instid1(VALU_DEP_2)
	v_pk_fma_f16 v4, v6, v67, v4 op_sel:[0,1,0]
	v_pk_fma_f16 v5, v7, v67, v5 op_sel:[0,1,0]
	s_waitcnt lgkmcnt(0)
	s_delay_alu instid0(VALU_DEP_2) | instskip(NEXT) | instid1(VALU_DEP_2)
	v_pk_fma_f16 v4, v8, v68, v4 op_sel_hi:[1,0,1]
	v_pk_fma_f16 v5, v9, v68, v5 op_sel_hi:[1,0,1]
	s_delay_alu instid0(VALU_DEP_2) | instskip(SKIP_1) | instid1(VALU_DEP_3)
	v_pk_fma_f16 v6, v10, v68, v4 op_sel:[0,1,0]
	v_add_f32_e32 v4, v146, v147
	v_pk_fma_f16 v5, v11, v68, v5 op_sel:[0,1,0]
	s_delay_alu instid0(VALU_DEP_2)
	v_fmac_f32_e32 v4, v55, v57
	ds_load_2addr_b64 v[0:3], v65 offset0:192 offset1:224
	s_waitcnt lgkmcnt(0)
	s_barrier
	buffer_gl0_inv
	s_load_b32 s19, s[4:5], 0x4
	v_pk_fma_f16 v0, v0, v69, v6 op_sel_hi:[1,0,1]
	v_pk_fma_f16 v1, v1, v69, v5 op_sel_hi:[1,0,1]
	s_waitcnt lgkmcnt(0)
	s_lshl_b32 s19, s19, 6
	s_delay_alu instid0(VALU_DEP_2) | instskip(NEXT) | instid1(VALU_DEP_2)
	v_pk_fma_f16 v54, v2, v69, v0 op_sel:[0,1,0]
	v_pk_fma_f16 v56, v3, v69, v1 op_sel:[0,1,0]
	s_add_i32 s3, s19, s3
	s_delay_alu instid0(SALU_CYCLE_1)
	s_cmp_lt_i32 s3, s2
	s_cbranch_scc0 .LBB84_19
; %bb.18:                               ;   in Loop: Header=BB84_9 Depth=1
	v_mov_b32_e32 v57, v35
	v_mov_b32_e32 v55, v4
	s_branch .LBB84_9
.LBB84_19:
	v_dual_mov_b32 v0, 32 :: v_dual_mov_b32 v3, v36
.LBB84_20:
	s_delay_alu instid0(VALU_DEP_1)
	v_cmp_lt_i32_e32 vcc_lo, v58, v0
	s_cmp_eq_u64 s[24:25], 0
	s_cselect_b32 s2, -1, 0
	s_cmp_lg_u32 s14, 0
	v_cndmask_b32_e32 v1, v3, v58, vcc_lo
	v_cmp_lt_i32_e32 vcc_lo, v59, v0
	s_cselect_b32 s3, -1, 0
	s_delay_alu instid0(SALU_CYCLE_1) | instskip(NEXT) | instid1(VALU_DEP_2)
	s_or_b32 s2, s3, s2
	v_dual_cndmask_b32 v2, v3, v59 :: v_dual_lshlrev_b32 v1, 2, v1
	v_cmp_lt_i32_e32 vcc_lo, v60, v0
	ds_bpermute_b32 v1, v1, v4
	s_waitcnt lgkmcnt(0)
	v_dual_add_f32 v1, v4, v1 :: v_dual_lshlrev_b32 v2, 2, v2
	ds_bpermute_b32 v2, v2, v1
	v_cndmask_b32_e32 v4, v3, v60, vcc_lo
	v_cmp_lt_i32_e32 vcc_lo, v61, v0
	s_waitcnt lgkmcnt(0)
	s_delay_alu instid0(VALU_DEP_2)
	v_dual_add_f32 v1, v1, v2 :: v_dual_lshlrev_b32 v4, 2, v4
	ds_bpermute_b32 v2, v4, v1
	v_cndmask_b32_e32 v4, v3, v61, vcc_lo
	v_cmp_lt_i32_e32 vcc_lo, v62, v0
	v_cndmask_b32_e32 v0, v3, v62, vcc_lo
	s_and_b32 vcc_lo, exec_lo, s2
	s_waitcnt lgkmcnt(0)
	s_delay_alu instid0(VALU_DEP_1)
	v_dual_add_f32 v1, v1, v2 :: v_dual_lshlrev_b32 v0, 2, v0
	v_lshlrev_b32_e32 v4, 2, v4
	ds_bpermute_b32 v2, v4, v1
	s_waitcnt lgkmcnt(0)
	v_add_f32_e32 v1, v1, v2
	ds_bpermute_b32 v0, v0, v1
	s_waitcnt lgkmcnt(0)
	v_add_f32_e32 v36, v1, v0
	s_cbranch_vccnz .LBB84_22
; %bb.21:
	v_add_nc_u32_e32 v0, s15, v37
	s_delay_alu instid0(VALU_DEP_1) | instskip(NEXT) | instid1(VALU_DEP_1)
	v_ashrrev_i32_e32 v1, 31, v0
	v_lshlrev_b64 v[0:1], 2, v[0:1]
	s_delay_alu instid0(VALU_DEP_1) | instskip(NEXT) | instid1(VALU_DEP_2)
	v_add_co_u32 v0, vcc_lo, s24, v0
	v_add_co_ci_u32_e32 v1, vcc_lo, s25, v1, vcc_lo
	global_load_b32 v0, v[0:1], off
	s_waitcnt vmcnt(0)
	v_dual_max_f32 v1, v35, v35 :: v_dual_max_f32 v2, v0, v0
	s_delay_alu instid0(VALU_DEP_1) | instskip(NEXT) | instid1(VALU_DEP_1)
	v_max_f32_e32 v1, v1, v2
	v_sub_f32_e32 v0, v0, v1
	s_delay_alu instid0(VALU_DEP_1) | instskip(NEXT) | instid1(VALU_DEP_1)
	v_mul_f32_e32 v4, 0x3fb8aa3b, v0
	v_fma_f32 v7, 0x3fb8aa3b, v0, -v4
	v_sub_f32_e32 v2, v35, v1
	v_rndne_f32_e32 v8, v4
	v_mov_b32_e32 v35, v1
	s_delay_alu instid0(VALU_DEP_4) | instskip(NEXT) | instid1(VALU_DEP_3)
	v_fmac_f32_e32 v7, 0x32a5705f, v0
	v_dual_mul_f32 v3, 0x3fb8aa3b, v2 :: v_dual_sub_f32 v4, v4, v8
	v_cmp_ngt_f32_e32 vcc_lo, 0xc2ce8ed0, v2
	s_delay_alu instid0(VALU_DEP_2) | instskip(SKIP_1) | instid1(VALU_DEP_2)
	v_fma_f32 v5, 0x3fb8aa3b, v2, -v3
	v_rndne_f32_e32 v6, v3
	v_dual_add_f32 v4, v4, v7 :: v_dual_fmac_f32 v5, 0x32a5705f, v2
	s_delay_alu instid0(VALU_DEP_2) | instskip(NEXT) | instid1(VALU_DEP_2)
	v_sub_f32_e32 v3, v3, v6
	v_exp_f32_e32 v4, v4
	s_delay_alu instid0(VALU_DEP_1) | instskip(SKIP_2) | instid1(VALU_DEP_3)
	v_add_f32_e32 v3, v3, v5
	v_cvt_i32_f32_e32 v5, v6
	v_cvt_i32_f32_e32 v6, v8
	v_exp_f32_e32 v3, v3
	s_waitcnt_depctr 0xfff
	v_ldexp_f32 v4, v4, v6
	v_ldexp_f32 v3, v3, v5
	s_delay_alu instid0(VALU_DEP_1) | instskip(SKIP_1) | instid1(VALU_DEP_4)
	v_cndmask_b32_e32 v3, 0, v3, vcc_lo
	v_cmp_ngt_f32_e32 vcc_lo, 0xc2ce8ed0, v0
	v_cndmask_b32_e32 v4, 0, v4, vcc_lo
	v_cmp_nlt_f32_e32 vcc_lo, 0x42b17218, v2
	s_delay_alu instid0(VALU_DEP_4) | instskip(SKIP_1) | instid1(VALU_DEP_2)
	v_cndmask_b32_e32 v2, 0x7f800000, v3, vcc_lo
	v_cmp_nlt_f32_e32 vcc_lo, 0x42b17218, v0
	v_cvt_f16_f32_e32 v3, v2
	v_cndmask_b32_e32 v0, 0x7f800000, v4, vcc_lo
	s_delay_alu instid0(VALU_DEP_2) | instskip(NEXT) | instid1(VALU_DEP_2)
	v_pk_mul_f16 v54, v3, v54 op_sel_hi:[0,1]
	v_fmac_f32_e32 v0, v36, v2
	v_pk_mul_f16 v56, v3, v56 op_sel_hi:[0,1]
	s_delay_alu instid0(VALU_DEP_2)
	v_mov_b32_e32 v36, v0
.LBB84_22:
	s_mov_b32 s2, exec_lo
	v_cmpx_gt_i32_e64 s6, v17
	s_cbranch_execz .LBB84_25
; %bb.23:
	s_delay_alu instid0(VALU_DEP_2) | instskip(SKIP_2) | instid1(VALU_DEP_2)
	v_div_scale_f32 v2, null, v36, v36, 1.0
	v_div_scale_f32 v4, vcc_lo, 1.0, v36, 1.0
	s_load_b32 s0, s[0:1], 0xd4
	v_rcp_f32_e32 v3, v2
	v_cvt_f32_f16_e32 v7, v56
	s_waitcnt_depctr 0xfff
	v_fma_f32 v0, -v2, v3, 1.0
	s_delay_alu instid0(VALU_DEP_1) | instskip(SKIP_3) | instid1(VALU_DEP_2)
	v_fmac_f32_e32 v3, v0, v3
	v_mad_u64_u32 v[0:1], null, s12, s6, v[17:18]
	s_waitcnt lgkmcnt(0)
	s_cmp_lg_u32 s0, 1
	v_mul_f32_e32 v5, v4, v3
	s_cselect_b32 s1, -1, 0
	s_delay_alu instid0(VALU_DEP_2) | instskip(NEXT) | instid1(VALU_DEP_2)
	v_mul_lo_u32 v0, v0, s7
	v_fma_f32 v1, -v2, v5, v4
	s_delay_alu instid0(VALU_DEP_1) | instskip(NEXT) | instid1(VALU_DEP_3)
	v_fmac_f32_e32 v5, v1, v3
	v_add3_u32 v6, s15, v37, v0
	s_delay_alu instid0(VALU_DEP_2) | instskip(SKIP_1) | instid1(VALU_DEP_3)
	v_fma_f32 v2, -v2, v5, v4
	v_lshrrev_b32_e32 v4, 16, v54
	v_mad_u64_u32 v[0:1], null, s0, v6, s[14:15]
	s_delay_alu instid0(VALU_DEP_3)
	v_div_fmas_f32 v1, v2, v3, v5
	v_lshrrev_b32_e32 v5, 16, v56
	v_mov_b32_e32 v2, 0
	v_cvt_f32_f16_e32 v3, v54
	v_cvt_f32_f16_e32 v4, v4
	v_div_fixup_f32 v6, v1, v36, 1.0
	v_lshl_add_u32 v1, v0, 7, v38
	v_cvt_f32_f16_e32 v9, v5
	v_cmp_eq_u32_e32 vcc_lo, 0, v16
	s_delay_alu instid0(VALU_DEP_4) | instskip(NEXT) | instid1(VALU_DEP_4)
	v_cndmask_b32_e64 v8, v6, 1.0, s1
	v_lshlrev_b64 v[5:6], 2, v[1:2]
	s_delay_alu instid0(VALU_DEP_2) | instskip(SKIP_1) | instid1(VALU_DEP_3)
	v_mul_f32_e32 v2, v8, v4
	v_mul_f32_e32 v1, v8, v3
	v_add_co_u32 v5, s0, s28, v5
	v_mul_f32_e32 v3, v8, v7
	v_mul_f32_e32 v4, v8, v9
	v_add_co_ci_u32_e64 v6, s0, s29, v6, s0
	s_and_b32 s0, vcc_lo, s1
	global_store_b128 v[5:6], v[1:4], off
	s_and_b32 exec_lo, exec_lo, s0
	s_cbranch_execz .LBB84_25
; %bb.24:
	v_ashrrev_i32_e32 v1, 31, v0
	s_delay_alu instid0(VALU_DEP_1) | instskip(NEXT) | instid1(VALU_DEP_1)
	v_lshlrev_b64 v[0:1], 3, v[0:1]
	v_add_co_u32 v0, vcc_lo, s30, v0
	s_delay_alu instid0(VALU_DEP_2)
	v_add_co_ci_u32_e32 v1, vcc_lo, s31, v1, vcc_lo
	global_store_b64 v[0:1], v[35:36], off
.LBB84_25:
	s_nop 0
	s_sendmsg sendmsg(MSG_DEALLOC_VGPRS)
	s_endpgm
	.section	.rodata,"a",@progbits
	.p2align	6, 0x0
	.amdhsa_kernel _ZL15flash_attn_tileILi128ELi128ELi2ELi2ELb1EEvPKcS1_S1_S1_S1_PKiPfP15HIP_vector_typeIfLj2EEffffjfiS5_IjLj3EEiiiiiiiiiiiliiliiiiil
		.amdhsa_group_segment_fixed_size 10752
		.amdhsa_private_segment_fixed_size 0
		.amdhsa_kernarg_size 464
		.amdhsa_user_sgpr_count 13
		.amdhsa_user_sgpr_dispatch_ptr 0
		.amdhsa_user_sgpr_queue_ptr 0
		.amdhsa_user_sgpr_kernarg_segment_ptr 1
		.amdhsa_user_sgpr_dispatch_id 0
		.amdhsa_user_sgpr_private_segment_size 0
		.amdhsa_wavefront_size32 1
		.amdhsa_uses_dynamic_stack 0
		.amdhsa_enable_private_segment 0
		.amdhsa_system_sgpr_workgroup_id_x 1
		.amdhsa_system_sgpr_workgroup_id_y 1
		.amdhsa_system_sgpr_workgroup_id_z 1
		.amdhsa_system_sgpr_workgroup_info 0
		.amdhsa_system_vgpr_workitem_id 1
		.amdhsa_next_free_vgpr 151
		.amdhsa_next_free_sgpr 40
		.amdhsa_reserve_vcc 1
		.amdhsa_float_round_mode_32 0
		.amdhsa_float_round_mode_16_64 0
		.amdhsa_float_denorm_mode_32 3
		.amdhsa_float_denorm_mode_16_64 3
		.amdhsa_dx10_clamp 1
		.amdhsa_ieee_mode 1
		.amdhsa_fp16_overflow 0
		.amdhsa_workgroup_processor_mode 1
		.amdhsa_memory_ordered 1
		.amdhsa_forward_progress 0
		.amdhsa_shared_vgpr_count 0
		.amdhsa_exception_fp_ieee_invalid_op 0
		.amdhsa_exception_fp_denorm_src 0
		.amdhsa_exception_fp_ieee_div_zero 0
		.amdhsa_exception_fp_ieee_overflow 0
		.amdhsa_exception_fp_ieee_underflow 0
		.amdhsa_exception_fp_ieee_inexact 0
		.amdhsa_exception_int_div_zero 0
	.end_amdhsa_kernel
	.section	.text._ZL15flash_attn_tileILi128ELi128ELi2ELi2ELb1EEvPKcS1_S1_S1_S1_PKiPfP15HIP_vector_typeIfLj2EEffffjfiS5_IjLj3EEiiiiiiiiiiiliiliiiiil,"axG",@progbits,_ZL15flash_attn_tileILi128ELi128ELi2ELi2ELb1EEvPKcS1_S1_S1_S1_PKiPfP15HIP_vector_typeIfLj2EEffffjfiS5_IjLj3EEiiiiiiiiiiiliiliiiiil,comdat
.Lfunc_end84:
	.size	_ZL15flash_attn_tileILi128ELi128ELi2ELi2ELb1EEvPKcS1_S1_S1_S1_PKiPfP15HIP_vector_typeIfLj2EEffffjfiS5_IjLj3EEiiiiiiiiiiiliiliiiiil, .Lfunc_end84-_ZL15flash_attn_tileILi128ELi128ELi2ELi2ELb1EEvPKcS1_S1_S1_S1_PKiPfP15HIP_vector_typeIfLj2EEffffjfiS5_IjLj3EEiiiiiiiiiiiliiliiiiil
                                        ; -- End function
	.section	.AMDGPU.csdata,"",@progbits
; Kernel info:
; codeLenInByte = 9268
; NumSgprs: 42
; NumVgprs: 151
; ScratchSize: 0
; MemoryBound: 0
; FloatMode: 240
; IeeeMode: 1
; LDSByteSize: 10752 bytes/workgroup (compile time only)
; SGPRBlocks: 5
; VGPRBlocks: 18
; NumSGPRsForWavesPerEU: 42
; NumVGPRsForWavesPerEU: 151
; Occupancy: 9
; WaveLimiterHint : 1
; COMPUTE_PGM_RSRC2:SCRATCH_EN: 0
; COMPUTE_PGM_RSRC2:USER_SGPR: 13
; COMPUTE_PGM_RSRC2:TRAP_HANDLER: 0
; COMPUTE_PGM_RSRC2:TGID_X_EN: 1
; COMPUTE_PGM_RSRC2:TGID_Y_EN: 1
; COMPUTE_PGM_RSRC2:TGID_Z_EN: 1
; COMPUTE_PGM_RSRC2:TIDIG_COMP_CNT: 1
	.section	.text._ZL15flash_attn_tileILi128ELi128ELi1ELi2ELb1EEvPKcS1_S1_S1_S1_PKiPfP15HIP_vector_typeIfLj2EEffffjfiS5_IjLj3EEiiiiiiiiiiiliiliiiiil,"axG",@progbits,_ZL15flash_attn_tileILi128ELi128ELi1ELi2ELb1EEvPKcS1_S1_S1_S1_PKiPfP15HIP_vector_typeIfLj2EEffffjfiS5_IjLj3EEiiiiiiiiiiiliiliiiiil,comdat
	.globl	_ZL15flash_attn_tileILi128ELi128ELi1ELi2ELb1EEvPKcS1_S1_S1_S1_PKiPfP15HIP_vector_typeIfLj2EEffffjfiS5_IjLj3EEiiiiiiiiiiiliiliiiiil ; -- Begin function _ZL15flash_attn_tileILi128ELi128ELi1ELi2ELb1EEvPKcS1_S1_S1_S1_PKiPfP15HIP_vector_typeIfLj2EEffffjfiS5_IjLj3EEiiiiiiiiiiiliiliiiiil
	.p2align	8
	.type	_ZL15flash_attn_tileILi128ELi128ELi1ELi2ELb1EEvPKcS1_S1_S1_S1_PKiPfP15HIP_vector_typeIfLj2EEffffjfiS5_IjLj3EEiiiiiiiiiiiliiliiiiil,@function
_ZL15flash_attn_tileILi128ELi128ELi1ELi2ELb1EEvPKcS1_S1_S1_S1_PKiPfP15HIP_vector_typeIfLj2EEffffjfiS5_IjLj3EEiiiiiiiiiiiliiliiiiil: ; @_ZL15flash_attn_tileILi128ELi128ELi1ELi2ELb1EEvPKcS1_S1_S1_S1_PKiPfP15HIP_vector_typeIfLj2EEffffjfiS5_IjLj3EEiiiiiiiiiiiliiliiiiil
; %bb.0:
	s_clause 0x1
	s_load_b128 s[4:7], s[0:1], 0x5c
	s_load_b64 s[2:3], s[0:1], 0x80
	s_mov_b64 s[34:35], 0
	s_waitcnt lgkmcnt(0)
	s_lshr_b32 s8, s7, 31
	s_delay_alu instid0(SALU_CYCLE_1) | instskip(NEXT) | instid1(SALU_CYCLE_1)
	s_add_i32 s8, s7, s8
	s_ashr_i32 s8, s8, 1
	s_delay_alu instid0(SALU_CYCLE_1) | instskip(SKIP_1) | instid1(VALU_DEP_1)
	v_cvt_f32_u32_e32 v1, s8
	s_sub_i32 s10, 0, s8
	v_rcp_iflag_f32_e32 v1, v1
	s_waitcnt_depctr 0xfff
	v_mul_f32_e32 v1, 0x4f7ffffe, v1
	s_delay_alu instid0(VALU_DEP_1) | instskip(NEXT) | instid1(VALU_DEP_1)
	v_cvt_u32_f32_e32 v1, v1
	v_readfirstlane_b32 s9, v1
	s_delay_alu instid0(VALU_DEP_1) | instskip(NEXT) | instid1(SALU_CYCLE_1)
	s_mul_i32 s10, s10, s9
	s_mul_hi_u32 s10, s9, s10
	s_delay_alu instid0(SALU_CYCLE_1) | instskip(NEXT) | instid1(SALU_CYCLE_1)
	s_add_i32 s9, s9, s10
	s_mul_hi_u32 s9, s15, s9
	s_delay_alu instid0(SALU_CYCLE_1) | instskip(SKIP_2) | instid1(SALU_CYCLE_1)
	s_mul_i32 s10, s9, s8
	s_add_i32 s11, s9, 1
	s_sub_i32 s10, s15, s10
	s_sub_i32 s12, s10, s8
	s_cmp_ge_u32 s10, s8
	s_cselect_b32 s9, s11, s9
	s_cselect_b32 s10, s12, s10
	s_add_i32 s11, s9, 1
	s_cmp_ge_u32 s10, s8
	s_cselect_b32 s12, s11, s9
	s_abs_i32 s8, s3
	s_abs_i32 s16, s7
	v_cvt_f32_u32_e32 v1, s8
	s_sub_i32 s10, 0, s8
	s_lshl_b32 s11, s15, 1
	s_mul_i32 s15, s12, s7
	s_xor_b32 s3, s7, s3
	v_rcp_iflag_f32_e32 v1, v1
	s_sub_i32 s15, s11, s15
	s_ashr_i32 s3, s3, 31
	s_waitcnt_depctr 0xfff
	v_mul_f32_e32 v1, 0x4f7ffffe, v1
	s_delay_alu instid0(VALU_DEP_1) | instskip(NEXT) | instid1(VALU_DEP_1)
	v_cvt_u32_f32_e32 v1, v1
	v_readfirstlane_b32 s9, v1
	s_delay_alu instid0(VALU_DEP_1) | instskip(NEXT) | instid1(SALU_CYCLE_1)
	s_mul_i32 s10, s10, s9
	s_mul_hi_u32 s10, s9, s10
	s_delay_alu instid0(SALU_CYCLE_1) | instskip(NEXT) | instid1(SALU_CYCLE_1)
	s_add_i32 s9, s9, s10
	s_mul_hi_u32 s9, s16, s9
	s_delay_alu instid0(SALU_CYCLE_1) | instskip(SKIP_2) | instid1(SALU_CYCLE_1)
	s_mul_i32 s10, s9, s8
	s_add_i32 s11, s9, 1
	s_sub_i32 s10, s16, s10
	s_sub_i32 s16, s10, s8
	s_cmp_ge_u32 s10, s8
	s_cselect_b32 s9, s11, s9
	s_cselect_b32 s10, s16, s10
	s_add_i32 s11, s9, 1
	s_cmp_ge_u32 s10, s8
	s_clause 0x1
	s_load_b512 s[16:31], s[0:1], 0x0
	s_load_b64 s[36:37], s[0:1], 0xb8
	s_cselect_b32 s8, s11, s9
	s_delay_alu instid0(SALU_CYCLE_1) | instskip(NEXT) | instid1(SALU_CYCLE_1)
	s_xor_b32 s8, s8, s3
	s_sub_i32 s38, s8, s3
	s_delay_alu instid0(SALU_CYCLE_1) | instskip(NEXT) | instid1(SALU_CYCLE_1)
	s_abs_i32 s33, s38
	v_cvt_f32_u32_e32 v1, s33
	s_delay_alu instid0(VALU_DEP_1) | instskip(SKIP_4) | instid1(VALU_DEP_1)
	v_rcp_iflag_f32_e32 v1, v1
	s_waitcnt lgkmcnt(0)
	s_cmp_eq_u64 s[22:23], 0
	s_waitcnt_depctr 0xfff
	v_mul_f32_e32 v1, 0x4f7ffffe, v1
	v_cvt_u32_f32_e32 v1, v1
	s_delay_alu instid0(VALU_DEP_1)
	v_readfirstlane_b32 s39, v1
	s_cbranch_scc1 .LBB85_2
; %bb.1:
	s_abs_i32 s3, s36
	s_abs_i32 s10, s12
	v_cvt_f32_u32_e32 v1, s3
	s_sub_i32 s9, 0, s3
	s_delay_alu instid0(VALU_DEP_1) | instskip(SKIP_2) | instid1(VALU_DEP_1)
	v_rcp_iflag_f32_e32 v1, v1
	s_waitcnt_depctr 0xfff
	v_mul_f32_e32 v1, 0x4f7ffffe, v1
	v_cvt_u32_f32_e32 v1, v1
	s_delay_alu instid0(VALU_DEP_1) | instskip(NEXT) | instid1(VALU_DEP_1)
	v_readfirstlane_b32 s8, v1
	s_mul_i32 s9, s9, s8
	s_delay_alu instid0(SALU_CYCLE_1) | instskip(NEXT) | instid1(SALU_CYCLE_1)
	s_mul_hi_u32 s9, s8, s9
	s_add_i32 s11, s8, s9
	s_load_b64 s[8:9], s[0:1], 0xc8
	s_mul_hi_u32 s11, s10, s11
	s_delay_alu instid0(SALU_CYCLE_1) | instskip(NEXT) | instid1(SALU_CYCLE_1)
	s_mul_i32 s11, s11, s3
	s_sub_i32 s10, s10, s11
	s_ashr_i32 s11, s12, 31
	s_sub_i32 s34, s10, s3
	s_cmp_ge_u32 s10, s3
	s_cselect_b32 s10, s34, s10
	s_delay_alu instid0(SALU_CYCLE_1) | instskip(SKIP_2) | instid1(SALU_CYCLE_1)
	s_sub_i32 s34, s10, s3
	s_cmp_ge_u32 s10, s3
	s_cselect_b32 s3, s34, s10
	s_xor_b32 s3, s3, s11
	s_delay_alu instid0(SALU_CYCLE_1)
	s_sub_i32 s3, s3, s11
	s_waitcnt lgkmcnt(0)
	s_mul_i32 s9, s3, s9
	s_mul_hi_u32 s10, s3, s8
	s_ashr_i32 s11, s3, 31
	s_add_i32 s9, s10, s9
	s_mul_i32 s11, s11, s8
	s_mul_i32 s3, s3, s8
	s_add_i32 s9, s9, s11
	s_add_u32 s34, s22, s3
	s_addc_u32 s35, s23, s9
.LBB85_2:
	v_bfe_u32 v2, v0, 10, 10
	s_load_b128 s[8:11], s[0:1], 0x70
	v_and_b32_e32 v0, 0x3ff, v0
	s_delay_alu instid0(VALU_DEP_2) | instskip(NEXT) | instid1(VALU_DEP_2)
	v_lshrrev_b32_e32 v1, 1, v2
	v_lshlrev_b32_e32 v11, 1, v0
	s_delay_alu instid0(VALU_DEP_2) | instskip(NEXT) | instid1(VALU_DEP_1)
	v_add_nc_u32_e32 v1, s13, v1
	v_mul_hi_u32 v3, s4, v1
	s_waitcnt lgkmcnt(0)
	s_mul_i32 s3, s12, s10
	s_mul_i32 s4, s15, s9
	s_delay_alu instid0(VALU_DEP_1) | instskip(NEXT) | instid1(VALU_DEP_1)
	v_add_nc_u32_e32 v3, v1, v3
	v_lshrrev_b32_e32 v3, s5, v3
	s_ashr_i32 s5, s3, 31
	s_add_u32 s3, s16, s3
	s_addc_u32 s5, s17, s5
	s_ashr_i32 s10, s4, 31
	v_mul_lo_u32 v3, v3, s6
	s_add_u32 s3, s3, s4
	s_addc_u32 s4, s5, s10
	s_ashr_i32 s5, s8, 31
	s_delay_alu instid0(SALU_CYCLE_1) | instskip(SKIP_2) | instid1(VALU_DEP_2)
	v_alignbit_b32 v7, s5, s8, 2
	s_ashr_i32 s8, s9, 31
	s_lshr_b32 s5, s5, 2
	v_sub_nc_u32_e32 v4, v1, v3
	v_alignbit_b32 v9, s8, s9, 2
	s_lshr_b32 s10, s8, 2
	s_cmp_eq_u64 s[26:27], 0
	s_delay_alu instid0(VALU_DEP_2) | instskip(NEXT) | instid1(VALU_DEP_1)
	v_mad_u64_u32 v[5:6], null, v7, v4, 0
	v_dual_mov_b32 v3, v6 :: v_dual_and_b32 v20, 1, v2
	s_delay_alu instid0(VALU_DEP_1) | instskip(NEXT) | instid1(VALU_DEP_2)
	v_mul_lo_u32 v8, s10, v20
	v_mad_u64_u32 v[6:7], null, s5, v4, v[3:4]
	v_mul_lo_u32 v7, v9, v20
	s_delay_alu instid0(VALU_DEP_2) | instskip(NEXT) | instid1(VALU_DEP_2)
	v_lshlrev_b64 v[5:6], 2, v[5:6]
	v_lshlrev_b64 v[7:8], 2, v[7:8]
	s_delay_alu instid0(VALU_DEP_1) | instskip(NEXT) | instid1(VALU_DEP_2)
	v_add_co_u32 v3, vcc_lo, s3, v7
	v_add_co_ci_u32_e32 v7, vcc_lo, s4, v8, vcc_lo
	v_lshlrev_b32_e32 v8, 4, v0
	s_delay_alu instid0(VALU_DEP_3) | instskip(NEXT) | instid1(VALU_DEP_3)
	v_add_co_u32 v3, vcc_lo, v3, v5
	v_add_co_ci_u32_e32 v6, vcc_lo, v7, v6, vcc_lo
	s_load_b32 s3, s[0:1], 0x40
	s_delay_alu instid0(VALU_DEP_2) | instskip(NEXT) | instid1(VALU_DEP_2)
	v_add_co_u32 v5, vcc_lo, v3, v8
	v_add_co_ci_u32_e32 v6, vcc_lo, 0, v6, vcc_lo
	v_lshlrev_b32_e32 v3, 6, v2
	global_load_b128 v[5:8], v[5:6], off
	s_waitcnt vmcnt(0) lgkmcnt(0)
	v_fma_mixlo_f16 v10, v7, s3, 0
	v_fma_mixlo_f16 v9, v5, s3, 0
	v_add_lshl_u32 v5, v3, v11, 2
	s_delay_alu instid0(VALU_DEP_3) | instskip(NEXT) | instid1(VALU_DEP_3)
	v_fma_mixhi_f16 v10, v8, s3, 0
	v_fma_mixhi_f16 v9, v6, s3, 0
	ds_store_b64 v5, v[9:10] offset:4608
	s_waitcnt lgkmcnt(0)
	s_barrier
	buffer_gl0_inv
	s_cbranch_scc1 .LBB85_4
; %bb.3:
	s_load_b32 s2, s[0:1], 0xd0
	s_mov_b32 s3, 0
	s_waitcnt lgkmcnt(0)
	s_mul_i32 s2, s2, s12
	s_delay_alu instid0(SALU_CYCLE_1) | instskip(NEXT) | instid1(SALU_CYCLE_1)
	s_add_i32 s2, s2, s13
	s_lshl_b64 s[2:3], s[2:3], 2
	s_delay_alu instid0(SALU_CYCLE_1)
	s_add_u32 s2, s26, s2
	s_addc_u32 s3, s27, s3
	s_load_b32 s2, s[2:3], 0x0
.LBB85_4:
	v_mbcnt_lo_u32_b32 v22, -1, 0
	s_lshl_b32 s3, s14, 5
	s_waitcnt lgkmcnt(0)
	s_cmp_lt_i32 s3, s2
	s_cbranch_scc1 .LBB85_6
; %bb.5:
	v_mbcnt_lo_u32_b32 v5, -1, 0
	v_mov_b32_e32 v24, 32
	s_mov_b32 s4, 0
	s_mov_b32 s5, 0xfeffffff
	s_delay_alu instid0(VALU_DEP_2)
	v_xor_b32_e32 v43, 16, v5
	v_xor_b32_e32 v44, 8, v5
	;; [unrolled: 1-line block ×5, first 2 shown]
	s_branch .LBB85_7
.LBB85_6:
	s_mov_b32 s4, -1
                                        ; implicit-def: $sgpr5
                                        ; implicit-def: $vgpr5
                                        ; implicit-def: $vgpr24
                                        ; implicit-def: $vgpr43
                                        ; implicit-def: $vgpr44
                                        ; implicit-def: $vgpr45
                                        ; implicit-def: $vgpr46
                                        ; implicit-def: $vgpr47
.LBB85_7:
	s_delay_alu instid0(SALU_CYCLE_1) | instskip(SKIP_3) | instid1(VALU_DEP_4)
	v_cndmask_b32_e64 v6, 0, 1, s4
	v_dual_mov_b32 v25, s4 :: v_dual_mov_b32 v30, s4
	v_lshlrev_b32_e32 v21, 2, v0
	v_mov_b32_e32 v19, s5
	v_cmp_ne_u32_e32 vcc_lo, 1, v6
	v_mov_b32_e32 v23, s4
	s_cbranch_vccnz .LBB85_16
; %bb.8:
	s_clause 0x1
	s_load_b128 s[8:11], s[0:1], 0x98
	s_load_b64 s[4:5], s[0:1], 0x8c
	s_sub_i32 s13, 0, s33
	s_abs_i32 s17, s15
	s_mul_i32 s13, s13, s39
	s_ashr_i32 s27, s38, 31
	s_mul_hi_u32 s13, s39, s13
	s_ashr_i32 s38, s12, 31
	s_add_i32 s39, s39, s13
	s_ashr_i32 s36, s37, 1
	s_mul_hi_u32 s37, s17, s39
	s_ashr_i32 s26, s15, 31
	s_load_b64 s[22:23], s[0:1], 0xa8
	s_mul_i32 s39, s37, s33
	v_lshrrev_b32_e32 v5, 3, v0
	v_lshrrev_b32_e32 v10, 4, v0
	v_dual_mov_b32 v42, 0xfeffffff :: v_dual_and_b32 v19, 28, v21
	v_and_b32_e32 v25, 60, v21
	s_delay_alu instid0(VALU_DEP_4)
	v_lshl_add_u32 v6, v2, 2, v5
	s_waitcnt lgkmcnt(0)
	s_mul_i32 s40, s38, s8
	s_ashr_i32 s16, s4, 2
	s_mul_i32 s4, s12, s9
	s_mul_hi_u32 s9, s12, s8
	s_mul_i32 s8, s12, s8
	s_add_i32 s4, s9, s4
	s_ashr_i32 s13, s10, 2
	s_add_i32 s4, s4, s40
	s_add_u32 s8, s18, s8
	s_addc_u32 s4, s19, s4
	s_sub_i32 s17, s17, s39
	s_xor_b32 s9, s26, s27
	s_add_i32 s18, s37, 1
	s_sub_i32 s19, s17, s33
	s_cmp_ge_u32 s17, s33
	s_mul_i32 s38, s38, s22
	s_cselect_b32 s18, s18, s37
	s_cselect_b32 s17, s19, s17
	s_add_i32 s19, s18, 1
	s_cmp_ge_u32 s17, s33
	v_mul_lo_u32 v5, s16, v6
	s_cselect_b32 s17, s19, s18
	s_mul_i32 s18, s12, s23
	s_xor_b32 s17, s17, s9
	s_mul_hi_u32 s19, s12, s22
	s_sub_i32 s17, s17, s9
	s_mul_i32 s22, s12, s22
	s_mul_i32 s5, s17, s5
	s_mul_i32 s17, s17, s11
	s_ashr_i32 s9, s5, 31
	s_add_u32 s8, s8, s5
	s_addc_u32 s9, s4, s9
	s_add_i32 s4, s19, s18
	v_lshl_add_u32 v14, v2, 1, v10
	s_add_i32 s4, s4, s38
	s_add_u32 s5, s20, s22
	s_addc_u32 s4, s21, s4
	s_ashr_i32 s18, s17, 31
	s_add_u32 s11, s5, s17
	s_addc_u32 s17, s4, s18
	s_lshl_b32 s4, s16, 3
	v_mul_lo_u32 v13, s13, v14
	v_dual_mov_b32 v24, 32 :: v_dual_add_nc_u32 v7, s4, v5
	v_mov_b32_e32 v30, 0
	s_load_b32 s18, s[0:1], 0x54
	v_dual_mov_b32 v23, 0 :: v_dual_lshlrev_b32 v8, 2, v19
	s_delay_alu instid0(VALU_DEP_3) | instskip(SKIP_2) | instid1(VALU_DEP_4)
	v_add_nc_u32_e32 v9, s4, v7
	v_lshlrev_b32_e32 v16, 2, v25
	v_add_nc_u32_e32 v33, 0x1400, v3
	v_mad_u32_u24 v26, 0x90, v6, v8
	v_ashrrev_i32_e32 v6, 31, v5
	v_add_nc_u32_e32 v11, s4, v9
	s_and_b32 s4, s10, -4
	v_ashrrev_i32_e32 v8, 31, v7
	v_add_nc_u32_e32 v15, s4, v13
	v_ashrrev_i32_e32 v10, 31, v9
	v_ashrrev_i32_e32 v12, 31, v11
	v_lshl_or_b32 v34, v14, 8, v16
	v_ashrrev_i32_e32 v14, 31, v13
	v_add_nc_u32_e32 v17, s4, v15
	v_ashrrev_i32_e32 v16, 31, v15
	v_lshl_add_u32 v32, v2, 8, 0x1200
	v_mad_u64_u32 v[2:3], null, v4, s36, v[0:1]
	s_delay_alu instid0(VALU_DEP_4)
	v_add_nc_u32_e32 v43, s4, v17
	v_ashrrev_i32_e32 v18, 31, v17
	v_lshlrev_b64 v[3:4], 2, v[5:6]
	v_lshlrev_b64 v[5:6], 2, v[7:8]
	;; [unrolled: 1-line block ×3, first 2 shown]
	v_ashrrev_i32_e32 v44, 31, v43
	v_lshlrev_b64 v[9:10], 2, v[11:12]
	v_lshlrev_b64 v[11:12], 2, v[13:14]
	;; [unrolled: 1-line block ×5, first 2 shown]
	v_add_nc_u32_e32 v27, 0x480, v26
	v_add_nc_u32_e32 v28, 0x900, v26
	;; [unrolled: 1-line block ×3, first 2 shown]
	v_mul_u32_u24_e32 v31, 0x90, v0
	v_lshl_add_u32 v35, v0, 1, v33
	v_add_nc_u32_e32 v36, 0x400, v34
	v_add_nc_u32_e32 v37, 0x800, v34
	;; [unrolled: 1-line block ×3, first 2 shown]
	v_lshlrev_b32_e32 v39, 3, v0
	v_lshlrev_b32_e32 v40, 2, v19
	;; [unrolled: 1-line block ×3, first 2 shown]
	v_mov_b32_e32 v25, 0
	s_add_u32 s4, s0, 0xd0
	s_addc_u32 s5, s1, 0
	s_mov_b32 s10, 0xbbbac73d
.LBB85_9:                               ; =>This Inner Loop Header: Depth=1
	s_mul_hi_i32 s21, s3, s16
	s_mul_i32 s20, s3, s16
	s_delay_alu instid0(SALU_CYCLE_1) | instskip(NEXT) | instid1(SALU_CYCLE_1)
	s_lshl_b64 s[20:21], s[20:21], 2
	s_add_u32 s19, s8, s20
	s_addc_u32 s20, s9, s21
	v_add_co_u32 v19, vcc_lo, s19, v3
	v_add_co_ci_u32_e32 v43, vcc_lo, s20, v4, vcc_lo
	v_add_co_u32 v44, vcc_lo, s19, v5
	v_add_co_ci_u32_e32 v45, vcc_lo, s20, v6, vcc_lo
	s_delay_alu instid0(VALU_DEP_4) | instskip(NEXT) | instid1(VALU_DEP_4)
	v_add_co_u32 v59, vcc_lo, v19, v40
	v_add_co_ci_u32_e32 v60, vcc_lo, 0, v43, vcc_lo
	s_delay_alu instid0(VALU_DEP_4) | instskip(NEXT) | instid1(VALU_DEP_4)
	v_add_co_u32 v61, vcc_lo, v44, v40
	v_add_co_ci_u32_e32 v62, vcc_lo, 0, v45, vcc_lo
	v_add_co_u32 v19, vcc_lo, s19, v7
	v_add_co_ci_u32_e32 v43, vcc_lo, s20, v8, vcc_lo
	;; [unrolled: 2-line block ×3, first 2 shown]
	s_delay_alu instid0(VALU_DEP_4) | instskip(NEXT) | instid1(VALU_DEP_4)
	v_add_co_u32 v63, vcc_lo, v19, v40
	v_add_co_ci_u32_e32 v64, vcc_lo, 0, v43, vcc_lo
	s_delay_alu instid0(VALU_DEP_4) | instskip(NEXT) | instid1(VALU_DEP_4)
	v_add_co_u32 v65, vcc_lo, v44, v40
	v_add_co_ci_u32_e32 v66, vcc_lo, 0, v45, vcc_lo
	s_clause 0x3
	global_load_b128 v[43:46], v[59:60], off
	global_load_b128 v[47:50], v[61:62], off
	;; [unrolled: 1-line block ×4, first 2 shown]
	v_mov_b32_e32 v19, 0
	s_waitcnt vmcnt(3)
	ds_store_b128 v26, v[43:46]
	s_waitcnt vmcnt(2)
	ds_store_b128 v27, v[47:50]
	;; [unrolled: 2-line block ×4, first 2 shown]
	s_waitcnt lgkmcnt(0)
	s_barrier
	buffer_gl0_inv
	ds_load_b128 v[43:46], v31
	ds_load_b128 v[47:50], v32
	s_waitcnt lgkmcnt(0)
	;;#ASMSTART
	v_dot2_f32_f16 v19, v43, v47, v19
	;;#ASMEND
	;;#ASMSTART
	v_dot2_f32_f16 v19, v44, v48, v19
	;;#ASMEND
	;;#ASMSTART
	v_dot2_f32_f16 v19, v45, v49, v19
	;;#ASMEND
	;;#ASMSTART
	v_dot2_f32_f16 v19, v46, v50, v19
	;;#ASMEND
	ds_load_b128 v[43:46], v31 offset:16
	ds_load_b128 v[47:50], v32 offset:16
	s_waitcnt lgkmcnt(0)
	;;#ASMSTART
	v_dot2_f32_f16 v19, v43, v47, v19
	;;#ASMEND
	;;#ASMSTART
	v_dot2_f32_f16 v19, v44, v48, v19
	;;#ASMEND
	;;#ASMSTART
	v_dot2_f32_f16 v19, v45, v49, v19
	;;#ASMEND
	;;#ASMSTART
	v_dot2_f32_f16 v19, v46, v50, v19
	;;#ASMEND
	ds_load_b128 v[43:46], v31 offset:32
	ds_load_b128 v[47:50], v32 offset:32
	;; [unrolled: 15-line block ×7, first 2 shown]
	s_waitcnt lgkmcnt(0)
	;;#ASMSTART
	v_dot2_f32_f16 v19, v43, v47, v19
	;;#ASMEND
	;;#ASMSTART
	v_dot2_f32_f16 v19, v44, v48, v19
	;;#ASMEND
	;; [unrolled: 3-line block ×4, first 2 shown]
	s_barrier
	buffer_gl0_inv
	s_clause 0x3
	global_load_b128 v[43:46], v[59:60], off offset:128
	global_load_b128 v[47:50], v[61:62], off offset:128
	;; [unrolled: 1-line block ×4, first 2 shown]
	s_waitcnt vmcnt(3)
	ds_store_b128 v26, v[43:46]
	s_waitcnt vmcnt(2)
	ds_store_b128 v27, v[47:50]
	;; [unrolled: 2-line block ×4, first 2 shown]
	s_waitcnt lgkmcnt(0)
	s_barrier
	buffer_gl0_inv
	ds_load_b128 v[43:46], v31
	ds_load_b128 v[47:50], v32 offset:128
	s_waitcnt lgkmcnt(0)
	;;#ASMSTART
	v_dot2_f32_f16 v19, v43, v47, v19
	;;#ASMEND
	;;#ASMSTART
	v_dot2_f32_f16 v19, v44, v48, v19
	;;#ASMEND
	;;#ASMSTART
	v_dot2_f32_f16 v19, v45, v49, v19
	;;#ASMEND
	;;#ASMSTART
	v_dot2_f32_f16 v19, v46, v50, v19
	;;#ASMEND
	ds_load_b128 v[43:46], v31 offset:16
	ds_load_b128 v[47:50], v32 offset:144
	s_waitcnt lgkmcnt(0)
	;;#ASMSTART
	v_dot2_f32_f16 v19, v43, v47, v19
	;;#ASMEND
	;;#ASMSTART
	v_dot2_f32_f16 v19, v44, v48, v19
	;;#ASMEND
	;;#ASMSTART
	v_dot2_f32_f16 v19, v45, v49, v19
	;;#ASMEND
	;;#ASMSTART
	v_dot2_f32_f16 v19, v46, v50, v19
	;;#ASMEND
	ds_load_b128 v[43:46], v31 offset:32
	;; [unrolled: 15-line block ×7, first 2 shown]
	ds_load_b128 v[47:50], v32 offset:240
	s_waitcnt lgkmcnt(0)
	;;#ASMSTART
	v_dot2_f32_f16 v19, v43, v47, v19
	;;#ASMEND
	;;#ASMSTART
	v_dot2_f32_f16 v19, v44, v48, v19
	;;#ASMEND
	;; [unrolled: 3-line block ×4, first 2 shown]
	v_cmp_ngt_f32_e64 s19, 0x3f200000, |v19|
                                        ; implicit-def: $vgpr43
	s_delay_alu instid0(VALU_DEP_1) | instskip(NEXT) | instid1(SALU_CYCLE_1)
	s_and_saveexec_b32 s20, s19
	s_xor_b32 s19, exec_lo, s20
	s_cbranch_execz .LBB85_11
; %bb.10:                               ;   in Loop: Header=BB85_9 Depth=1
	v_add_f32_e64 v43, |v19|, |v19|
	s_delay_alu instid0(VALU_DEP_1) | instskip(SKIP_1) | instid1(VALU_DEP_2)
	v_mul_f32_e32 v44, 0x3fb8aa3b, v43
	v_cmp_ngt_f32_e32 vcc_lo, 0xc2ce8ed0, v43
	v_rndne_f32_e32 v45, v44
	v_fma_f32 v46, 0x3fb8aa3b, v43, -v44
	s_delay_alu instid0(VALU_DEP_2) | instskip(NEXT) | instid1(VALU_DEP_2)
	v_sub_f32_e32 v44, v44, v45
	v_fmac_f32_e32 v46, 0x32a5705f, v43
	v_cvt_i32_f32_e32 v45, v45
	s_delay_alu instid0(VALU_DEP_2) | instskip(NEXT) | instid1(VALU_DEP_1)
	v_add_f32_e32 v44, v44, v46
	v_exp_f32_e32 v44, v44
	s_waitcnt_depctr 0xfff
	v_ldexp_f32 v44, v44, v45
	s_delay_alu instid0(VALU_DEP_1) | instskip(SKIP_1) | instid1(VALU_DEP_2)
	v_cndmask_b32_e32 v44, 0, v44, vcc_lo
	v_cmp_nlt_f32_e32 vcc_lo, 0x42b17218, v43
	v_cndmask_b32_e32 v43, 0x7f800000, v44, vcc_lo
	s_delay_alu instid0(VALU_DEP_1) | instskip(NEXT) | instid1(VALU_DEP_1)
	v_add_f32_e32 v43, 1.0, v43
	v_rcp_f32_e32 v43, v43
	s_waitcnt_depctr 0xfff
	v_fma_f32 v43, v43, -2.0, 1.0
.LBB85_11:                              ;   in Loop: Header=BB85_9 Depth=1
	s_and_not1_saveexec_b32 s19, s19
; %bb.12:                               ;   in Loop: Header=BB85_9 Depth=1
	v_mul_f32_e32 v43, v19, v19
	s_delay_alu instid0(VALU_DEP_1) | instskip(NEXT) | instid1(VALU_DEP_1)
	v_fmaak_f32 v44, s10, v43, 0x3ca908c9
	v_fmaak_f32 v44, v43, v44, 0xbd5c1c4e
	s_delay_alu instid0(VALU_DEP_1) | instskip(NEXT) | instid1(VALU_DEP_1)
	v_fmaak_f32 v44, v43, v44, 0x3e088382
	v_fmaak_f32 v44, v43, v44, 0xbeaaaa99
	s_delay_alu instid0(VALU_DEP_1) | instskip(NEXT) | instid1(VALU_DEP_1)
	v_mul_f32_e64 v44, |v19|, v44
	v_fma_f32 v43, v43, v44, |v19|
; %bb.13:                               ;   in Loop: Header=BB85_9 Depth=1
	s_or_b32 exec_lo, exec_lo, s19
	v_add_nc_u32_e32 v44, s3, v2
	s_mul_hi_i32 s21, s3, s13
	s_mul_i32 s20, s3, s13
	v_bfi_b32 v19, 0x7fffffff, v43, v19
	s_lshl_b64 s[20:21], s[20:21], 2
	v_ashrrev_i32_e32 v45, 31, v44
	s_add_u32 s19, s11, s20
	s_addc_u32 s20, s17, s21
	v_xor_b32_e32 v43, 16, v22
	v_add_nc_u32_e32 v104, 0x800, v39
	v_lshlrev_b64 v[44:45], 1, v[44:45]
	s_delay_alu instid0(VALU_DEP_1) | instskip(NEXT) | instid1(VALU_DEP_2)
	v_add_co_u32 v44, vcc_lo, s34, v44
	v_add_co_ci_u32_e32 v45, vcc_lo, s35, v45, vcc_lo
	flat_load_u16 v64, v[44:45]
	v_add_co_u32 v44, vcc_lo, s19, v11
	v_add_co_ci_u32_e32 v45, vcc_lo, s20, v12, vcc_lo
	v_add_co_u32 v46, vcc_lo, s19, v13
	v_add_co_ci_u32_e32 v47, vcc_lo, s20, v14, vcc_lo
	;; [unrolled: 2-line block ×8, first 2 shown]
	s_waitcnt vmcnt(0) lgkmcnt(0)
	s_barrier
	buffer_gl0_inv
	s_clause 0x3
	global_load_b128 v[48:51], v[44:45], off
	global_load_b128 v[52:55], v[46:47], off
	;; [unrolled: 1-line block ×4, first 2 shown]
	v_cmp_gt_i32_e32 vcc_lo, 32, v43
	s_or_b32 s19, s3, 16
	s_delay_alu instid0(SALU_CYCLE_1) | instskip(SKIP_1) | instid1(SALU_CYCLE_1)
	s_mul_hi_i32 s21, s19, s13
	s_mul_i32 s20, s19, s13
	s_lshl_b64 s[20:21], s[20:21], 2
	s_delay_alu instid0(SALU_CYCLE_1) | instskip(SKIP_2) | instid1(VALU_DEP_1)
	s_add_u32 s19, s11, s20
	s_addc_u32 s20, s17, s21
	v_fma_mix_f32 v64, v19, s18, v64 op_sel_hi:[0,0,1]
	v_dual_add_f32 v45, 0x40051340, v64 :: v_dual_cndmask_b32 v44, v22, v43
	s_delay_alu instid0(VALU_DEP_1) | instskip(NEXT) | instid1(VALU_DEP_1)
	v_dual_max_f32 v19, v42, v42 :: v_dual_lshlrev_b32 v44, 2, v44
	v_max_f32_e32 v19, v19, v45
	ds_bpermute_b32 v45, v44, v19
	v_xor_b32_e32 v44, 8, v22
	s_delay_alu instid0(VALU_DEP_1) | instskip(SKIP_2) | instid1(VALU_DEP_1)
	v_cmp_gt_i32_e32 vcc_lo, 32, v44
	s_waitcnt lgkmcnt(0)
	v_dual_cndmask_b32 v46, v22, v44 :: v_dual_max_f32 v45, v45, v45
	v_dual_max_f32 v19, v19, v45 :: v_dual_lshlrev_b32 v46, 2, v46
	v_xor_b32_e32 v45, 4, v22
	ds_bpermute_b32 v46, v46, v19
	v_cmp_gt_i32_e32 vcc_lo, 32, v45
	v_cndmask_b32_e32 v47, v22, v45, vcc_lo
	s_waitcnt lgkmcnt(0)
	s_delay_alu instid0(VALU_DEP_1) | instskip(NEXT) | instid1(VALU_DEP_1)
	v_dual_max_f32 v46, v46, v46 :: v_dual_lshlrev_b32 v47, 2, v47
	v_max_f32_e32 v19, v19, v46
	v_xor_b32_e32 v46, 2, v22
	ds_bpermute_b32 v47, v47, v19
	v_cmp_gt_i32_e32 vcc_lo, 32, v46
	v_cndmask_b32_e32 v65, v22, v46, vcc_lo
	s_delay_alu instid0(VALU_DEP_1) | instskip(SKIP_2) | instid1(VALU_DEP_1)
	v_lshlrev_b32_e32 v65, 2, v65
	s_waitcnt lgkmcnt(0)
	v_max_f32_e32 v47, v47, v47
	v_max_f32_e32 v19, v19, v47
	v_xor_b32_e32 v47, 1, v22
	ds_bpermute_b32 v65, v65, v19
	v_cmp_gt_i32_e32 vcc_lo, 32, v47
	v_cndmask_b32_e32 v66, v22, v47, vcc_lo
	v_add_co_u32 v68, vcc_lo, s19, v11
	v_add_co_ci_u32_e32 v69, vcc_lo, s20, v12, vcc_lo
	s_waitcnt lgkmcnt(0)
	s_delay_alu instid0(VALU_DEP_3) | instskip(NEXT) | instid1(VALU_DEP_1)
	v_dual_max_f32 v65, v65, v65 :: v_dual_lshlrev_b32 v66, 2, v66
	v_max_f32_e32 v19, v19, v65
	ds_bpermute_b32 v65, v66, v19
	s_waitcnt lgkmcnt(0)
	v_max_f32_e32 v65, v65, v65
	s_delay_alu instid0(VALU_DEP_1) | instskip(NEXT) | instid1(VALU_DEP_1)
	v_max_f32_e32 v19, v19, v65
	v_sub_f32_e32 v64, v64, v19
	s_delay_alu instid0(VALU_DEP_1) | instskip(NEXT) | instid1(VALU_DEP_1)
	v_dual_sub_f32 v42, v42, v19 :: v_dual_mul_f32 v65, 0x3fb8aa3b, v64
	v_mul_f32_e32 v106, 0x3fb8aa3b, v42
	s_delay_alu instid0(VALU_DEP_2) | instskip(SKIP_1) | instid1(VALU_DEP_3)
	v_fma_f32 v66, 0x3fb8aa3b, v64, -v65
	v_rndne_f32_e32 v67, v65
	v_fma_f32 v107, 0x3fb8aa3b, v42, -v106
	v_rndne_f32_e32 v108, v106
	s_delay_alu instid0(VALU_DEP_3) | instskip(SKIP_1) | instid1(VALU_DEP_3)
	v_dual_fmac_f32 v66, 0x32a5705f, v64 :: v_dual_sub_f32 v65, v65, v67
	v_cvt_i32_f32_e32 v67, v67
	v_dual_fmac_f32 v107, 0x32a5705f, v42 :: v_dual_sub_f32 v106, v106, v108
	s_delay_alu instid0(VALU_DEP_3) | instskip(SKIP_2) | instid1(VALU_DEP_3)
	v_add_f32_e32 v65, v65, v66
	v_add_co_u32 v66, vcc_lo, s19, v13
	v_add_co_ci_u32_e32 v70, vcc_lo, s20, v14, vcc_lo
	v_exp_f32_e32 v65, v65
	v_add_co_u32 v71, vcc_lo, s19, v15
	v_add_co_ci_u32_e32 v72, vcc_lo, s20, v16, vcc_lo
	v_add_co_u32 v73, vcc_lo, s19, v17
	v_add_co_ci_u32_e32 v74, vcc_lo, s20, v18, vcc_lo
	;; [unrolled: 2-line block ×3, first 2 shown]
	s_delay_alu instid0(TRANS32_DEP_1) | instskip(SKIP_3) | instid1(VALU_DEP_4)
	v_ldexp_f32 v65, v65, v67
	v_cmp_ngt_f32_e32 vcc_lo, 0xc2ce8ed0, v64
	v_add_f32_e32 v106, v106, v107
	v_cvt_i32_f32_e32 v107, v108
	v_cndmask_b32_e32 v65, 0, v65, vcc_lo
	v_add_co_u32 v92, vcc_lo, v66, v41
	v_add_co_ci_u32_e32 v93, vcc_lo, 0, v70, vcc_lo
	v_cmp_nlt_f32_e32 vcc_lo, 0x42b17218, v64
	v_exp_f32_e32 v106, v106
	v_cndmask_b32_e32 v105, 0x7f800000, v65, vcc_lo
	v_add_co_u32 v96, vcc_lo, v71, v41
	v_add_co_ci_u32_e32 v97, vcc_lo, 0, v72, vcc_lo
	s_delay_alu instid0(VALU_DEP_3)
	v_cvt_f16_f32_e32 v64, v105
	v_add_co_u32 v100, vcc_lo, v73, v41
	v_add_co_ci_u32_e32 v101, vcc_lo, 0, v74, vcc_lo
	ds_store_b16 v35, v64
	s_waitcnt vmcnt(3)
	ds_store_b128 v34, v[48:51]
	s_waitcnt vmcnt(2)
	ds_store_b128 v36, v[52:55]
	;; [unrolled: 2-line block ×4, first 2 shown]
	s_waitcnt lgkmcnt(0)
	s_barrier
	buffer_gl0_inv
	ds_load_2addr_b64 v[48:51], v39 offset1:32
	ds_load_b128 v[52:55], v33
	ds_load_b128 v[56:59], v33 offset:16
	ds_load_2addr_b64 v[60:63], v39 offset0:64 offset1:96
	ds_load_2addr_b64 v[64:67], v39 offset0:128 offset1:160
	;; [unrolled: 1-line block ×3, first 2 shown]
	ds_load_2addr_b64 v[72:75], v104 offset1:32
	ds_load_2addr_b64 v[76:79], v104 offset0:64 offset1:96
	ds_load_2addr_b64 v[80:83], v104 offset0:128 offset1:160
	;; [unrolled: 1-line block ×3, first 2 shown]
	s_waitcnt lgkmcnt(0)
	s_barrier
	buffer_gl0_inv
	s_clause 0x3
	global_load_b128 v[88:91], v[88:89], off
	global_load_b128 v[92:95], v[92:93], off
	;; [unrolled: 1-line block ×4, first 2 shown]
	v_ldexp_f32 v106, v106, v107
	v_cmp_ngt_f32_e32 vcc_lo, 0xc2ce8ed0, v42
	s_waitcnt vmcnt(3)
	ds_store_b128 v34, v[88:91]
	s_waitcnt vmcnt(2)
	ds_store_b128 v36, v[92:95]
	;; [unrolled: 2-line block ×4, first 2 shown]
	v_cndmask_b32_e32 v106, 0, v106, vcc_lo
	v_cmp_nlt_f32_e32 vcc_lo, 0x42b17218, v42
	v_pk_mul_f16 v48, v48, v52 op_sel_hi:[1,0]
	v_pk_mul_f16 v49, v49, v52 op_sel_hi:[1,0]
	s_waitcnt lgkmcnt(0)
	s_barrier
	v_cndmask_b32_e32 v42, 0x7f800000, v106, vcc_lo
	buffer_gl0_inv
	v_cvt_f16_f32_e32 v106, v42
	v_fma_f32 v30, v30, v42, v105
	s_delay_alu instid0(VALU_DEP_2) | instskip(SKIP_1) | instid1(VALU_DEP_2)
	v_pk_fma_f16 v23, v23, v106, v48 op_sel_hi:[1,0,1]
	v_pk_fma_f16 v25, v25, v106, v49 op_sel_hi:[1,0,1]
	v_pk_fma_f16 v23, v50, v52, v23 op_sel:[0,1,0]
	s_delay_alu instid0(VALU_DEP_2) | instskip(NEXT) | instid1(VALU_DEP_2)
	v_pk_fma_f16 v25, v51, v52, v25 op_sel:[0,1,0]
	v_pk_fma_f16 v23, v60, v53, v23 op_sel_hi:[1,0,1]
	s_delay_alu instid0(VALU_DEP_2) | instskip(NEXT) | instid1(VALU_DEP_2)
	v_pk_fma_f16 v25, v61, v53, v25 op_sel_hi:[1,0,1]
	v_pk_fma_f16 v23, v62, v53, v23 op_sel:[0,1,0]
	s_delay_alu instid0(VALU_DEP_2) | instskip(NEXT) | instid1(VALU_DEP_2)
	v_pk_fma_f16 v25, v63, v53, v25 op_sel:[0,1,0]
	v_pk_fma_f16 v23, v64, v54, v23 op_sel_hi:[1,0,1]
	s_delay_alu instid0(VALU_DEP_2) | instskip(NEXT) | instid1(VALU_DEP_2)
	v_pk_fma_f16 v25, v65, v54, v25 op_sel_hi:[1,0,1]
	v_pk_fma_f16 v23, v66, v54, v23 op_sel:[0,1,0]
	s_delay_alu instid0(VALU_DEP_2) | instskip(NEXT) | instid1(VALU_DEP_2)
	v_pk_fma_f16 v25, v67, v54, v25 op_sel:[0,1,0]
	v_pk_fma_f16 v23, v68, v55, v23 op_sel_hi:[1,0,1]
	s_delay_alu instid0(VALU_DEP_2) | instskip(NEXT) | instid1(VALU_DEP_2)
	v_pk_fma_f16 v25, v69, v55, v25 op_sel_hi:[1,0,1]
	v_pk_fma_f16 v23, v70, v55, v23 op_sel:[0,1,0]
	s_delay_alu instid0(VALU_DEP_2)
	v_pk_fma_f16 v25, v71, v55, v25 op_sel:[0,1,0]
	ds_load_2addr_b64 v[48:51], v39 offset1:32
	ds_load_b128 v[52:55], v33 offset:32
	ds_load_2addr_b64 v[60:63], v39 offset0:64 offset1:96
	v_pk_fma_f16 v23, v72, v56, v23 op_sel_hi:[1,0,1]
	v_pk_fma_f16 v25, v73, v56, v25 op_sel_hi:[1,0,1]
	s_delay_alu instid0(VALU_DEP_2) | instskip(NEXT) | instid1(VALU_DEP_2)
	v_pk_fma_f16 v23, v74, v56, v23 op_sel:[0,1,0]
	v_pk_fma_f16 v25, v75, v56, v25 op_sel:[0,1,0]
	s_delay_alu instid0(VALU_DEP_2) | instskip(NEXT) | instid1(VALU_DEP_2)
	v_pk_fma_f16 v23, v76, v57, v23 op_sel_hi:[1,0,1]
	v_pk_fma_f16 v25, v77, v57, v25 op_sel_hi:[1,0,1]
	s_delay_alu instid0(VALU_DEP_2) | instskip(NEXT) | instid1(VALU_DEP_2)
	v_pk_fma_f16 v23, v78, v57, v23 op_sel:[0,1,0]
	v_pk_fma_f16 v25, v79, v57, v25 op_sel:[0,1,0]
	s_delay_alu instid0(VALU_DEP_2) | instskip(NEXT) | instid1(VALU_DEP_2)
	;; [unrolled: 6-line block ×3, first 2 shown]
	v_pk_fma_f16 v23, v84, v59, v23 op_sel_hi:[1,0,1]
	v_pk_fma_f16 v25, v85, v59, v25 op_sel_hi:[1,0,1]
	s_delay_alu instid0(VALU_DEP_2) | instskip(NEXT) | instid1(VALU_DEP_2)
	v_pk_fma_f16 v23, v86, v59, v23 op_sel:[0,1,0]
	v_pk_fma_f16 v25, v87, v59, v25 op_sel:[0,1,0]
	ds_load_b128 v[56:59], v33 offset:48
	ds_load_2addr_b64 v[64:67], v39 offset0:128 offset1:160
	s_waitcnt lgkmcnt(3)
	v_pk_fma_f16 v23, v48, v52, v23 op_sel_hi:[1,0,1]
	v_pk_fma_f16 v25, v49, v52, v25 op_sel_hi:[1,0,1]
	s_delay_alu instid0(VALU_DEP_2) | instskip(NEXT) | instid1(VALU_DEP_2)
	v_pk_fma_f16 v23, v50, v52, v23 op_sel:[0,1,0]
	v_pk_fma_f16 v25, v51, v52, v25 op_sel:[0,1,0]
	ds_load_2addr_b64 v[48:51], v39 offset0:192 offset1:224
	s_waitcnt lgkmcnt(3)
	v_pk_fma_f16 v23, v60, v53, v23 op_sel_hi:[1,0,1]
	v_pk_fma_f16 v25, v61, v53, v25 op_sel_hi:[1,0,1]
	s_delay_alu instid0(VALU_DEP_2) | instskip(NEXT) | instid1(VALU_DEP_2)
	v_pk_fma_f16 v23, v62, v53, v23 op_sel:[0,1,0]
	v_pk_fma_f16 v25, v63, v53, v25 op_sel:[0,1,0]
	ds_load_2addr_b64 v[60:63], v104 offset1:32
	s_waitcnt lgkmcnt(2)
	v_pk_fma_f16 v23, v64, v54, v23 op_sel_hi:[1,0,1]
	v_pk_fma_f16 v25, v65, v54, v25 op_sel_hi:[1,0,1]
	s_delay_alu instid0(VALU_DEP_2) | instskip(NEXT) | instid1(VALU_DEP_2)
	v_pk_fma_f16 v23, v66, v54, v23 op_sel:[0,1,0]
	v_pk_fma_f16 v25, v67, v54, v25 op_sel:[0,1,0]
	ds_load_2addr_b64 v[64:67], v104 offset0:64 offset1:96
	s_waitcnt lgkmcnt(2)
	v_pk_fma_f16 v23, v48, v55, v23 op_sel_hi:[1,0,1]
	v_pk_fma_f16 v25, v49, v55, v25 op_sel_hi:[1,0,1]
	s_delay_alu instid0(VALU_DEP_2) | instskip(NEXT) | instid1(VALU_DEP_2)
	v_pk_fma_f16 v23, v50, v55, v23 op_sel:[0,1,0]
	v_pk_fma_f16 v25, v51, v55, v25 op_sel:[0,1,0]
	ds_load_2addr_b64 v[48:51], v104 offset0:128 offset1:160
	ds_load_2addr_b64 v[52:55], v104 offset0:192 offset1:224
	s_waitcnt lgkmcnt(0)
	v_pk_fma_f16 v23, v60, v56, v23 op_sel_hi:[1,0,1]
	v_pk_fma_f16 v25, v61, v56, v25 op_sel_hi:[1,0,1]
	s_barrier
	buffer_gl0_inv
	s_load_b32 s19, s[4:5], 0x4
	v_pk_fma_f16 v23, v62, v56, v23 op_sel:[0,1,0]
	v_pk_fma_f16 v25, v63, v56, v25 op_sel:[0,1,0]
	s_delay_alu instid0(VALU_DEP_2) | instskip(NEXT) | instid1(VALU_DEP_2)
	v_pk_fma_f16 v23, v64, v57, v23 op_sel_hi:[1,0,1]
	v_pk_fma_f16 v25, v65, v57, v25 op_sel_hi:[1,0,1]
	s_delay_alu instid0(VALU_DEP_2) | instskip(NEXT) | instid1(VALU_DEP_2)
	v_pk_fma_f16 v23, v66, v57, v23 op_sel:[0,1,0]
	v_pk_fma_f16 v25, v67, v57, v25 op_sel:[0,1,0]
	s_delay_alu instid0(VALU_DEP_2) | instskip(NEXT) | instid1(VALU_DEP_2)
	v_pk_fma_f16 v23, v48, v58, v23 op_sel_hi:[1,0,1]
	v_pk_fma_f16 v25, v49, v58, v25 op_sel_hi:[1,0,1]
	s_waitcnt lgkmcnt(0)
	s_lshl_b32 s19, s19, 5
	s_delay_alu instid0(VALU_DEP_2) | instskip(NEXT) | instid1(VALU_DEP_2)
	v_pk_fma_f16 v23, v50, v58, v23 op_sel:[0,1,0]
	v_pk_fma_f16 v25, v51, v58, v25 op_sel:[0,1,0]
	s_add_i32 s3, s19, s3
	s_delay_alu instid0(SALU_CYCLE_1) | instskip(NEXT) | instid1(VALU_DEP_2)
	s_cmp_lt_i32 s3, s2
	v_pk_fma_f16 v23, v52, v59, v23 op_sel_hi:[1,0,1]
	s_delay_alu instid0(VALU_DEP_2) | instskip(NEXT) | instid1(VALU_DEP_2)
	v_pk_fma_f16 v25, v53, v59, v25 op_sel_hi:[1,0,1]
	v_pk_fma_f16 v23, v54, v59, v23 op_sel:[0,1,0]
	s_delay_alu instid0(VALU_DEP_2)
	v_pk_fma_f16 v25, v55, v59, v25 op_sel:[0,1,0]
	s_cbranch_scc0 .LBB85_15
; %bb.14:                               ;   in Loop: Header=BB85_9 Depth=1
	v_mov_b32_e32 v42, v19
	s_branch .LBB85_9
.LBB85_15:
	v_mov_b32_e32 v5, v22
.LBB85_16:
	v_cmp_lt_i32_e32 vcc_lo, v43, v24
	s_cmp_eq_u64 s[24:25], 0
	s_cselect_b32 s2, -1, 0
	s_cmp_lg_u32 s14, 0
	v_cndmask_b32_e32 v2, v5, v43, vcc_lo
	v_cmp_lt_i32_e32 vcc_lo, v44, v24
	s_cselect_b32 s3, -1, 0
	s_delay_alu instid0(SALU_CYCLE_1) | instskip(NEXT) | instid1(VALU_DEP_2)
	s_or_b32 s2, s3, s2
	v_dual_cndmask_b32 v3, v5, v44 :: v_dual_lshlrev_b32 v2, 2, v2
	v_cmp_lt_i32_e32 vcc_lo, v45, v24
	ds_bpermute_b32 v2, v2, v30
	v_dual_cndmask_b32 v4, v5, v45 :: v_dual_lshlrev_b32 v3, 2, v3
	v_cmp_lt_i32_e32 vcc_lo, v46, v24
	s_delay_alu instid0(VALU_DEP_2)
	v_lshlrev_b32_e32 v4, 2, v4
	s_waitcnt lgkmcnt(0)
	v_add_f32_e32 v2, v30, v2
	ds_bpermute_b32 v3, v3, v2
	s_waitcnt lgkmcnt(0)
	v_add_f32_e32 v2, v2, v3
	ds_bpermute_b32 v3, v4, v2
	v_cndmask_b32_e32 v4, v5, v46, vcc_lo
	v_cmp_lt_i32_e32 vcc_lo, v47, v24
	s_delay_alu instid0(VALU_DEP_2)
	v_lshlrev_b32_e32 v4, 2, v4
	s_waitcnt lgkmcnt(0)
	v_add_f32_e32 v2, v2, v3
	ds_bpermute_b32 v3, v4, v2
	v_cndmask_b32_e32 v4, v5, v47, vcc_lo
	s_and_b32 vcc_lo, exec_lo, s2
	s_waitcnt lgkmcnt(0)
	s_delay_alu instid0(VALU_DEP_1)
	v_dual_add_f32 v3, v2, v3 :: v_dual_lshlrev_b32 v4, 2, v4
	v_add_nc_u32_e32 v2, s15, v20
	ds_bpermute_b32 v4, v4, v3
	s_waitcnt lgkmcnt(0)
	v_add_f32_e32 v20, v3, v4
	s_cbranch_vccnz .LBB85_18
; %bb.17:
	v_ashrrev_i32_e32 v3, 31, v2
	s_delay_alu instid0(VALU_DEP_1) | instskip(NEXT) | instid1(VALU_DEP_1)
	v_lshlrev_b64 v[3:4], 2, v[2:3]
	v_add_co_u32 v3, vcc_lo, s24, v3
	s_delay_alu instid0(VALU_DEP_2) | instskip(SKIP_4) | instid1(VALU_DEP_1)
	v_add_co_ci_u32_e32 v4, vcc_lo, s25, v4, vcc_lo
	global_load_b32 v3, v[3:4], off
	v_max_f32_e32 v4, v19, v19
	s_waitcnt vmcnt(0)
	v_max_f32_e32 v5, v3, v3
	v_max_f32_e32 v4, v4, v5
	s_delay_alu instid0(VALU_DEP_1) | instskip(NEXT) | instid1(VALU_DEP_1)
	v_sub_f32_e32 v3, v3, v4
	v_mul_f32_e32 v7, 0x3fb8aa3b, v3
	s_delay_alu instid0(VALU_DEP_1) | instskip(SKIP_2) | instid1(VALU_DEP_3)
	v_fma_f32 v10, 0x3fb8aa3b, v3, -v7
	v_sub_f32_e32 v5, v19, v4
	v_rndne_f32_e32 v11, v7
	v_dual_mov_b32 v19, v4 :: v_dual_fmac_f32 v10, 0x32a5705f, v3
	s_delay_alu instid0(VALU_DEP_2) | instskip(SKIP_1) | instid1(VALU_DEP_2)
	v_dual_mul_f32 v6, 0x3fb8aa3b, v5 :: v_dual_sub_f32 v7, v7, v11
	v_cmp_ngt_f32_e32 vcc_lo, 0xc2ce8ed0, v5
	v_fma_f32 v8, 0x3fb8aa3b, v5, -v6
	v_rndne_f32_e32 v9, v6
	s_delay_alu instid0(VALU_DEP_2) | instskip(NEXT) | instid1(VALU_DEP_2)
	v_dual_add_f32 v7, v7, v10 :: v_dual_fmac_f32 v8, 0x32a5705f, v5
	v_sub_f32_e32 v6, v6, v9
	s_delay_alu instid0(VALU_DEP_2) | instskip(NEXT) | instid1(VALU_DEP_1)
	v_exp_f32_e32 v7, v7
	v_add_f32_e32 v6, v6, v8
	v_cvt_i32_f32_e32 v8, v9
	v_cvt_i32_f32_e32 v9, v11
	s_delay_alu instid0(VALU_DEP_3) | instskip(SKIP_3) | instid1(VALU_DEP_1)
	v_exp_f32_e32 v6, v6
	s_waitcnt_depctr 0xfff
	v_ldexp_f32 v7, v7, v9
	v_ldexp_f32 v6, v6, v8
	v_cndmask_b32_e32 v6, 0, v6, vcc_lo
	v_cmp_ngt_f32_e32 vcc_lo, 0xc2ce8ed0, v3
	s_delay_alu instid0(VALU_DEP_4) | instskip(SKIP_1) | instid1(VALU_DEP_4)
	v_cndmask_b32_e32 v7, 0, v7, vcc_lo
	v_cmp_nlt_f32_e32 vcc_lo, 0x42b17218, v5
	v_cndmask_b32_e32 v5, 0x7f800000, v6, vcc_lo
	v_cmp_nlt_f32_e32 vcc_lo, 0x42b17218, v3
	s_delay_alu instid0(VALU_DEP_2) | instskip(SKIP_1) | instid1(VALU_DEP_2)
	v_cvt_f16_f32_e32 v6, v5
	v_cndmask_b32_e32 v3, 0x7f800000, v7, vcc_lo
	v_pk_mul_f16 v23, v6, v23 op_sel_hi:[0,1]
	s_delay_alu instid0(VALU_DEP_2) | instskip(SKIP_1) | instid1(VALU_DEP_2)
	v_fmac_f32_e32 v3, v20, v5
	v_pk_mul_f16 v25, v6, v25 op_sel_hi:[0,1]
	v_mov_b32_e32 v20, v3
.LBB85_18:
	s_delay_alu instid0(VALU_DEP_1) | instskip(SKIP_2) | instid1(VALU_DEP_2)
	v_div_scale_f32 v6, null, v20, v20, 1.0
	v_div_scale_f32 v8, vcc_lo, 1.0, v20, 1.0
	s_load_b32 s0, s[0:1], 0xd4
	v_rcp_f32_e32 v7, v6
	s_waitcnt_depctr 0xfff
	v_fma_f32 v3, -v6, v7, 1.0
	s_delay_alu instid0(VALU_DEP_1) | instskip(SKIP_3) | instid1(VALU_DEP_2)
	v_fmac_f32_e32 v7, v3, v7
	v_mad_u64_u32 v[3:4], null, s12, s6, v[1:2]
	s_waitcnt lgkmcnt(0)
	s_cmp_lg_u32 s0, 1
	v_mul_f32_e32 v9, v8, v7
	s_cselect_b32 s1, -1, 0
	s_delay_alu instid0(VALU_DEP_2) | instskip(NEXT) | instid1(VALU_DEP_2)
	v_mad_u64_u32 v[4:5], null, v3, s7, v[2:3]
	v_fma_f32 v1, -v6, v9, v8
	v_lshrrev_b32_e32 v5, 16, v23
	s_delay_alu instid0(VALU_DEP_2) | instskip(NEXT) | instid1(VALU_DEP_4)
	v_fmac_f32_e32 v9, v1, v7
	v_mad_u64_u32 v[1:2], null, s0, v4, s[14:15]
	v_cvt_f32_f16_e32 v4, v23
	s_delay_alu instid0(VALU_DEP_4) | instskip(NEXT) | instid1(VALU_DEP_4)
	v_cvt_f32_f16_e32 v5, v5
	v_fma_f32 v3, -v6, v9, v8
	v_cvt_f32_f16_e32 v8, v25
	v_lshrrev_b32_e32 v6, 16, v25
	s_delay_alu instid0(VALU_DEP_3) | instskip(SKIP_1) | instid1(VALU_DEP_3)
	v_div_fmas_f32 v2, v3, v7, v9
	v_cmp_eq_u32_e32 vcc_lo, 0, v0
	v_cvt_f32_f16_e32 v0, v6
	s_delay_alu instid0(VALU_DEP_3) | instskip(SKIP_1) | instid1(VALU_DEP_2)
	v_div_fixup_f32 v7, v2, v20, 1.0
	v_lshl_add_u32 v2, v1, 7, v21
	v_cndmask_b32_e64 v9, v7, 1.0, s1
	v_mov_b32_e32 v3, 0
	s_delay_alu instid0(VALU_DEP_1) | instskip(NEXT) | instid1(VALU_DEP_3)
	v_lshlrev_b64 v[6:7], 2, v[2:3]
	v_mul_f32_e32 v2, v9, v4
	v_mul_f32_e32 v4, v9, v8
	;; [unrolled: 1-line block ×4, first 2 shown]
	v_add_co_u32 v6, s0, s28, v6
	s_delay_alu instid0(VALU_DEP_1)
	v_add_co_ci_u32_e64 v7, s0, s29, v7, s0
	s_and_b32 s0, vcc_lo, s1
	global_store_b128 v[6:7], v[2:5], off
	s_and_saveexec_b32 s1, s0
	s_cbranch_execz .LBB85_20
; %bb.19:
	v_ashrrev_i32_e32 v2, 31, v1
	s_delay_alu instid0(VALU_DEP_1) | instskip(NEXT) | instid1(VALU_DEP_1)
	v_lshlrev_b64 v[0:1], 3, v[1:2]
	v_add_co_u32 v0, vcc_lo, s30, v0
	s_delay_alu instid0(VALU_DEP_2)
	v_add_co_ci_u32_e32 v1, vcc_lo, s31, v1, vcc_lo
	global_store_b64 v[0:1], v[19:20], off
.LBB85_20:
	s_nop 0
	s_sendmsg sendmsg(MSG_DEALLOC_VGPRS)
	s_endpgm
	.section	.rodata,"a",@progbits
	.p2align	6, 0x0
	.amdhsa_kernel _ZL15flash_attn_tileILi128ELi128ELi1ELi2ELb1EEvPKcS1_S1_S1_S1_PKiPfP15HIP_vector_typeIfLj2EEffffjfiS5_IjLj3EEiiiiiiiiiiiliiliiiiil
		.amdhsa_group_segment_fixed_size 5248
		.amdhsa_private_segment_fixed_size 0
		.amdhsa_kernarg_size 464
		.amdhsa_user_sgpr_count 13
		.amdhsa_user_sgpr_dispatch_ptr 0
		.amdhsa_user_sgpr_queue_ptr 0
		.amdhsa_user_sgpr_kernarg_segment_ptr 1
		.amdhsa_user_sgpr_dispatch_id 0
		.amdhsa_user_sgpr_private_segment_size 0
		.amdhsa_wavefront_size32 1
		.amdhsa_uses_dynamic_stack 0
		.amdhsa_enable_private_segment 0
		.amdhsa_system_sgpr_workgroup_id_x 1
		.amdhsa_system_sgpr_workgroup_id_y 1
		.amdhsa_system_sgpr_workgroup_id_z 1
		.amdhsa_system_sgpr_workgroup_info 0
		.amdhsa_system_vgpr_workitem_id 1
		.amdhsa_next_free_vgpr 109
		.amdhsa_next_free_sgpr 41
		.amdhsa_reserve_vcc 1
		.amdhsa_float_round_mode_32 0
		.amdhsa_float_round_mode_16_64 0
		.amdhsa_float_denorm_mode_32 3
		.amdhsa_float_denorm_mode_16_64 3
		.amdhsa_dx10_clamp 1
		.amdhsa_ieee_mode 1
		.amdhsa_fp16_overflow 0
		.amdhsa_workgroup_processor_mode 1
		.amdhsa_memory_ordered 1
		.amdhsa_forward_progress 0
		.amdhsa_shared_vgpr_count 0
		.amdhsa_exception_fp_ieee_invalid_op 0
		.amdhsa_exception_fp_denorm_src 0
		.amdhsa_exception_fp_ieee_div_zero 0
		.amdhsa_exception_fp_ieee_overflow 0
		.amdhsa_exception_fp_ieee_underflow 0
		.amdhsa_exception_fp_ieee_inexact 0
		.amdhsa_exception_int_div_zero 0
	.end_amdhsa_kernel
	.section	.text._ZL15flash_attn_tileILi128ELi128ELi1ELi2ELb1EEvPKcS1_S1_S1_S1_PKiPfP15HIP_vector_typeIfLj2EEffffjfiS5_IjLj3EEiiiiiiiiiiiliiliiiiil,"axG",@progbits,_ZL15flash_attn_tileILi128ELi128ELi1ELi2ELb1EEvPKcS1_S1_S1_S1_PKiPfP15HIP_vector_typeIfLj2EEffffjfiS5_IjLj3EEiiiiiiiiiiiliiliiiiil,comdat
.Lfunc_end85:
	.size	_ZL15flash_attn_tileILi128ELi128ELi1ELi2ELb1EEvPKcS1_S1_S1_S1_PKiPfP15HIP_vector_typeIfLj2EEffffjfiS5_IjLj3EEiiiiiiiiiiiliiliiiiil, .Lfunc_end85-_ZL15flash_attn_tileILi128ELi128ELi1ELi2ELb1EEvPKcS1_S1_S1_S1_PKiPfP15HIP_vector_typeIfLj2EEffffjfiS5_IjLj3EEiiiiiiiiiiiliiliiiiil
                                        ; -- End function
	.section	.AMDGPU.csdata,"",@progbits
; Kernel info:
; codeLenInByte = 6532
; NumSgprs: 43
; NumVgprs: 109
; ScratchSize: 0
; MemoryBound: 0
; FloatMode: 240
; IeeeMode: 1
; LDSByteSize: 5248 bytes/workgroup (compile time only)
; SGPRBlocks: 5
; VGPRBlocks: 13
; NumSGPRsForWavesPerEU: 43
; NumVGPRsForWavesPerEU: 109
; Occupancy: 12
; WaveLimiterHint : 1
; COMPUTE_PGM_RSRC2:SCRATCH_EN: 0
; COMPUTE_PGM_RSRC2:USER_SGPR: 13
; COMPUTE_PGM_RSRC2:TRAP_HANDLER: 0
; COMPUTE_PGM_RSRC2:TGID_X_EN: 1
; COMPUTE_PGM_RSRC2:TGID_Y_EN: 1
; COMPUTE_PGM_RSRC2:TGID_Z_EN: 1
; COMPUTE_PGM_RSRC2:TIDIG_COMP_CNT: 1
	.section	.text._ZL15flash_attn_tileILi128ELi128ELi64ELi1ELb1EEvPKcS1_S1_S1_S1_PKiPfP15HIP_vector_typeIfLj2EEffffjfiS5_IjLj3EEiiiiiiiiiiiliiliiiiil,"axG",@progbits,_ZL15flash_attn_tileILi128ELi128ELi64ELi1ELb1EEvPKcS1_S1_S1_S1_PKiPfP15HIP_vector_typeIfLj2EEffffjfiS5_IjLj3EEiiiiiiiiiiiliiliiiiil,comdat
	.globl	_ZL15flash_attn_tileILi128ELi128ELi64ELi1ELb1EEvPKcS1_S1_S1_S1_PKiPfP15HIP_vector_typeIfLj2EEffffjfiS5_IjLj3EEiiiiiiiiiiiliiliiiiil ; -- Begin function _ZL15flash_attn_tileILi128ELi128ELi64ELi1ELb1EEvPKcS1_S1_S1_S1_PKiPfP15HIP_vector_typeIfLj2EEffffjfiS5_IjLj3EEiiiiiiiiiiiliiliiiiil
	.p2align	8
	.type	_ZL15flash_attn_tileILi128ELi128ELi64ELi1ELb1EEvPKcS1_S1_S1_S1_PKiPfP15HIP_vector_typeIfLj2EEffffjfiS5_IjLj3EEiiiiiiiiiiiliiliiiiil,@function
_ZL15flash_attn_tileILi128ELi128ELi64ELi1ELb1EEvPKcS1_S1_S1_S1_PKiPfP15HIP_vector_typeIfLj2EEffffjfiS5_IjLj3EEiiiiiiiiiiiliiliiiiil: ; @_ZL15flash_attn_tileILi128ELi128ELi64ELi1ELb1EEvPKcS1_S1_S1_S1_PKiPfP15HIP_vector_typeIfLj2EEffffjfiS5_IjLj3EEiiiiiiiiiiiliiliiiiil
; %bb.0:
	s_clause 0x3
	s_load_b128 s[36:39], s[2:3], 0x5c
	s_load_b64 s[42:43], s[2:3], 0x80
	s_load_b512 s[16:31], s[2:3], 0x0
	s_load_b64 s[44:45], s[2:3], 0xb8
	s_mov_b64 s[40:41], 0
	s_waitcnt lgkmcnt(0)
	v_cvt_f32_u32_e32 v1, s39
	s_sub_i32 s5, 0, s39
	s_delay_alu instid0(VALU_DEP_1) | instskip(SKIP_2) | instid1(VALU_DEP_1)
	v_rcp_iflag_f32_e32 v1, v1
	s_waitcnt_depctr 0xfff
	v_mul_f32_e32 v1, 0x4f7ffffe, v1
	v_cvt_u32_f32_e32 v1, v1
	s_delay_alu instid0(VALU_DEP_1) | instskip(NEXT) | instid1(VALU_DEP_1)
	v_readfirstlane_b32 s4, v1
	s_mul_i32 s5, s5, s4
	s_delay_alu instid0(SALU_CYCLE_1) | instskip(NEXT) | instid1(SALU_CYCLE_1)
	s_mul_hi_u32 s5, s4, s5
	s_add_i32 s4, s4, s5
	s_delay_alu instid0(SALU_CYCLE_1) | instskip(NEXT) | instid1(SALU_CYCLE_1)
	s_mul_hi_u32 s4, s15, s4
	s_mul_i32 s5, s4, s39
	s_add_i32 s6, s4, 1
	s_sub_i32 s5, s15, s5
	s_delay_alu instid0(SALU_CYCLE_1)
	s_sub_i32 s7, s5, s39
	s_cmp_ge_u32 s5, s39
	s_cselect_b32 s4, s6, s4
	s_cselect_b32 s5, s7, s5
	s_add_i32 s6, s4, 1
	s_cmp_ge_u32 s5, s39
	s_cselect_b32 s33, s6, s4
	s_abs_i32 s4, s43
	s_abs_i32 s8, s39
	v_cvt_f32_u32_e32 v1, s4
	s_sub_i32 s6, 0, s4
	s_mul_i32 s7, s33, s39
	s_delay_alu instid0(SALU_CYCLE_1) | instskip(NEXT) | instid1(VALU_DEP_1)
	s_sub_i32 s34, s15, s7
	v_rcp_iflag_f32_e32 v1, v1
	s_waitcnt_depctr 0xfff
	v_mul_f32_e32 v1, 0x4f7ffffe, v1
	s_delay_alu instid0(VALU_DEP_1) | instskip(NEXT) | instid1(VALU_DEP_1)
	v_cvt_u32_f32_e32 v1, v1
	v_readfirstlane_b32 s5, v1
	s_delay_alu instid0(VALU_DEP_1) | instskip(NEXT) | instid1(SALU_CYCLE_1)
	s_mul_i32 s6, s6, s5
	s_mul_hi_u32 s6, s5, s6
	s_delay_alu instid0(SALU_CYCLE_1) | instskip(SKIP_4) | instid1(SALU_CYCLE_1)
	s_add_i32 s5, s5, s6
	s_xor_b32 s6, s39, s43
	s_mul_hi_u32 s5, s8, s5
	s_ashr_i32 s6, s6, 31
	s_mul_i32 s7, s5, s4
	s_sub_i32 s7, s8, s7
	s_add_i32 s8, s5, 1
	s_sub_i32 s9, s7, s4
	s_cmp_ge_u32 s7, s4
	s_cselect_b32 s5, s8, s5
	s_cselect_b32 s7, s9, s7
	s_add_i32 s8, s5, 1
	s_cmp_ge_u32 s7, s4
	s_cselect_b32 s4, s8, s5
	s_abs_i32 s43, s34
	s_xor_b32 s4, s4, s6
	s_delay_alu instid0(SALU_CYCLE_1) | instskip(NEXT) | instid1(SALU_CYCLE_1)
	s_sub_i32 s15, s4, s6
	s_abs_i32 s12, s15
	s_delay_alu instid0(SALU_CYCLE_1) | instskip(SKIP_1) | instid1(VALU_DEP_1)
	v_cvt_f32_u32_e32 v1, s12
	s_sub_i32 s5, 0, s12
	v_rcp_iflag_f32_e32 v1, v1
	s_waitcnt_depctr 0xfff
	v_mul_f32_e32 v1, 0x4f7ffffe, v1
	s_delay_alu instid0(VALU_DEP_1) | instskip(NEXT) | instid1(VALU_DEP_1)
	v_cvt_u32_f32_e32 v1, v1
	v_readfirstlane_b32 s4, v1
	s_delay_alu instid0(VALU_DEP_1) | instskip(NEXT) | instid1(SALU_CYCLE_1)
	s_mul_i32 s5, s5, s4
	s_mul_hi_u32 s5, s4, s5
	s_delay_alu instid0(SALU_CYCLE_1)
	s_add_i32 s4, s4, s5
	s_cmp_eq_u64 s[22:23], 0
	s_cbranch_scc1 .LBB86_2
; %bb.1:
	s_abs_i32 s5, s44
	s_abs_i32 s8, s33
	v_cvt_f32_u32_e32 v1, s5
	s_sub_i32 s7, 0, s5
	s_delay_alu instid0(VALU_DEP_1) | instskip(SKIP_2) | instid1(VALU_DEP_1)
	v_rcp_iflag_f32_e32 v1, v1
	s_waitcnt_depctr 0xfff
	v_mul_f32_e32 v1, 0x4f7ffffe, v1
	v_cvt_u32_f32_e32 v1, v1
	s_delay_alu instid0(VALU_DEP_1) | instskip(NEXT) | instid1(VALU_DEP_1)
	v_readfirstlane_b32 s6, v1
	s_mul_i32 s7, s7, s6
	s_delay_alu instid0(SALU_CYCLE_1) | instskip(NEXT) | instid1(SALU_CYCLE_1)
	s_mul_hi_u32 s7, s6, s7
	s_add_i32 s9, s6, s7
	s_load_b64 s[6:7], s[2:3], 0xc8
	s_mul_hi_u32 s9, s8, s9
	s_delay_alu instid0(SALU_CYCLE_1) | instskip(NEXT) | instid1(SALU_CYCLE_1)
	s_mul_i32 s9, s9, s5
	s_sub_i32 s8, s8, s9
	s_ashr_i32 s9, s33, 31
	s_sub_i32 s10, s8, s5
	s_cmp_ge_u32 s8, s5
	s_cselect_b32 s8, s10, s8
	s_delay_alu instid0(SALU_CYCLE_1) | instskip(SKIP_2) | instid1(SALU_CYCLE_1)
	s_sub_i32 s10, s8, s5
	s_cmp_ge_u32 s8, s5
	s_cselect_b32 s5, s10, s8
	s_xor_b32 s5, s5, s9
	s_delay_alu instid0(SALU_CYCLE_1)
	s_sub_i32 s5, s5, s9
	s_waitcnt lgkmcnt(0)
	s_mul_i32 s7, s5, s7
	s_mul_hi_u32 s8, s5, s6
	s_ashr_i32 s9, s5, 31
	s_add_i32 s7, s8, s7
	s_mul_i32 s9, s9, s6
	s_mul_i32 s5, s5, s6
	s_add_i32 s7, s7, s9
	s_add_u32 s40, s22, s5
	s_addc_u32 s41, s23, s7
.LBB86_2:
	s_clause 0x1
	s_load_b128 s[8:11], s[2:3], 0x40
	s_load_b64 s[22:23], s[2:3], 0x50
	v_mov_b32_e32 v24, 1.0
	s_mul_hi_u32 s44, s43, s4
	s_waitcnt lgkmcnt(0)
	v_cmp_le_f32_e64 s5, s9, 0
	s_delay_alu instid0(VALU_DEP_1)
	s_and_b32 vcc_lo, exec_lo, s5
	s_cbranch_vccnz .LBB86_4
; %bb.3:
	s_sub_i32 s4, s34, s22
	s_add_i32 s5, s34, 1
	s_lshl_b32 s4, s4, 1
	v_mov_b32_e32 v1, s10
	s_or_b32 s4, s4, 1
	s_cmp_lt_u32 s34, s22
	s_cselect_b32 vcc_lo, -1, 0
	s_delay_alu instid0(VALU_DEP_1)
	v_cndmask_b32_e32 v3, s11, v1, vcc_lo
	s_and_b32 s6, vcc_lo, exec_lo
	s_cselect_b32 s4, s5, s4
	s_mov_b32 s5, 0x3e76c4e1
	v_cvt_f32_i32_e32 v1, s4
	v_cmp_neq_f32_e32 vcc_lo, 1.0, v3
	s_delay_alu instid0(VALU_DEP_2) | instskip(NEXT) | instid1(VALU_DEP_1)
	v_cndmask_b32_e32 v4, 1.0, v1, vcc_lo
	v_cmp_eq_f32_e32 vcc_lo, 0, v4
	v_cndmask_b32_e64 v5, |v3|, 1.0, vcc_lo
	s_delay_alu instid0(VALU_DEP_1) | instskip(NEXT) | instid1(VALU_DEP_1)
	v_frexp_mant_f32_e32 v1, v5
	v_cmp_gt_f32_e64 s4, 0x3f2aaaab, v1
	s_delay_alu instid0(VALU_DEP_1) | instskip(NEXT) | instid1(VALU_DEP_1)
	v_cndmask_b32_e64 v2, 1.0, 2.0, s4
	v_mul_f32_e32 v1, v1, v2
	s_delay_alu instid0(VALU_DEP_1) | instskip(SKIP_1) | instid1(VALU_DEP_2)
	v_add_f32_e32 v2, 1.0, v1
	v_add_f32_e32 v7, -1.0, v1
	v_rcp_f32_e32 v6, v2
	s_waitcnt_depctr 0xfff
	v_mul_f32_e32 v8, v7, v6
	s_delay_alu instid0(VALU_DEP_1) | instskip(NEXT) | instid1(VALU_DEP_1)
	v_dual_add_f32 v9, -1.0, v2 :: v_dual_mul_f32 v10, v2, v8
	v_sub_f32_e32 v1, v1, v9
	v_cndmask_b32_e64 v3, v3, 1.0, vcc_lo
	s_delay_alu instid0(VALU_DEP_3) | instskip(NEXT) | instid1(VALU_DEP_2)
	v_fma_f32 v2, v8, v2, -v10
	v_cmp_eq_f32_e64 s6, 0, v3
	s_delay_alu instid0(VALU_DEP_2) | instskip(NEXT) | instid1(VALU_DEP_1)
	v_fmac_f32_e32 v2, v8, v1
	v_add_f32_e32 v1, v10, v2
	s_delay_alu instid0(VALU_DEP_1) | instskip(NEXT) | instid1(VALU_DEP_1)
	v_dual_sub_f32 v10, v1, v10 :: v_dual_sub_f32 v9, v7, v1
	v_dual_sub_f32 v2, v10, v2 :: v_dual_sub_f32 v7, v7, v9
	s_delay_alu instid0(VALU_DEP_1) | instskip(NEXT) | instid1(VALU_DEP_1)
	v_sub_f32_e32 v1, v7, v1
	v_add_f32_e32 v1, v2, v1
	s_delay_alu instid0(VALU_DEP_1) | instskip(NEXT) | instid1(VALU_DEP_1)
	v_add_f32_e32 v1, v9, v1
	v_mul_f32_e32 v1, v6, v1
	s_delay_alu instid0(VALU_DEP_1) | instskip(NEXT) | instid1(VALU_DEP_1)
	v_add_f32_e32 v6, v8, v1
	v_sub_f32_e32 v2, v6, v8
	v_mul_f32_e32 v7, v6, v6
	s_delay_alu instid0(VALU_DEP_2) | instskip(NEXT) | instid1(VALU_DEP_2)
	v_sub_f32_e32 v8, v1, v2
	v_fma_f32 v9, v6, v6, -v7
	s_delay_alu instid0(VALU_DEP_2) | instskip(NEXT) | instid1(VALU_DEP_1)
	v_add_f32_e32 v1, v8, v8
	v_fmac_f32_e32 v9, v6, v1
	v_cvt_f64_f32_e32 v[1:2], v5
	s_delay_alu instid0(VALU_DEP_2) | instskip(NEXT) | instid1(VALU_DEP_1)
	v_add_f32_e32 v10, v7, v9
	v_fmaak_f32 v11, s5, v10, 0x3e91f4c4
	v_sub_f32_e32 v7, v10, v7
	v_mul_f32_e32 v14, v6, v10
	s_delay_alu instid0(VALU_DEP_3) | instskip(NEXT) | instid1(VALU_DEP_3)
	v_fmaak_f32 v11, v10, v11, 0x3ecccdef
	v_sub_f32_e32 v7, v9, v7
	s_delay_alu instid0(VALU_DEP_2) | instskip(NEXT) | instid1(VALU_DEP_1)
	v_mul_f32_e32 v12, v10, v11
	v_fma_f32 v9, v10, v11, -v12
	s_delay_alu instid0(VALU_DEP_1) | instskip(NEXT) | instid1(VALU_DEP_1)
	v_fmac_f32_e32 v9, v7, v11
	v_add_f32_e32 v11, v12, v9
	v_frexp_exp_i32_f64_e32 v1, v[1:2]
	s_delay_alu instid0(VALU_DEP_2) | instskip(NEXT) | instid1(VALU_DEP_1)
	v_sub_f32_e32 v12, v11, v12
	v_sub_f32_e32 v2, v9, v12
	v_fma_f32 v12, v10, v6, -v14
	s_delay_alu instid0(VALU_DEP_2) | instskip(NEXT) | instid1(VALU_DEP_2)
	v_add_f32_e32 v2, 0x31739010, v2
	v_dual_add_f32 v13, 0x3f2aaaaa, v11 :: v_dual_fmac_f32 v12, v10, v8
	v_ldexp_f32 v8, v8, 1
	s_delay_alu instid0(VALU_DEP_2) | instskip(NEXT) | instid1(VALU_DEP_1)
	v_dual_add_f32 v9, 0xbf2aaaaa, v13 :: v_dual_fmac_f32 v12, v7, v6
	v_sub_f32_e32 v9, v11, v9
	s_delay_alu instid0(VALU_DEP_1) | instskip(NEXT) | instid1(VALU_DEP_3)
	v_add_f32_e32 v2, v2, v9
	v_add_f32_e32 v9, v14, v12
	s_delay_alu instid0(VALU_DEP_2) | instskip(NEXT) | instid1(VALU_DEP_1)
	v_add_f32_e32 v7, v13, v2
	v_sub_f32_e32 v10, v13, v7
	s_delay_alu instid0(VALU_DEP_3) | instskip(SKIP_2) | instid1(VALU_DEP_4)
	v_mul_f32_e32 v11, v9, v7
	v_sub_f32_e32 v13, v9, v14
	v_subrev_co_ci_u32_e64 v1, s4, 0, v1, s4
	v_add_f32_e32 v2, v2, v10
	s_delay_alu instid0(VALU_DEP_4) | instskip(NEXT) | instid1(VALU_DEP_4)
	v_fma_f32 v10, v9, v7, -v11
	v_sub_f32_e32 v12, v12, v13
	s_delay_alu instid0(VALU_DEP_4) | instskip(NEXT) | instid1(VALU_DEP_3)
	v_cvt_f32_i32_e32 v1, v1
	v_fmac_f32_e32 v10, v9, v2
	v_ldexp_f32 v2, v6, 1
	s_delay_alu instid0(VALU_DEP_2) | instskip(NEXT) | instid1(VALU_DEP_1)
	v_fmac_f32_e32 v10, v12, v7
	v_add_f32_e32 v6, v11, v10
	s_delay_alu instid0(VALU_DEP_1) | instskip(NEXT) | instid1(VALU_DEP_1)
	v_add_f32_e32 v7, v2, v6
	v_dual_sub_f32 v2, v7, v2 :: v_dual_sub_f32 v9, v6, v11
	s_delay_alu instid0(VALU_DEP_1) | instskip(NEXT) | instid1(VALU_DEP_2)
	v_sub_f32_e32 v2, v6, v2
	v_sub_f32_e32 v9, v10, v9
	s_delay_alu instid0(VALU_DEP_1) | instskip(NEXT) | instid1(VALU_DEP_1)
	v_add_f32_e32 v6, v8, v9
	v_dual_mul_f32 v11, 0x3f317218, v1 :: v_dual_add_f32 v2, v6, v2
	s_delay_alu instid0(VALU_DEP_1) | instskip(NEXT) | instid1(VALU_DEP_2)
	v_fma_f32 v10, 0x3f317218, v1, -v11
	v_add_f32_e32 v8, v7, v2
	s_delay_alu instid0(VALU_DEP_1) | instskip(NEXT) | instid1(VALU_DEP_1)
	v_sub_f32_e32 v7, v8, v7
	v_dual_fmamk_f32 v1, v1, 0xb102e308, v10 :: v_dual_sub_f32 v2, v2, v7
	s_delay_alu instid0(VALU_DEP_1) | instskip(NEXT) | instid1(VALU_DEP_1)
	v_add_f32_e32 v6, v11, v1
	v_add_f32_e32 v9, v6, v8
	s_delay_alu instid0(VALU_DEP_1) | instskip(NEXT) | instid1(VALU_DEP_1)
	v_dual_sub_f32 v11, v6, v11 :: v_dual_sub_f32 v10, v9, v6
	v_sub_f32_e32 v12, v9, v10
	s_delay_alu instid0(VALU_DEP_2) | instskip(NEXT) | instid1(VALU_DEP_2)
	v_sub_f32_e32 v1, v1, v11
	v_dual_sub_f32 v7, v8, v10 :: v_dual_sub_f32 v6, v6, v12
	s_delay_alu instid0(VALU_DEP_2) | instskip(NEXT) | instid1(VALU_DEP_2)
	v_add_f32_e32 v8, v1, v2
	v_add_f32_e32 v6, v7, v6
	s_delay_alu instid0(VALU_DEP_1) | instskip(NEXT) | instid1(VALU_DEP_1)
	v_add_f32_e32 v6, v8, v6
	v_dual_sub_f32 v7, v8, v1 :: v_dual_add_f32 v10, v9, v6
	s_delay_alu instid0(VALU_DEP_1) | instskip(SKIP_1) | instid1(VALU_DEP_3)
	v_sub_f32_e32 v8, v8, v7
	v_sub_f32_e32 v2, v2, v7
	v_sub_f32_e32 v7, v10, v9
	s_delay_alu instid0(VALU_DEP_3) | instskip(NEXT) | instid1(VALU_DEP_1)
	v_sub_f32_e32 v1, v1, v8
	v_add_f32_e32 v1, v2, v1
	s_delay_alu instid0(VALU_DEP_3) | instskip(NEXT) | instid1(VALU_DEP_1)
	v_sub_f32_e32 v2, v6, v7
	v_add_f32_e32 v1, v1, v2
	s_delay_alu instid0(VALU_DEP_1) | instskip(NEXT) | instid1(VALU_DEP_1)
	v_add_f32_e32 v2, v10, v1
	v_mul_f32_e32 v7, v4, v2
	v_sub_f32_e32 v6, v2, v10
	s_delay_alu instid0(VALU_DEP_2) | instskip(NEXT) | instid1(VALU_DEP_2)
	v_fma_f32 v2, v4, v2, -v7
	v_sub_f32_e32 v1, v1, v6
	v_cmp_class_f32_e64 s4, v7, 0x204
	s_delay_alu instid0(VALU_DEP_2) | instskip(NEXT) | instid1(VALU_DEP_1)
	v_fmac_f32_e32 v2, v4, v1
	v_add_f32_e32 v1, v7, v2
	s_delay_alu instid0(VALU_DEP_1) | instskip(NEXT) | instid1(VALU_DEP_1)
	v_cndmask_b32_e64 v6, v1, v7, s4
	v_cmp_eq_f32_e64 s4, 0x42b17218, v6
	s_delay_alu instid0(VALU_DEP_1) | instskip(SKIP_1) | instid1(VALU_DEP_2)
	v_cndmask_b32_e64 v8, 0, 0x37000000, s4
	v_cmp_neq_f32_e64 s4, 0x7f800000, |v6|
	v_sub_f32_e32 v9, v6, v8
	v_trunc_f32_e32 v6, v4
	s_delay_alu instid0(VALU_DEP_2) | instskip(NEXT) | instid1(VALU_DEP_1)
	v_mul_f32_e32 v10, 0x3fb8aa3b, v9
	v_fma_f32 v11, 0x3fb8aa3b, v9, -v10
	v_rndne_f32_e32 v12, v10
	s_delay_alu instid0(VALU_DEP_1) | instskip(NEXT) | instid1(VALU_DEP_1)
	v_dual_fmamk_f32 v11, v9, 0x32a5705f, v11 :: v_dual_sub_f32 v10, v10, v12
	v_add_f32_e32 v10, v10, v11
	v_sub_f32_e32 v1, v1, v7
	v_cvt_i32_f32_e32 v7, v12
	s_delay_alu instid0(VALU_DEP_3) | instskip(NEXT) | instid1(VALU_DEP_2)
	v_exp_f32_e32 v10, v10
	v_sub_f32_e32 v1, v2, v1
	s_delay_alu instid0(VALU_DEP_1)
	v_cndmask_b32_e64 v1, 0, v1, s4
	v_cmp_ngt_f32_e64 s4, 0xc2ce8ed0, v9
	s_waitcnt_depctr 0xfff
	v_ldexp_f32 v2, v10, v7
	v_mul_f32_e32 v7, 0.5, v4
	v_add_f32_e32 v1, v8, v1
	s_delay_alu instid0(VALU_DEP_3) | instskip(NEXT) | instid1(VALU_DEP_3)
	v_cndmask_b32_e64 v2, 0, v2, s4
	v_trunc_f32_e32 v10, v7
	v_cmp_nlt_f32_e64 s4, 0x42b17218, v9
	s_delay_alu instid0(VALU_DEP_2) | instskip(NEXT) | instid1(VALU_DEP_2)
	v_cmp_neq_f32_e64 s5, v10, v7
	v_cndmask_b32_e64 v2, 0x7f800000, v2, s4
	v_cmp_eq_f32_e64 s4, v6, v4
	s_delay_alu instid0(VALU_DEP_2) | instskip(NEXT) | instid1(VALU_DEP_2)
	v_fma_f32 v1, v2, v1, v2
	s_and_b32 vcc_lo, s4, s5
	v_cmp_class_f32_e64 s5, v2, 0x204
	v_cndmask_b32_e32 v6, 1.0, v3, vcc_lo
	s_delay_alu instid0(VALU_DEP_2) | instskip(SKIP_1) | instid1(VALU_DEP_2)
	v_cndmask_b32_e64 v1, v1, v2, s5
	v_cmp_gt_f32_e64 s5, 0, v4
	v_bfi_b32 v1, 0x7fffffff, v1, v6
	s_delay_alu instid0(VALU_DEP_2)
	s_xor_b32 s5, s5, s6
	v_cndmask_b32_e32 v6, 0, v3, vcc_lo
	v_cndmask_b32_e64 v2, 0x7f800000, 0, s5
	v_cmp_eq_f32_e32 vcc_lo, 0x7f800000, v5
	v_cndmask_b32_e64 v4, 0x7fc00000, v1, s4
	v_cmp_gt_f32_e64 s4, 0, v3
	s_delay_alu instid0(VALU_DEP_4) | instskip(SKIP_1) | instid1(VALU_DEP_2)
	v_bfi_b32 v2, 0x7fffffff, v2, v6
	s_or_b32 vcc_lo, vcc_lo, s6
	v_cndmask_b32_e64 v1, v1, v4, s4
	s_delay_alu instid0(VALU_DEP_1) | instskip(SKIP_1) | instid1(VALU_DEP_2)
	v_cndmask_b32_e32 v1, v1, v2, vcc_lo
	v_cmp_o_f32_e32 vcc_lo, v3, v3
	v_cndmask_b32_e32 v24, 0x7fc00000, v1, vcc_lo
.LBB86_4:
	v_bfe_u32 v21, v0, 10, 10
	s_lshl_b32 s22, s13, 6
	s_load_b128 s[4:7], s[2:3], 0x70
	s_ashr_i32 s35, s34, 31
	s_ashr_i32 s46, s15, 31
	v_lshlrev_b32_e32 v25, 3, v21
	s_delay_alu instid0(VALU_DEP_1) | instskip(SKIP_2) | instid1(VALU_DEP_3)
	v_or_b32_e32 v37, 2, v25
	v_or_b32_e32 v39, 1, v25
	;; [unrolled: 1-line block ×3, first 2 shown]
	v_add_nc_u32_e32 v40, s22, v37
	s_delay_alu instid0(VALU_DEP_3) | instskip(NEXT) | instid1(VALU_DEP_3)
	v_add_nc_u32_e32 v42, s22, v39
	v_add_nc_u32_e32 v38, s22, v35
	s_delay_alu instid0(VALU_DEP_3) | instskip(NEXT) | instid1(VALU_DEP_3)
	v_mul_hi_u32 v3, v40, s36
	v_mul_hi_u32 v2, v42, s36
	s_waitcnt lgkmcnt(0)
	s_mul_i32 s6, s33, s6
	s_mul_i32 s5, s34, s5
	s_ashr_i32 s7, s6, 31
	s_add_u32 s6, s16, s6
	s_addc_u32 s7, s17, s7
	s_ashr_i32 s9, s5, 31
	v_add_nc_u32_e32 v3, v40, v3
	s_add_u32 s5, s6, s5
	s_addc_u32 s6, s7, s9
	s_ashr_i32 s7, s4, 31
	v_add_nc_u32_e32 v2, v42, v2
	v_lshrrev_b32_e32 v3, s37, v3
	v_alignbit_b32 v34, s7, s4, 2
	v_mul_hi_u32 v5, v38, s36
	s_lshr_b32 s4, s7, 2
	v_lshrrev_b32_e32 v2, s37, v2
	v_mul_lo_u32 v6, v3, s38
	s_cmp_eq_u64 s[26:27], 0
	s_delay_alu instid0(VALU_DEP_2) | instskip(NEXT) | instid1(VALU_DEP_4)
	v_mul_lo_u32 v4, v2, s38
	v_add_nc_u32_e32 v5, v38, v5
	s_delay_alu instid0(VALU_DEP_3) | instskip(NEXT) | instid1(VALU_DEP_2)
	v_sub_nc_u32_e32 v11, v40, v6
	v_lshrrev_b32_e32 v7, s37, v5
	s_delay_alu instid0(VALU_DEP_4) | instskip(NEXT) | instid1(VALU_DEP_3)
	v_sub_nc_u32_e32 v8, v42, v4
	v_mad_u64_u32 v[9:10], null, v34, v11, 0
	v_add_nc_u32_e32 v26, s22, v25
	s_delay_alu instid0(VALU_DEP_4) | instskip(NEXT) | instid1(VALU_DEP_4)
	v_mul_lo_u32 v14, v7, s38
	v_mad_u64_u32 v[3:4], null, v34, v8, 0
	s_delay_alu instid0(VALU_DEP_3) | instskip(NEXT) | instid1(VALU_DEP_3)
	v_mul_hi_u32 v1, v26, s36
	v_sub_nc_u32_e32 v16, v38, v14
	s_delay_alu instid0(VALU_DEP_2) | instskip(NEXT) | instid1(VALU_DEP_1)
	v_add_nc_u32_e32 v1, v26, v1
	v_lshrrev_b32_e32 v1, s37, v1
	s_delay_alu instid0(VALU_DEP_1) | instskip(NEXT) | instid1(VALU_DEP_1)
	v_mul_lo_u32 v1, v1, s38
	v_sub_nc_u32_e32 v69, v26, v1
	s_delay_alu instid0(VALU_DEP_1) | instskip(NEXT) | instid1(VALU_DEP_1)
	v_mad_u64_u32 v[1:2], null, v34, v69, 0
	v_mad_u64_u32 v[5:6], null, s4, v69, v[2:3]
	v_mov_b32_e32 v2, v4
	v_or_b32_e32 v33, 4, v25
	v_and_b32_e32 v41, 0x3ff, v0
	v_or_b32_e32 v30, 5, v25
	v_or_b32_e32 v29, 6, v25
	v_mad_u64_u32 v[6:7], null, s4, v8, v[2:3]
	v_mov_b32_e32 v2, v5
	v_add_nc_u32_e32 v36, s22, v33
	v_lshlrev_b32_e32 v13, 4, v41
	v_dual_mov_b32 v5, v10 :: v_dual_add_nc_u32 v32, s22, v30
	s_delay_alu instid0(VALU_DEP_4) | instskip(SKIP_3) | instid1(VALU_DEP_1)
	v_lshlrev_b64 v[1:2], 2, v[1:2]
	v_mov_b32_e32 v4, v6
	v_mul_hi_u32 v12, v36, s36
	v_add_co_u32 v52, s5, s5, v13
	v_add_co_ci_u32_e64 v53, null, s6, 0, s5
	s_delay_alu instid0(VALU_DEP_4) | instskip(SKIP_4) | instid1(VALU_DEP_3)
	v_lshlrev_b64 v[3:4], 2, v[3:4]
	v_mad_u64_u32 v[6:7], null, s4, v11, v[5:6]
	v_add_nc_u32_e32 v8, v36, v12
	v_add_co_u32 v1, vcc_lo, v52, v1
	v_mad_u64_u32 v[11:12], null, v34, v16, 0
	v_lshrrev_b32_e32 v5, s37, v8
	v_add_co_ci_u32_e32 v2, vcc_lo, v53, v2, vcc_lo
	v_add_co_u32 v7, vcc_lo, v52, v3
	v_mul_hi_u32 v14, v32, s36
	v_add_co_ci_u32_e32 v8, vcc_lo, v53, v4, vcc_lo
	v_mul_lo_u32 v4, v5, s38
	v_or_b32_e32 v27, 7, v25
	v_dual_mov_b32 v3, v12 :: v_dual_mov_b32 v10, v6
	v_lshlrev_b32_e32 v59, 6, v33
	v_add_nc_u32_e32 v6, v32, v14
	s_delay_alu instid0(VALU_DEP_4)
	v_add_nc_u32_e32 v28, s22, v27
	v_lshlrev_b32_e32 v60, 6, v30
	v_mad_u64_u32 v[14:15], null, s4, v16, v[3:4]
	v_add_nc_u32_e32 v31, s22, v29
	v_sub_nc_u32_e32 v18, v36, v4
	v_lshrrev_b32_e32 v3, s37, v6
	v_mul_hi_u32 v17, v28, s36
	v_lshlrev_b64 v[9:10], 2, v[9:10]
	v_mul_hi_u32 v5, v31, s36
	v_mad_u64_u32 v[15:16], null, v34, v18, 0
	v_mul_lo_u32 v19, v3, s38
	v_lshlrev_b32_e32 v61, 6, v29
	v_add_co_u32 v9, vcc_lo, v52, v9
	v_add_nc_u32_e32 v17, v28, v17
	v_add_nc_u32_e32 v12, v31, v5
	v_add_co_ci_u32_e32 v10, vcc_lo, v53, v10, vcc_lo
	v_sub_nc_u32_e32 v45, v32, v19
	s_delay_alu instid0(VALU_DEP_4) | instskip(NEXT) | instid1(VALU_DEP_4)
	v_lshrrev_b32_e32 v19, s37, v17
	v_lshrrev_b32_e32 v20, s37, v12
	v_mov_b32_e32 v12, v14
	v_mov_b32_e32 v14, v16
	s_clause 0x1
	global_load_b128 v[1:4], v[1:2], off
	global_load_b128 v[5:8], v[7:8], off
	v_lshlrev_b32_e32 v62, 6, v27
	v_mul_lo_u32 v20, v20, s38
	v_lshlrev_b64 v[11:12], 2, v[11:12]
	v_mad_u64_u32 v[16:17], null, s4, v18, v[14:15]
	v_mul_lo_u32 v14, v19, s38
	v_mad_u64_u32 v[17:18], null, v34, v45, 0
	s_mov_b32 s5, 0
	v_sub_nc_u32_e32 v48, v31, v20
	s_delay_alu instid0(VALU_DEP_3) | instskip(NEXT) | instid1(VALU_DEP_3)
	v_sub_nc_u32_e32 v49, v28, v14
	v_mov_b32_e32 v14, v18
	s_delay_alu instid0(VALU_DEP_3) | instskip(NEXT) | instid1(VALU_DEP_3)
	v_mad_u64_u32 v[19:20], null, v34, v48, 0
	v_mad_u64_u32 v[22:23], null, v34, v49, 0
	s_delay_alu instid0(VALU_DEP_3) | instskip(SKIP_1) | instid1(VALU_DEP_4)
	v_mad_u64_u32 v[43:44], null, s4, v45, v[14:15]
	v_add_co_u32 v44, vcc_lo, v52, v11
	v_mov_b32_e32 v14, v20
	v_add_co_ci_u32_e32 v45, vcc_lo, v53, v12, vcc_lo
	v_lshlrev_b64 v[11:12], 2, v[15:16]
	v_mov_b32_e32 v15, v23
	v_mov_b32_e32 v18, v43
	s_delay_alu instid0(VALU_DEP_2) | instskip(SKIP_1) | instid1(VALU_DEP_3)
	v_mad_u64_u32 v[46:47], null, s4, v48, v[14:15]
	v_mad_u64_u32 v[47:48], null, s4, v49, v[15:16]
	v_lshlrev_b64 v[50:51], 2, v[17:18]
	v_add_co_u32 v48, vcc_lo, v52, v11
	v_add_co_ci_u32_e32 v49, vcc_lo, v53, v12, vcc_lo
	s_delay_alu instid0(VALU_DEP_4) | instskip(NEXT) | instid1(VALU_DEP_4)
	v_dual_mov_b32 v20, v46 :: v_dual_mov_b32 v23, v47
	v_add_co_u32 v47, vcc_lo, v52, v50
	s_clause 0x2
	global_load_b128 v[9:12], v[9:10], off
	global_load_b128 v[14:17], v[44:45], off
	;; [unrolled: 1-line block ×3, first 2 shown]
	v_lshlrev_b64 v[18:19], 2, v[19:20]
	v_lshlrev_b64 v[22:23], 2, v[22:23]
	v_add_co_ci_u32_e32 v48, vcc_lo, v53, v51, vcc_lo
	v_lshlrev_b32_e32 v20, 3, v41
	s_delay_alu instid0(VALU_DEP_4)
	v_add_co_u32 v18, vcc_lo, v52, v18
	v_add_co_ci_u32_e32 v19, vcc_lo, v53, v19, vcc_lo
	v_add_co_u32 v22, vcc_lo, v52, v22
	v_add_co_ci_u32_e32 v23, vcc_lo, v53, v23, vcc_lo
	s_clause 0x2
	global_load_b128 v[47:50], v[47:48], off
	global_load_b128 v[51:54], v[18:19], off
	;; [unrolled: 1-line block ×3, first 2 shown]
	v_lshlrev_b32_e32 v23, 6, v35
	v_lshlrev_b32_e32 v22, 1, v41
	;; [unrolled: 1-line block ×4, first 2 shown]
	v_lshl_or_b32 v34, v21, 11, v20
	s_delay_alu instid0(VALU_DEP_4) | instskip(NEXT) | instid1(VALU_DEP_4)
	v_add_lshl_u32 v70, v23, v22, 2
	v_add_lshl_u32 v67, v18, v22, 2
	s_delay_alu instid0(VALU_DEP_4)
	v_add_lshl_u32 v68, v19, v22, 2
	v_add_lshl_u32 v71, v59, v22, 2
	;; [unrolled: 1-line block ×5, first 2 shown]
	s_waitcnt vmcnt(7)
	v_fma_mixlo_f16 v18, v1, s8, 0
	v_fma_mixlo_f16 v19, v3, s8, 0
	s_waitcnt vmcnt(6)
	v_fma_mixlo_f16 v1, v5, s8, 0
	s_delay_alu instid0(VALU_DEP_3) | instskip(SKIP_2) | instid1(VALU_DEP_4)
	v_fma_mixhi_f16 v18, v2, s8, 0
	v_fma_mixlo_f16 v2, v7, s8, 0
	v_fma_mixhi_f16 v19, v4, s8, 0
	v_fma_mixhi_f16 v1, v6, s8, 0
	s_delay_alu instid0(VALU_DEP_3)
	v_fma_mixhi_f16 v2, v8, s8, 0
	ds_store_b64 v34, v[18:19]
	s_waitcnt vmcnt(5)
	v_fma_mixlo_f16 v3, v9, s8, 0
	v_fma_mixlo_f16 v4, v11, s8, 0
	s_waitcnt vmcnt(4)
	v_fma_mixlo_f16 v22, v14, s8, 0
	v_fma_mixlo_f16 v23, v16, s8, 0
	;; [unrolled: 3-line block ×3, first 2 shown]
	v_fma_mixhi_f16 v4, v12, s8, 0
	v_fma_mixhi_f16 v3, v10, s8, 0
	;; [unrolled: 1-line block ×6, first 2 shown]
	s_waitcnt vmcnt(2)
	v_fma_mixlo_f16 v61, v47, s8, 0
	v_fma_mixlo_f16 v62, v49, s8, 0
	s_waitcnt vmcnt(1)
	v_fma_mixlo_f16 v63, v51, s8, 0
	v_fma_mixlo_f16 v64, v53, s8, 0
	;; [unrolled: 3-line block ×3, first 2 shown]
	v_fma_mixhi_f16 v62, v50, s8, 0
	v_fma_mixhi_f16 v61, v48, s8, 0
	;; [unrolled: 1-line block ×6, first 2 shown]
	ds_store_b64 v67, v[1:2]
	ds_store_b64 v68, v[3:4]
	;; [unrolled: 1-line block ×7, first 2 shown]
	s_waitcnt lgkmcnt(0)
	s_barrier
	buffer_gl0_inv
	s_cbranch_scc1 .LBB86_6
; %bb.5:
	s_load_b32 s4, s[2:3], 0xd0
	s_waitcnt lgkmcnt(0)
	s_mul_i32 s4, s4, s33
	s_delay_alu instid0(SALU_CYCLE_1) | instskip(NEXT) | instid1(SALU_CYCLE_1)
	s_add_i32 s4, s4, s13
	s_lshl_b64 s[4:5], s[4:5], 2
	s_delay_alu instid0(SALU_CYCLE_1)
	s_add_u32 s4, s26, s4
	s_addc_u32 s5, s27, s5
	s_load_b32 s42, s[4:5], 0x0
.LBB86_6:
	s_clause 0x1
	s_load_b64 s[26:27], s[2:3], 0x8c
	s_load_b128 s[8:11], s[2:3], 0x98
	s_ashr_i32 s13, s33, 31
	s_ashr_i32 s15, s45, 1
	s_load_b64 s[48:49], s[2:3], 0xa8
	s_mul_i32 s16, s44, s12
	v_dual_mov_b32 v73, 0 :: v_dual_lshlrev_b32 v34, 2, v41
	v_mov_b32_e32 v57, 0
	v_lshrrev_b32_e32 v76, 3, v41
	v_mul_u32_u24_e32 v18, 0x90, v41
	s_delay_alu instid0(VALU_DEP_4)
	v_and_b32_e32 v22, 60, v34
	v_and_b32_e32 v75, 28, v34
	v_lshlrev_b32_e32 v17, 11, v21
	v_or_b32_e32 v72, 1, v26
	v_or_b32_e32 v66, 2, v26
	v_or_b32_e32 v63, 3, v26
	v_or_b32_e32 v62, 4, v26
	v_or_b32_e32 v61, 5, v26
	v_or_b32_e32 v60, 6, v26
	s_waitcnt lgkmcnt(0)
	s_ashr_i32 s26, s26, 2
	s_ashr_i32 s17, s10, 2
	s_mul_i32 s9, s33, s9
	s_mul_hi_u32 s10, s33, s8
	s_mul_i32 s45, s13, s8
	s_add_i32 s9, s10, s9
	s_mul_i32 s8, s33, s8
	s_add_i32 s9, s9, s45
	s_add_u32 s10, s18, s8
	s_addc_u32 s19, s19, s9
	s_sub_i32 s9, s43, s16
	s_xor_b32 s18, s35, s46
	s_add_i32 s16, s44, 1
	s_sub_i32 s43, s9, s12
	s_cmp_ge_u32 s9, s12
	s_mul_i32 s13, s13, s48
	s_cselect_b32 s16, s16, s44
	s_cselect_b32 s9, s43, s9
	s_add_i32 s43, s16, 1
	s_cmp_ge_u32 s9, s12
	v_or_b32_e32 v59, 7, v26
	s_cselect_b32 s12, s43, s16
	s_mul_i32 s16, s33, s49
	s_xor_b32 s12, s12, s18
	s_mul_hi_u32 s43, s33, s48
	s_sub_i32 s12, s12, s18
	v_lshrrev_b32_e32 v23, 4, v41
	s_mul_i32 s18, s12, s27
	s_mul_i32 s27, s33, s48
	s_ashr_i32 s44, s18, 31
	s_add_u32 s18, s10, s18
	s_addc_u32 s19, s19, s44
	s_add_i32 s10, s43, s16
	s_mul_i32 s12, s12, s11
	s_add_i32 s10, s10, s13
	s_add_u32 s11, s20, s27
	s_addc_u32 s10, s21, s10
	s_ashr_i32 s13, s12, 31
	s_add_u32 s20, s11, s12
	v_mbcnt_lo_u32_b32 v19, -1, 0
	s_addc_u32 s21, s10, s13
	s_lshl_b32 s16, s14, 6
	s_sub_i32 s27, s42, 64
	s_mov_b32 s4, 0xfeffffff
	s_cmp_ge_i32 s16, s27
	s_cbranch_scc1 .LBB86_114
; %bb.7:
	v_mul_hi_u32 v1, s36, v72
	v_mul_hi_u32 v4, s36, v66
	v_lshl_add_u32 v2, v21, 2, v76
	v_dual_mov_b32 v44, 0 :: v_dual_lshlrev_b32 v3, 2, v75
	v_mul_hi_u32 v5, s36, v63
	v_mov_b32_e32 v43, 0
	v_mul_hi_u32 v7, s36, v61
	v_dual_mov_b32 v46, 0 :: v_dual_add_nc_u32 v1, v72, v1
	v_mad_u32_u24 v3, 0x90, v2, v3
	v_mul_hi_u32 v6, s36, v62
	v_mul_hi_u32 v8, s36, v60
	s_delay_alu instid0(VALU_DEP_4) | instskip(SKIP_3) | instid1(VALU_DEP_4)
	v_lshrrev_b32_e32 v10, s37, v1
	v_mul_lo_u32 v1, s26, v2
	v_add_nc_u32_e32 v2, v66, v4
	v_dual_mov_b32 v48, 0 :: v_dual_add_nc_u32 v5, v63, v5
	v_mul_lo_u32 v4, v10, s38
	v_mul_hi_u32 v9, s36, v59
	s_delay_alu instid0(VALU_DEP_4) | instskip(NEXT) | instid1(VALU_DEP_4)
	v_lshrrev_b32_e32 v10, s37, v2
	v_lshrrev_b32_e32 v5, s37, v5
	v_dual_mov_b32 v50, 0 :: v_dual_add_nc_u32 v7, v61, v7
	v_dual_mov_b32 v105, 0xfeffffff :: v_dual_add_nc_u32 v6, v62, v6
	s_delay_alu instid0(VALU_DEP_4) | instskip(NEXT) | instid1(VALU_DEP_4)
	v_mul_lo_u32 v10, v10, s38
	v_mul_lo_u32 v5, v5, s38
	v_dual_mov_b32 v47, 0 :: v_dual_add_nc_u32 v8, v60, v8
	v_lshrrev_b32_e32 v7, s37, v7
	v_dual_mov_b32 v54, 0 :: v_dual_add_nc_u32 v9, v59, v9
	v_lshrrev_b32_e32 v6, s37, v6
	v_sub_nc_u32_e32 v10, v66, v10
	v_lshrrev_b32_e32 v8, s37, v8
	v_mul_lo_u32 v7, v7, s38
	v_sub_nc_u32_e32 v5, v63, v5
	v_lshrrev_b32_e32 v9, s37, v9
	v_mul_lo_u32 v81, v10, s15
	v_lshl_add_u32 v10, v21, 1, v23
	v_mul_lo_u32 v6, v6, s38
	v_mul_lo_u32 v8, v8, s38
	;; [unrolled: 1-line block ×3, first 2 shown]
	v_sub_nc_u32_e32 v11, v72, v4
	v_mul_lo_u32 v5, s17, v10
	v_mul_lo_u32 v9, v9, s38
	v_sub_nc_u32_e32 v7, v61, v7
	v_dual_mov_b32 v45, 0 :: v_dual_add_nc_u32 v78, 0x4000, v3
	v_dual_mov_b32 v52, 0 :: v_dual_add_nc_u32 v79, 0x5200, v3
	v_lshl_add_u32 v3, s26, 5, v1
	v_mul_lo_u32 v80, v11, s15
	v_sub_nc_u32_e32 v6, v62, v6
	v_dual_mov_b32 v56, 0 :: v_dual_lshlrev_b32 v11, 2, v22
	v_sub_nc_u32_e32 v8, v60, v8
	v_mul_lo_u32 v84, v7, s15
	v_lshl_add_u32 v7, s17, 4, v5
	v_sub_nc_u32_e32 v9, v59, v9
	v_ashrrev_i32_e32 v2, 31, v1
	v_ashrrev_i32_e32 v4, 31, v3
	v_mul_lo_u32 v83, v6, s15
	v_lshl_or_b32 v10, v10, 8, v11
	v_mul_lo_u32 v85, v8, s15
	v_lshl_add_u32 v87, v21, 10, 0x6400
	v_ashrrev_i32_e32 v6, 31, v5
	v_ashrrev_i32_e32 v8, 31, v7
	v_mul_lo_u32 v77, v69, s15
	v_mul_lo_u32 v86, v9, s15
	s_cmp_lg_u64 s[40:41], 0
	v_dual_mov_b32 v49, 0 :: v_dual_add_nc_u32 v88, 0x4000, v10
	v_dual_mov_b32 v58, 0 :: v_dual_add_nc_u32 v89, 0x5000, v10
	v_lshlrev_b64 v[9:10], 2, v[1:2]
	v_lshlrev_b64 v[11:12], 2, v[3:4]
	v_dual_mov_b32 v51, 0 :: v_dual_add_nc_u32 v92, v87, v13
	v_lshlrev_b64 v[13:14], 2, v[5:6]
	v_lshlrev_b64 v[15:16], 2, v[7:8]
	s_cselect_b32 s43, -1, 0
	v_lshl_or_b32 v90, v41, 3, 0x4000
	s_add_u32 s12, s2, 0xd0
	v_dual_mov_b32 v106, 0xfeffffff :: v_dual_lshlrev_b32 v91, 2, v75
	v_dual_mov_b32 v102, 0xfeffffff :: v_dual_lshlrev_b32 v93, 2, v22
	v_mbcnt_lo_u32_b32 v94, -1, 0
	v_dual_mov_b32 v53, 0 :: v_dual_mov_b32 v100, 0xfeffffff
	v_dual_mov_b32 v55, 0 :: v_dual_mov_b32 v98, 0xfeffffff
	;; [unrolled: 1-line block ×6, first 2 shown]
	v_mov_b32_e32 v5, 0
	v_mov_b32_e32 v7, 0
	;; [unrolled: 1-line block ×4, first 2 shown]
	s_addc_u32 s13, s3, 0
	s_add_u32 s44, s40, 64
	s_addc_u32 s45, s41, 0
	s_mov_b32 s46, 0xbbbac73d
.LBB86_8:                               ; =>This Inner Loop Header: Depth=1
	s_mul_hi_i32 s5, s16, s26
	s_mul_i32 s4, s16, s26
	v_dual_mov_b32 v113, 0 :: v_dual_mov_b32 v70, 0
	s_lshl_b64 s[4:5], s[4:5], 2
	v_dual_mov_b32 v111, 0 :: v_dual_mov_b32 v64, 0
	s_add_u32 s4, s18, s4
	s_addc_u32 s5, s19, s5
	v_add_co_u32 v1, vcc_lo, s4, v9
	v_add_co_ci_u32_e32 v2, vcc_lo, s5, v10, vcc_lo
	v_add_co_u32 v3, vcc_lo, s4, v11
	v_add_co_ci_u32_e32 v4, vcc_lo, s5, v12, vcc_lo
	s_delay_alu instid0(VALU_DEP_4) | instskip(NEXT) | instid1(VALU_DEP_4)
	v_add_co_u32 v1, vcc_lo, v1, v91
	v_add_co_ci_u32_e32 v2, vcc_lo, 0, v2, vcc_lo
	s_delay_alu instid0(VALU_DEP_4) | instskip(NEXT) | instid1(VALU_DEP_4)
	v_add_co_u32 v3, vcc_lo, v3, v91
	v_add_co_ci_u32_e32 v4, vcc_lo, 0, v4, vcc_lo
	s_clause 0x1
	global_load_b128 v[114:117], v[1:2], off
	global_load_b128 v[118:121], v[3:4], off
	v_mov_b32_e32 v109, 0
	v_dual_mov_b32 v107, 0 :: v_dual_mov_b32 v112, 0
	v_dual_mov_b32 v73, 0 :: v_dual_mov_b32 v110, 0
	;; [unrolled: 1-line block ×5, first 2 shown]
	s_waitcnt vmcnt(1)
	ds_store_b128 v78, v[114:117]
	s_waitcnt vmcnt(0)
	ds_store_b128 v79, v[118:121]
	s_waitcnt lgkmcnt(0)
	s_barrier
	buffer_gl0_inv
	ds_load_b128 v[115:118], v18 offset:16384
	ds_load_b128 v[119:122], v17
	ds_load_b128 v[123:126], v17 offset:256
	ds_load_b128 v[127:130], v17 offset:512
	;; [unrolled: 1-line block ×8, first 2 shown]
	v_mov_b32_e32 v114, 0
	s_waitcnt lgkmcnt(8)
	;;#ASMSTART
	v_dot2_f32_f16 v113, v115, v119, v113
	;;#ASMEND
	;;#ASMSTART
	v_dot2_f32_f16 v113, v116, v120, v113
	;;#ASMEND
	;;#ASMSTART
	v_dot2_f32_f16 v113, v117, v121, v113
	;;#ASMEND
	;;#ASMSTART
	v_dot2_f32_f16 v113, v118, v122, v113
	;;#ASMEND
	s_waitcnt lgkmcnt(7)
	;;#ASMSTART
	v_dot2_f32_f16 v111, v115, v123, v111
	;;#ASMEND
	;;#ASMSTART
	v_dot2_f32_f16 v111, v116, v124, v111
	;;#ASMEND
	;;#ASMSTART
	v_dot2_f32_f16 v111, v117, v125, v111
	;;#ASMEND
	;;#ASMSTART
	v_dot2_f32_f16 v111, v118, v126, v111
	;;#ASMEND
	;; [unrolled: 13-line block ×8, first 2 shown]
	;;#ASMSTART
	v_dot2_f32_f16 v114, v135, v119, v114
	;;#ASMEND
	;;#ASMSTART
	v_dot2_f32_f16 v114, v136, v120, v114
	;;#ASMEND
	;; [unrolled: 3-line block ×32, first 2 shown]
	ds_load_b128 v[115:118], v18 offset:16400
	ds_load_b128 v[119:122], v17 offset:16
	;; [unrolled: 1-line block ×10, first 2 shown]
	s_waitcnt lgkmcnt(8)
	;;#ASMSTART
	v_dot2_f32_f16 v113, v115, v119, v113
	;;#ASMEND
	;;#ASMSTART
	v_dot2_f32_f16 v113, v116, v120, v113
	;;#ASMEND
	;;#ASMSTART
	v_dot2_f32_f16 v113, v117, v121, v113
	;;#ASMEND
	;;#ASMSTART
	v_dot2_f32_f16 v113, v118, v122, v113
	;;#ASMEND
	s_waitcnt lgkmcnt(7)
	;;#ASMSTART
	v_dot2_f32_f16 v111, v115, v123, v111
	;;#ASMEND
	;;#ASMSTART
	v_dot2_f32_f16 v111, v116, v124, v111
	;;#ASMEND
	;;#ASMSTART
	v_dot2_f32_f16 v111, v117, v125, v111
	;;#ASMEND
	;;#ASMSTART
	v_dot2_f32_f16 v111, v118, v126, v111
	;;#ASMEND
	;; [unrolled: 13-line block ×8, first 2 shown]
	;;#ASMSTART
	v_dot2_f32_f16 v114, v135, v119, v114
	;;#ASMEND
	;;#ASMSTART
	v_dot2_f32_f16 v114, v136, v120, v114
	;;#ASMEND
	;; [unrolled: 3-line block ×32, first 2 shown]
	ds_load_b128 v[115:118], v18 offset:16416
	ds_load_b128 v[119:122], v17 offset:32
	;; [unrolled: 1-line block ×10, first 2 shown]
	s_waitcnt lgkmcnt(8)
	;;#ASMSTART
	v_dot2_f32_f16 v113, v115, v119, v113
	;;#ASMEND
	;;#ASMSTART
	v_dot2_f32_f16 v113, v116, v120, v113
	;;#ASMEND
	;;#ASMSTART
	v_dot2_f32_f16 v113, v117, v121, v113
	;;#ASMEND
	;;#ASMSTART
	v_dot2_f32_f16 v113, v118, v122, v113
	;;#ASMEND
	s_waitcnt lgkmcnt(7)
	;;#ASMSTART
	v_dot2_f32_f16 v111, v115, v123, v111
	;;#ASMEND
	;;#ASMSTART
	v_dot2_f32_f16 v111, v116, v124, v111
	;;#ASMEND
	;;#ASMSTART
	v_dot2_f32_f16 v111, v117, v125, v111
	;;#ASMEND
	;;#ASMSTART
	v_dot2_f32_f16 v111, v118, v126, v111
	;;#ASMEND
	;; [unrolled: 13-line block ×8, first 2 shown]
	;;#ASMSTART
	v_dot2_f32_f16 v114, v135, v119, v114
	;;#ASMEND
	;;#ASMSTART
	v_dot2_f32_f16 v114, v136, v120, v114
	;;#ASMEND
	;; [unrolled: 3-line block ×32, first 2 shown]
	ds_load_b128 v[115:118], v18 offset:16432
	ds_load_b128 v[119:122], v17 offset:48
	;; [unrolled: 1-line block ×10, first 2 shown]
	s_waitcnt lgkmcnt(8)
	;;#ASMSTART
	v_dot2_f32_f16 v113, v115, v119, v113
	;;#ASMEND
	;;#ASMSTART
	v_dot2_f32_f16 v113, v116, v120, v113
	;;#ASMEND
	;;#ASMSTART
	v_dot2_f32_f16 v113, v117, v121, v113
	;;#ASMEND
	;;#ASMSTART
	v_dot2_f32_f16 v113, v118, v122, v113
	;;#ASMEND
	s_waitcnt lgkmcnt(7)
	;;#ASMSTART
	v_dot2_f32_f16 v111, v115, v123, v111
	;;#ASMEND
	;;#ASMSTART
	v_dot2_f32_f16 v111, v116, v124, v111
	;;#ASMEND
	;;#ASMSTART
	v_dot2_f32_f16 v111, v117, v125, v111
	;;#ASMEND
	;;#ASMSTART
	v_dot2_f32_f16 v111, v118, v126, v111
	;;#ASMEND
	;; [unrolled: 13-line block ×8, first 2 shown]
	;;#ASMSTART
	v_dot2_f32_f16 v114, v135, v119, v114
	;;#ASMEND
	;;#ASMSTART
	v_dot2_f32_f16 v114, v136, v120, v114
	;;#ASMEND
	;; [unrolled: 3-line block ×32, first 2 shown]
	ds_load_b128 v[115:118], v18 offset:16448
	ds_load_b128 v[119:122], v17 offset:64
	;; [unrolled: 1-line block ×10, first 2 shown]
	s_waitcnt lgkmcnt(8)
	;;#ASMSTART
	v_dot2_f32_f16 v113, v115, v119, v113
	;;#ASMEND
	;;#ASMSTART
	v_dot2_f32_f16 v113, v116, v120, v113
	;;#ASMEND
	;;#ASMSTART
	v_dot2_f32_f16 v113, v117, v121, v113
	;;#ASMEND
	;;#ASMSTART
	v_dot2_f32_f16 v113, v118, v122, v113
	;;#ASMEND
	s_waitcnt lgkmcnt(7)
	;;#ASMSTART
	v_dot2_f32_f16 v111, v115, v123, v111
	;;#ASMEND
	;;#ASMSTART
	v_dot2_f32_f16 v111, v116, v124, v111
	;;#ASMEND
	;;#ASMSTART
	v_dot2_f32_f16 v111, v117, v125, v111
	;;#ASMEND
	;;#ASMSTART
	v_dot2_f32_f16 v111, v118, v126, v111
	;;#ASMEND
	;; [unrolled: 13-line block ×8, first 2 shown]
	;;#ASMSTART
	v_dot2_f32_f16 v114, v135, v119, v114
	;;#ASMEND
	;;#ASMSTART
	v_dot2_f32_f16 v114, v136, v120, v114
	;;#ASMEND
	;; [unrolled: 3-line block ×32, first 2 shown]
	ds_load_b128 v[115:118], v18 offset:16464
	ds_load_b128 v[119:122], v17 offset:80
	ds_load_b128 v[123:126], v17 offset:336
	ds_load_b128 v[127:130], v17 offset:592
	ds_load_b128 v[131:134], v17 offset:848
	ds_load_b128 v[135:138], v18 offset:21072
	ds_load_b128 v[139:142], v17 offset:1104
	ds_load_b128 v[143:146], v17 offset:1360
	ds_load_b128 v[147:150], v17 offset:1616
	ds_load_b128 v[151:154], v17 offset:1872
	s_waitcnt lgkmcnt(8)
	;;#ASMSTART
	v_dot2_f32_f16 v113, v115, v119, v113
	;;#ASMEND
	;;#ASMSTART
	v_dot2_f32_f16 v113, v116, v120, v113
	;;#ASMEND
	;;#ASMSTART
	v_dot2_f32_f16 v113, v117, v121, v113
	;;#ASMEND
	;;#ASMSTART
	v_dot2_f32_f16 v113, v118, v122, v113
	;;#ASMEND
	s_waitcnt lgkmcnt(7)
	;;#ASMSTART
	v_dot2_f32_f16 v111, v115, v123, v111
	;;#ASMEND
	;;#ASMSTART
	v_dot2_f32_f16 v111, v116, v124, v111
	;;#ASMEND
	;;#ASMSTART
	v_dot2_f32_f16 v111, v117, v125, v111
	;;#ASMEND
	;;#ASMSTART
	v_dot2_f32_f16 v111, v118, v126, v111
	;;#ASMEND
	;; [unrolled: 13-line block ×8, first 2 shown]
	;;#ASMSTART
	v_dot2_f32_f16 v114, v135, v119, v114
	;;#ASMEND
	;;#ASMSTART
	v_dot2_f32_f16 v114, v136, v120, v114
	;;#ASMEND
	;; [unrolled: 3-line block ×32, first 2 shown]
	ds_load_b128 v[115:118], v18 offset:16480
	ds_load_b128 v[119:122], v17 offset:96
	;; [unrolled: 1-line block ×10, first 2 shown]
	s_waitcnt lgkmcnt(8)
	;;#ASMSTART
	v_dot2_f32_f16 v113, v115, v119, v113
	;;#ASMEND
	;;#ASMSTART
	v_dot2_f32_f16 v113, v116, v120, v113
	;;#ASMEND
	;;#ASMSTART
	v_dot2_f32_f16 v113, v117, v121, v113
	;;#ASMEND
	;;#ASMSTART
	v_dot2_f32_f16 v113, v118, v122, v113
	;;#ASMEND
	s_waitcnt lgkmcnt(7)
	;;#ASMSTART
	v_dot2_f32_f16 v111, v115, v123, v111
	;;#ASMEND
	;;#ASMSTART
	v_dot2_f32_f16 v111, v116, v124, v111
	;;#ASMEND
	;;#ASMSTART
	v_dot2_f32_f16 v111, v117, v125, v111
	;;#ASMEND
	;;#ASMSTART
	v_dot2_f32_f16 v111, v118, v126, v111
	;;#ASMEND
	;; [unrolled: 13-line block ×8, first 2 shown]
	;;#ASMSTART
	v_dot2_f32_f16 v114, v135, v119, v114
	;;#ASMEND
	;;#ASMSTART
	v_dot2_f32_f16 v114, v136, v120, v114
	;;#ASMEND
	;; [unrolled: 3-line block ×32, first 2 shown]
	ds_load_b128 v[115:118], v18 offset:16496
	ds_load_b128 v[119:122], v17 offset:112
	;; [unrolled: 1-line block ×10, first 2 shown]
	s_waitcnt lgkmcnt(8)
	;;#ASMSTART
	v_dot2_f32_f16 v113, v115, v119, v113
	;;#ASMEND
	;;#ASMSTART
	v_dot2_f32_f16 v113, v116, v120, v113
	;;#ASMEND
	;;#ASMSTART
	v_dot2_f32_f16 v113, v117, v121, v113
	;;#ASMEND
	;;#ASMSTART
	v_dot2_f32_f16 v113, v118, v122, v113
	;;#ASMEND
	s_waitcnt lgkmcnt(7)
	;;#ASMSTART
	v_dot2_f32_f16 v111, v115, v123, v111
	;;#ASMEND
	;;#ASMSTART
	v_dot2_f32_f16 v111, v116, v124, v111
	;;#ASMEND
	;;#ASMSTART
	v_dot2_f32_f16 v111, v117, v125, v111
	;;#ASMEND
	;;#ASMSTART
	v_dot2_f32_f16 v111, v118, v126, v111
	;;#ASMEND
	;; [unrolled: 13-line block ×8, first 2 shown]
	;;#ASMSTART
	v_dot2_f32_f16 v114, v135, v119, v114
	;;#ASMEND
	;;#ASMSTART
	v_dot2_f32_f16 v114, v136, v120, v114
	;;#ASMEND
	;; [unrolled: 3-line block ×32, first 2 shown]
	s_barrier
	buffer_gl0_inv
	s_clause 0x1
	global_load_b128 v[115:118], v[1:2], off offset:128
	global_load_b128 v[1:4], v[3:4], off offset:128
	s_waitcnt vmcnt(1)
	ds_store_b128 v78, v[115:118]
	s_waitcnt vmcnt(0)
	ds_store_b128 v79, v[1:4]
	s_waitcnt lgkmcnt(0)
	s_barrier
	buffer_gl0_inv
	ds_load_b128 v[1:4], v18 offset:16384
	ds_load_b128 v[115:118], v17 offset:128
	;; [unrolled: 1-line block ×10, first 2 shown]
	s_waitcnt lgkmcnt(8)
	;;#ASMSTART
	v_dot2_f32_f16 v113, v1, v115, v113
	;;#ASMEND
	;;#ASMSTART
	v_dot2_f32_f16 v113, v2, v116, v113
	;;#ASMEND
	;;#ASMSTART
	v_dot2_f32_f16 v113, v3, v117, v113
	;;#ASMEND
	;;#ASMSTART
	v_dot2_f32_f16 v113, v4, v118, v113
	;;#ASMEND
	s_waitcnt lgkmcnt(7)
	;;#ASMSTART
	v_dot2_f32_f16 v111, v1, v119, v111
	;;#ASMEND
	;;#ASMSTART
	v_dot2_f32_f16 v111, v2, v120, v111
	;;#ASMEND
	;;#ASMSTART
	v_dot2_f32_f16 v111, v3, v121, v111
	;;#ASMEND
	;;#ASMSTART
	v_dot2_f32_f16 v111, v4, v122, v111
	;;#ASMEND
	;; [unrolled: 13-line block ×8, first 2 shown]
	;;#ASMSTART
	v_dot2_f32_f16 v114, v131, v115, v114
	;;#ASMEND
	;;#ASMSTART
	v_dot2_f32_f16 v114, v132, v116, v114
	;;#ASMEND
	;; [unrolled: 3-line block ×32, first 2 shown]
	ds_load_b128 v[1:4], v18 offset:16400
	ds_load_b128 v[115:118], v17 offset:144
	;; [unrolled: 1-line block ×10, first 2 shown]
	s_waitcnt lgkmcnt(8)
	;;#ASMSTART
	v_dot2_f32_f16 v113, v1, v115, v113
	;;#ASMEND
	;;#ASMSTART
	v_dot2_f32_f16 v113, v2, v116, v113
	;;#ASMEND
	;;#ASMSTART
	v_dot2_f32_f16 v113, v3, v117, v113
	;;#ASMEND
	;;#ASMSTART
	v_dot2_f32_f16 v113, v4, v118, v113
	;;#ASMEND
	s_waitcnt lgkmcnt(7)
	;;#ASMSTART
	v_dot2_f32_f16 v111, v1, v119, v111
	;;#ASMEND
	;;#ASMSTART
	v_dot2_f32_f16 v111, v2, v120, v111
	;;#ASMEND
	;;#ASMSTART
	v_dot2_f32_f16 v111, v3, v121, v111
	;;#ASMEND
	;;#ASMSTART
	v_dot2_f32_f16 v111, v4, v122, v111
	;;#ASMEND
	;; [unrolled: 13-line block ×8, first 2 shown]
	;;#ASMSTART
	v_dot2_f32_f16 v114, v131, v115, v114
	;;#ASMEND
	;;#ASMSTART
	v_dot2_f32_f16 v114, v132, v116, v114
	;;#ASMEND
	;; [unrolled: 3-line block ×32, first 2 shown]
	ds_load_b128 v[1:4], v18 offset:16416
	ds_load_b128 v[115:118], v17 offset:160
	ds_load_b128 v[119:122], v17 offset:416
	ds_load_b128 v[123:126], v17 offset:672
	ds_load_b128 v[127:130], v17 offset:928
	ds_load_b128 v[131:134], v18 offset:21024
	ds_load_b128 v[135:138], v17 offset:1184
	ds_load_b128 v[139:142], v17 offset:1440
	ds_load_b128 v[143:146], v17 offset:1696
	ds_load_b128 v[147:150], v17 offset:1952
	s_waitcnt lgkmcnt(8)
	;;#ASMSTART
	v_dot2_f32_f16 v113, v1, v115, v113
	;;#ASMEND
	;;#ASMSTART
	v_dot2_f32_f16 v113, v2, v116, v113
	;;#ASMEND
	;;#ASMSTART
	v_dot2_f32_f16 v113, v3, v117, v113
	;;#ASMEND
	;;#ASMSTART
	v_dot2_f32_f16 v113, v4, v118, v113
	;;#ASMEND
	s_waitcnt lgkmcnt(7)
	;;#ASMSTART
	v_dot2_f32_f16 v111, v1, v119, v111
	;;#ASMEND
	;;#ASMSTART
	v_dot2_f32_f16 v111, v2, v120, v111
	;;#ASMEND
	;;#ASMSTART
	v_dot2_f32_f16 v111, v3, v121, v111
	;;#ASMEND
	;;#ASMSTART
	v_dot2_f32_f16 v111, v4, v122, v111
	;;#ASMEND
	s_waitcnt lgkmcnt(6)
	;;#ASMSTART
	v_dot2_f32_f16 v109, v1, v123, v109
	;;#ASMEND
	;;#ASMSTART
	v_dot2_f32_f16 v109, v2, v124, v109
	;;#ASMEND
	;;#ASMSTART
	v_dot2_f32_f16 v109, v3, v125, v109
	;;#ASMEND
	;;#ASMSTART
	v_dot2_f32_f16 v109, v4, v126, v109
	;;#ASMEND
	s_waitcnt lgkmcnt(5)
	;;#ASMSTART
	v_dot2_f32_f16 v107, v1, v127, v107
	;;#ASMEND
	;;#ASMSTART
	v_dot2_f32_f16 v107, v2, v128, v107
	;;#ASMEND
	;;#ASMSTART
	v_dot2_f32_f16 v107, v3, v129, v107
	;;#ASMEND
	;;#ASMSTART
	v_dot2_f32_f16 v107, v4, v130, v107
	;;#ASMEND
	s_waitcnt lgkmcnt(3)
	;;#ASMSTART
	v_dot2_f32_f16 v73, v1, v135, v73
	;;#ASMEND
	;;#ASMSTART
	v_dot2_f32_f16 v73, v2, v136, v73
	;;#ASMEND
	;;#ASMSTART
	v_dot2_f32_f16 v73, v3, v137, v73
	;;#ASMEND
	;;#ASMSTART
	v_dot2_f32_f16 v73, v4, v138, v73
	;;#ASMEND
	s_waitcnt lgkmcnt(2)
	;;#ASMSTART
	v_dot2_f32_f16 v70, v1, v139, v70
	;;#ASMEND
	;;#ASMSTART
	v_dot2_f32_f16 v70, v2, v140, v70
	;;#ASMEND
	;;#ASMSTART
	v_dot2_f32_f16 v70, v3, v141, v70
	;;#ASMEND
	;;#ASMSTART
	v_dot2_f32_f16 v70, v4, v142, v70
	;;#ASMEND
	s_waitcnt lgkmcnt(1)
	;;#ASMSTART
	v_dot2_f32_f16 v67, v1, v143, v67
	;;#ASMEND
	;;#ASMSTART
	v_dot2_f32_f16 v67, v2, v144, v67
	;;#ASMEND
	;;#ASMSTART
	v_dot2_f32_f16 v67, v3, v145, v67
	;;#ASMEND
	;;#ASMSTART
	v_dot2_f32_f16 v67, v4, v146, v67
	;;#ASMEND
	s_waitcnt lgkmcnt(0)
	;;#ASMSTART
	v_dot2_f32_f16 v64, v1, v147, v64
	;;#ASMEND
	;;#ASMSTART
	v_dot2_f32_f16 v64, v2, v148, v64
	;;#ASMEND
	;;#ASMSTART
	v_dot2_f32_f16 v64, v3, v149, v64
	;;#ASMEND
	;;#ASMSTART
	v_dot2_f32_f16 v64, v4, v150, v64
	;;#ASMEND
	;;#ASMSTART
	v_dot2_f32_f16 v114, v131, v115, v114
	;;#ASMEND
	;;#ASMSTART
	v_dot2_f32_f16 v114, v132, v116, v114
	;;#ASMEND
	;; [unrolled: 3-line block ×32, first 2 shown]
	ds_load_b128 v[1:4], v18 offset:16432
	ds_load_b128 v[115:118], v17 offset:176
	;; [unrolled: 1-line block ×10, first 2 shown]
	s_waitcnt lgkmcnt(8)
	;;#ASMSTART
	v_dot2_f32_f16 v113, v1, v115, v113
	;;#ASMEND
	;;#ASMSTART
	v_dot2_f32_f16 v113, v2, v116, v113
	;;#ASMEND
	;;#ASMSTART
	v_dot2_f32_f16 v113, v3, v117, v113
	;;#ASMEND
	;;#ASMSTART
	v_dot2_f32_f16 v113, v4, v118, v113
	;;#ASMEND
	s_waitcnt lgkmcnt(7)
	;;#ASMSTART
	v_dot2_f32_f16 v111, v1, v119, v111
	;;#ASMEND
	;;#ASMSTART
	v_dot2_f32_f16 v111, v2, v120, v111
	;;#ASMEND
	;;#ASMSTART
	v_dot2_f32_f16 v111, v3, v121, v111
	;;#ASMEND
	;;#ASMSTART
	v_dot2_f32_f16 v111, v4, v122, v111
	;;#ASMEND
	;; [unrolled: 13-line block ×8, first 2 shown]
	;;#ASMSTART
	v_dot2_f32_f16 v114, v131, v115, v114
	;;#ASMEND
	;;#ASMSTART
	v_dot2_f32_f16 v114, v132, v116, v114
	;;#ASMEND
	;; [unrolled: 3-line block ×32, first 2 shown]
	ds_load_b128 v[1:4], v18 offset:16448
	ds_load_b128 v[115:118], v17 offset:192
	ds_load_b128 v[119:122], v17 offset:448
	ds_load_b128 v[123:126], v17 offset:704
	ds_load_b128 v[127:130], v17 offset:960
	ds_load_b128 v[131:134], v18 offset:21056
	ds_load_b128 v[135:138], v17 offset:1216
	ds_load_b128 v[139:142], v17 offset:1472
	ds_load_b128 v[143:146], v17 offset:1728
	ds_load_b128 v[147:150], v17 offset:1984
	s_waitcnt lgkmcnt(8)
	;;#ASMSTART
	v_dot2_f32_f16 v113, v1, v115, v113
	;;#ASMEND
	;;#ASMSTART
	v_dot2_f32_f16 v113, v2, v116, v113
	;;#ASMEND
	;;#ASMSTART
	v_dot2_f32_f16 v113, v3, v117, v113
	;;#ASMEND
	;;#ASMSTART
	v_dot2_f32_f16 v113, v4, v118, v113
	;;#ASMEND
	s_waitcnt lgkmcnt(7)
	;;#ASMSTART
	v_dot2_f32_f16 v111, v1, v119, v111
	;;#ASMEND
	;;#ASMSTART
	v_dot2_f32_f16 v111, v2, v120, v111
	;;#ASMEND
	;;#ASMSTART
	v_dot2_f32_f16 v111, v3, v121, v111
	;;#ASMEND
	;;#ASMSTART
	v_dot2_f32_f16 v111, v4, v122, v111
	;;#ASMEND
	;; [unrolled: 13-line block ×8, first 2 shown]
	;;#ASMSTART
	v_dot2_f32_f16 v114, v131, v115, v114
	;;#ASMEND
	;;#ASMSTART
	v_dot2_f32_f16 v114, v132, v116, v114
	;;#ASMEND
	;; [unrolled: 3-line block ×32, first 2 shown]
	ds_load_b128 v[1:4], v18 offset:16464
	ds_load_b128 v[115:118], v17 offset:208
	;; [unrolled: 1-line block ×10, first 2 shown]
	s_waitcnt lgkmcnt(8)
	;;#ASMSTART
	v_dot2_f32_f16 v113, v1, v115, v113
	;;#ASMEND
	;;#ASMSTART
	v_dot2_f32_f16 v113, v2, v116, v113
	;;#ASMEND
	;;#ASMSTART
	v_dot2_f32_f16 v113, v3, v117, v113
	;;#ASMEND
	;;#ASMSTART
	v_dot2_f32_f16 v113, v4, v118, v113
	;;#ASMEND
	s_waitcnt lgkmcnt(7)
	;;#ASMSTART
	v_dot2_f32_f16 v111, v1, v119, v111
	;;#ASMEND
	;;#ASMSTART
	v_dot2_f32_f16 v111, v2, v120, v111
	;;#ASMEND
	;;#ASMSTART
	v_dot2_f32_f16 v111, v3, v121, v111
	;;#ASMEND
	;;#ASMSTART
	v_dot2_f32_f16 v111, v4, v122, v111
	;;#ASMEND
	;; [unrolled: 13-line block ×8, first 2 shown]
	;;#ASMSTART
	v_dot2_f32_f16 v114, v131, v115, v114
	;;#ASMEND
	;;#ASMSTART
	v_dot2_f32_f16 v114, v132, v116, v114
	;;#ASMEND
	;; [unrolled: 3-line block ×32, first 2 shown]
	ds_load_b128 v[1:4], v18 offset:16480
	ds_load_b128 v[115:118], v17 offset:224
	;; [unrolled: 1-line block ×10, first 2 shown]
	s_waitcnt lgkmcnt(8)
	;;#ASMSTART
	v_dot2_f32_f16 v113, v1, v115, v113
	;;#ASMEND
	;;#ASMSTART
	v_dot2_f32_f16 v113, v2, v116, v113
	;;#ASMEND
	;;#ASMSTART
	v_dot2_f32_f16 v113, v3, v117, v113
	;;#ASMEND
	;;#ASMSTART
	v_dot2_f32_f16 v113, v4, v118, v113
	;;#ASMEND
	s_waitcnt lgkmcnt(7)
	;;#ASMSTART
	v_dot2_f32_f16 v111, v1, v119, v111
	;;#ASMEND
	;;#ASMSTART
	v_dot2_f32_f16 v111, v2, v120, v111
	;;#ASMEND
	;;#ASMSTART
	v_dot2_f32_f16 v111, v3, v121, v111
	;;#ASMEND
	;;#ASMSTART
	v_dot2_f32_f16 v111, v4, v122, v111
	;;#ASMEND
	s_waitcnt lgkmcnt(6)
	;;#ASMSTART
	v_dot2_f32_f16 v109, v1, v123, v109
	;;#ASMEND
	;;#ASMSTART
	v_dot2_f32_f16 v109, v2, v124, v109
	;;#ASMEND
	;;#ASMSTART
	v_dot2_f32_f16 v109, v3, v125, v109
	;;#ASMEND
	;;#ASMSTART
	v_dot2_f32_f16 v109, v4, v126, v109
	;;#ASMEND
	s_waitcnt lgkmcnt(5)
	;;#ASMSTART
	v_dot2_f32_f16 v107, v1, v127, v107
	;;#ASMEND
	;;#ASMSTART
	v_dot2_f32_f16 v107, v2, v128, v107
	;;#ASMEND
	;;#ASMSTART
	v_dot2_f32_f16 v107, v3, v129, v107
	;;#ASMEND
	;;#ASMSTART
	v_dot2_f32_f16 v107, v4, v130, v107
	;;#ASMEND
	s_waitcnt lgkmcnt(3)
	;;#ASMSTART
	v_dot2_f32_f16 v73, v1, v135, v73
	;;#ASMEND
	;;#ASMSTART
	v_dot2_f32_f16 v73, v2, v136, v73
	;;#ASMEND
	;;#ASMSTART
	v_dot2_f32_f16 v73, v3, v137, v73
	;;#ASMEND
	;;#ASMSTART
	v_dot2_f32_f16 v73, v4, v138, v73
	;;#ASMEND
	s_waitcnt lgkmcnt(2)
	;;#ASMSTART
	v_dot2_f32_f16 v70, v1, v139, v70
	;;#ASMEND
	;;#ASMSTART
	v_dot2_f32_f16 v70, v2, v140, v70
	;;#ASMEND
	;;#ASMSTART
	v_dot2_f32_f16 v70, v3, v141, v70
	;;#ASMEND
	;;#ASMSTART
	v_dot2_f32_f16 v70, v4, v142, v70
	;;#ASMEND
	s_waitcnt lgkmcnt(1)
	;;#ASMSTART
	v_dot2_f32_f16 v67, v1, v143, v67
	;;#ASMEND
	;;#ASMSTART
	v_dot2_f32_f16 v67, v2, v144, v67
	;;#ASMEND
	;;#ASMSTART
	v_dot2_f32_f16 v67, v3, v145, v67
	;;#ASMEND
	;;#ASMSTART
	v_dot2_f32_f16 v67, v4, v146, v67
	;;#ASMEND
	s_waitcnt lgkmcnt(0)
	;;#ASMSTART
	v_dot2_f32_f16 v64, v1, v147, v64
	;;#ASMEND
	;;#ASMSTART
	v_dot2_f32_f16 v64, v2, v148, v64
	;;#ASMEND
	;;#ASMSTART
	v_dot2_f32_f16 v64, v3, v149, v64
	;;#ASMEND
	;;#ASMSTART
	v_dot2_f32_f16 v64, v4, v150, v64
	;;#ASMEND
	;;#ASMSTART
	v_dot2_f32_f16 v114, v131, v115, v114
	;;#ASMEND
	;;#ASMSTART
	v_dot2_f32_f16 v114, v132, v116, v114
	;;#ASMEND
	;; [unrolled: 3-line block ×32, first 2 shown]
	ds_load_b128 v[1:4], v18 offset:16496
	ds_load_b128 v[115:118], v17 offset:240
	;; [unrolled: 1-line block ×10, first 2 shown]
	s_waitcnt lgkmcnt(8)
	;;#ASMSTART
	v_dot2_f32_f16 v113, v1, v115, v113
	;;#ASMEND
	;;#ASMSTART
	v_dot2_f32_f16 v113, v2, v116, v113
	;;#ASMEND
	;;#ASMSTART
	v_dot2_f32_f16 v113, v3, v117, v113
	;;#ASMEND
	;;#ASMSTART
	v_dot2_f32_f16 v113, v4, v118, v113
	;;#ASMEND
	s_waitcnt lgkmcnt(7)
	;;#ASMSTART
	v_dot2_f32_f16 v111, v1, v119, v111
	;;#ASMEND
	;;#ASMSTART
	v_dot2_f32_f16 v111, v2, v120, v111
	;;#ASMEND
	;;#ASMSTART
	v_dot2_f32_f16 v111, v3, v121, v111
	;;#ASMEND
	;;#ASMSTART
	v_dot2_f32_f16 v111, v4, v122, v111
	;;#ASMEND
	;; [unrolled: 13-line block ×8, first 2 shown]
	;;#ASMSTART
	v_dot2_f32_f16 v114, v131, v115, v114
	;;#ASMEND
	;;#ASMSTART
	v_dot2_f32_f16 v114, v132, v116, v114
	;;#ASMEND
	;; [unrolled: 3-line block ×25, first 2 shown]
	v_cmp_ngt_f32_e64 s4, 0x3f200000, |v113|
	;;#ASMSTART
	v_dot2_f32_f16 v68, v132, v144, v68
	;;#ASMEND
	;;#ASMSTART
	v_dot2_f32_f16 v68, v133, v145, v68
	;;#ASMEND
	;; [unrolled: 3-line block ×7, first 2 shown]
                                        ; implicit-def: $vgpr3
	s_and_saveexec_b32 s5, s4
	s_delay_alu instid0(SALU_CYCLE_1)
	s_xor_b32 s4, exec_lo, s5
	s_cbranch_execz .LBB86_10
; %bb.9:                                ;   in Loop: Header=BB86_8 Depth=1
	v_add_f32_e64 v1, |v113|, |v113|
	s_delay_alu instid0(VALU_DEP_1) | instskip(SKIP_1) | instid1(VALU_DEP_2)
	v_mul_f32_e32 v2, 0x3fb8aa3b, v1
	v_cmp_ngt_f32_e32 vcc_lo, 0xc2ce8ed0, v1
	v_rndne_f32_e32 v3, v2
	v_fma_f32 v4, 0x3fb8aa3b, v1, -v2
	s_delay_alu instid0(VALU_DEP_2) | instskip(NEXT) | instid1(VALU_DEP_2)
	v_sub_f32_e32 v2, v2, v3
	v_fmac_f32_e32 v4, 0x32a5705f, v1
	v_cvt_i32_f32_e32 v3, v3
	s_delay_alu instid0(VALU_DEP_2) | instskip(NEXT) | instid1(VALU_DEP_1)
	v_add_f32_e32 v2, v2, v4
	v_exp_f32_e32 v2, v2
	s_waitcnt_depctr 0xfff
	v_ldexp_f32 v2, v2, v3
	s_delay_alu instid0(VALU_DEP_1) | instskip(SKIP_1) | instid1(VALU_DEP_2)
	v_cndmask_b32_e32 v2, 0, v2, vcc_lo
	v_cmp_nlt_f32_e32 vcc_lo, 0x42b17218, v1
	v_cndmask_b32_e32 v1, 0x7f800000, v2, vcc_lo
	s_delay_alu instid0(VALU_DEP_1) | instskip(NEXT) | instid1(VALU_DEP_1)
	v_add_f32_e32 v1, 1.0, v1
	v_rcp_f32_e32 v1, v1
	s_waitcnt_depctr 0xfff
	v_fma_f32 v3, v1, -2.0, 1.0
.LBB86_10:                              ;   in Loop: Header=BB86_8 Depth=1
	s_and_not1_saveexec_b32 s4, s4
; %bb.11:                               ;   in Loop: Header=BB86_8 Depth=1
	v_mul_f32_e32 v1, v113, v113
	s_delay_alu instid0(VALU_DEP_1) | instskip(NEXT) | instid1(VALU_DEP_1)
	v_fmaak_f32 v2, s46, v1, 0x3ca908c9
	v_fmaak_f32 v2, v1, v2, 0xbd5c1c4e
	s_delay_alu instid0(VALU_DEP_1) | instskip(NEXT) | instid1(VALU_DEP_1)
	v_fmaak_f32 v2, v1, v2, 0x3e088382
	v_fmaak_f32 v2, v1, v2, 0xbeaaaa99
	s_delay_alu instid0(VALU_DEP_1) | instskip(NEXT) | instid1(VALU_DEP_1)
	v_mul_f32_e64 v2, |v113|, v2
	v_fma_f32 v3, v1, v2, |v113|
; %bb.12:                               ;   in Loop: Header=BB86_8 Depth=1
	s_or_b32 exec_lo, exec_lo, s4
	v_add_nc_u32_e32 v126, s16, v41
	s_and_not1_b32 vcc_lo, exec_lo, s43
	s_delay_alu instid0(VALU_DEP_1) | instskip(NEXT) | instid1(VALU_DEP_1)
	v_add_nc_u32_e32 v1, v126, v77
	v_ashrrev_i32_e32 v2, 31, v1
	s_cbranch_vccnz .LBB86_106
; %bb.13:                               ;   in Loop: Header=BB86_8 Depth=1
	s_delay_alu instid0(VALU_DEP_1) | instskip(NEXT) | instid1(VALU_DEP_1)
	v_lshlrev_b64 v[115:116], 1, v[1:2]
	v_add_co_u32 v115, vcc_lo, s40, v115
	s_delay_alu instid0(VALU_DEP_2) | instskip(SKIP_3) | instid1(VALU_DEP_1)
	v_add_co_ci_u32_e32 v116, vcc_lo, s41, v116, vcc_lo
	flat_load_u16 v4, v[115:116]
	s_waitcnt vmcnt(0) lgkmcnt(0)
	v_cvt_f32_f16_e32 v4, v4
	v_mul_f32_e32 v115, v24, v4
	v_cmp_ngt_f32_e64 s4, 0x3f200000, |v114|
                                        ; implicit-def: $vgpr4
	s_delay_alu instid0(VALU_DEP_1) | instskip(NEXT) | instid1(SALU_CYCLE_1)
	s_and_saveexec_b32 s5, s4
	s_xor_b32 s4, exec_lo, s5
	s_cbranch_execz .LBB86_15
.LBB86_14:                              ;   in Loop: Header=BB86_8 Depth=1
	v_add_f32_e64 v4, |v114|, |v114|
	s_delay_alu instid0(VALU_DEP_1) | instskip(SKIP_1) | instid1(VALU_DEP_2)
	v_mul_f32_e32 v116, 0x3fb8aa3b, v4
	v_cmp_ngt_f32_e32 vcc_lo, 0xc2ce8ed0, v4
	v_rndne_f32_e32 v117, v116
	v_fma_f32 v118, 0x3fb8aa3b, v4, -v116
	s_delay_alu instid0(VALU_DEP_2) | instskip(NEXT) | instid1(VALU_DEP_2)
	v_sub_f32_e32 v116, v116, v117
	v_fmac_f32_e32 v118, 0x32a5705f, v4
	v_cvt_i32_f32_e32 v117, v117
	s_delay_alu instid0(VALU_DEP_2) | instskip(NEXT) | instid1(VALU_DEP_1)
	v_add_f32_e32 v116, v116, v118
	v_exp_f32_e32 v116, v116
	s_waitcnt_depctr 0xfff
	v_ldexp_f32 v116, v116, v117
	s_delay_alu instid0(VALU_DEP_1) | instskip(SKIP_1) | instid1(VALU_DEP_2)
	v_cndmask_b32_e32 v116, 0, v116, vcc_lo
	v_cmp_nlt_f32_e32 vcc_lo, 0x42b17218, v4
	v_cndmask_b32_e32 v4, 0x7f800000, v116, vcc_lo
	s_delay_alu instid0(VALU_DEP_1) | instskip(NEXT) | instid1(VALU_DEP_1)
	v_add_f32_e32 v4, 1.0, v4
	v_rcp_f32_e32 v4, v4
	s_waitcnt_depctr 0xfff
	v_fma_f32 v4, v4, -2.0, 1.0
.LBB86_15:                              ;   in Loop: Header=BB86_8 Depth=1
	s_and_not1_saveexec_b32 s4, s4
	s_cbranch_execz .LBB86_18
; %bb.16:                               ;   in Loop: Header=BB86_8 Depth=1
	v_mul_f32_e32 v4, v114, v114
	s_delay_alu instid0(VALU_DEP_1) | instskip(NEXT) | instid1(VALU_DEP_1)
	v_fmaak_f32 v116, s46, v4, 0x3ca908c9
	v_fmaak_f32 v116, v4, v116, 0xbd5c1c4e
	s_delay_alu instid0(VALU_DEP_1) | instskip(NEXT) | instid1(VALU_DEP_1)
	v_fmaak_f32 v116, v4, v116, 0x3e088382
	v_fmaak_f32 v116, v4, v116, 0xbeaaaa99
	s_delay_alu instid0(VALU_DEP_1) | instskip(NEXT) | instid1(VALU_DEP_1)
	v_mul_f32_e64 v116, |v114|, v116
	v_fma_f32 v4, v4, v116, |v114|
	s_or_b32 exec_lo, exec_lo, s4
	s_delay_alu instid0(SALU_CYCLE_1)
	s_and_not1_b32 vcc_lo, exec_lo, s43
	s_cbranch_vccz .LBB86_19
.LBB86_17:                              ;   in Loop: Header=BB86_8 Depth=1
	v_mov_b32_e32 v116, 0
	s_branch .LBB86_20
.LBB86_18:                              ;   in Loop: Header=BB86_8 Depth=1
	s_or_b32 exec_lo, exec_lo, s4
	s_delay_alu instid0(SALU_CYCLE_1)
	s_and_not1_b32 vcc_lo, exec_lo, s43
	s_cbranch_vccnz .LBB86_17
.LBB86_19:                              ;   in Loop: Header=BB86_8 Depth=1
	v_lshlrev_b64 v[1:2], 1, v[1:2]
	s_delay_alu instid0(VALU_DEP_1) | instskip(NEXT) | instid1(VALU_DEP_2)
	v_add_co_u32 v1, vcc_lo, s44, v1
	v_add_co_ci_u32_e32 v2, vcc_lo, s45, v2, vcc_lo
	flat_load_u16 v1, v[1:2]
	s_waitcnt vmcnt(0) lgkmcnt(0)
	v_cvt_f32_f16_e32 v1, v1
	s_delay_alu instid0(VALU_DEP_1)
	v_mul_f32_e32 v116, v24, v1
.LBB86_20:                              ;   in Loop: Header=BB86_8 Depth=1
	v_bfi_b32 v1, 0x7fffffff, v3, v113
	v_bfi_b32 v2, 0x7fffffff, v4, v114
	v_xor_b32_e32 v3, 16, v94
	v_cmp_ngt_f32_e64 s4, 0x3f200000, |v111|
                                        ; implicit-def: $vgpr120
	s_delay_alu instid0(VALU_DEP_3) | instskip(NEXT) | instid1(VALU_DEP_3)
	v_dual_fmac_f32 v115, s23, v1 :: v_dual_fmac_f32 v116, s23, v2
	v_cmp_gt_i32_e32 vcc_lo, 32, v3
	s_delay_alu instid0(VALU_DEP_2) | instskip(NEXT) | instid1(VALU_DEP_1)
	v_dual_add_f32 v4, 0x40051340, v116 :: v_dual_cndmask_b32 v1, v94, v3
	v_dual_add_f32 v2, 0x40051340, v115 :: v_dual_lshlrev_b32 v3, 2, v1
	s_delay_alu instid0(VALU_DEP_1)
	v_max3_f32 v1, v105, v2, v4
	v_xor_b32_e32 v4, 8, v94
	ds_bpermute_b32 v2, v3, v1
	v_cmp_gt_i32_e32 vcc_lo, 32, v4
	s_waitcnt lgkmcnt(0)
	v_max_f32_e32 v2, v2, v2
	s_delay_alu instid0(VALU_DEP_1) | instskip(NEXT) | instid1(VALU_DEP_1)
	v_dual_cndmask_b32 v4, v94, v4 :: v_dual_max_f32 v1, v1, v2
	v_lshlrev_b32_e32 v117, 2, v4
	v_xor_b32_e32 v4, 4, v94
	ds_bpermute_b32 v2, v117, v1
	v_cmp_gt_i32_e32 vcc_lo, 32, v4
	s_waitcnt lgkmcnt(0)
	v_max_f32_e32 v2, v2, v2
	s_delay_alu instid0(VALU_DEP_1) | instskip(NEXT) | instid1(VALU_DEP_1)
	v_dual_cndmask_b32 v4, v94, v4 :: v_dual_max_f32 v1, v1, v2
	v_lshlrev_b32_e32 v114, 2, v4
	v_xor_b32_e32 v4, 2, v94
	ds_bpermute_b32 v2, v114, v1
	v_cmp_gt_i32_e32 vcc_lo, 32, v4
	s_waitcnt lgkmcnt(0)
	v_max_f32_e32 v2, v2, v2
	s_delay_alu instid0(VALU_DEP_1) | instskip(NEXT) | instid1(VALU_DEP_1)
	v_dual_max_f32 v1, v1, v2 :: v_dual_cndmask_b32 v4, v94, v4
	v_lshlrev_b32_e32 v113, 2, v4
	v_xor_b32_e32 v4, 1, v94
	ds_bpermute_b32 v2, v113, v1
	v_cmp_gt_i32_e32 vcc_lo, 32, v4
	v_cndmask_b32_e32 v4, v94, v4, vcc_lo
	s_delay_alu instid0(VALU_DEP_1) | instskip(SKIP_2) | instid1(VALU_DEP_1)
	v_lshlrev_b32_e32 v4, 2, v4
	s_waitcnt lgkmcnt(0)
	v_max_f32_e32 v2, v2, v2
	v_max_f32_e32 v127, v1, v2
	ds_bpermute_b32 v128, v4, v127
	s_and_saveexec_b32 s5, s4
	s_delay_alu instid0(SALU_CYCLE_1)
	s_xor_b32 s4, exec_lo, s5
	s_cbranch_execz .LBB86_22
; %bb.21:                               ;   in Loop: Header=BB86_8 Depth=1
	v_add_f32_e64 v1, |v111|, |v111|
	s_delay_alu instid0(VALU_DEP_1) | instskip(SKIP_1) | instid1(VALU_DEP_2)
	v_mul_f32_e32 v2, 0x3fb8aa3b, v1
	v_cmp_ngt_f32_e32 vcc_lo, 0xc2ce8ed0, v1
	v_rndne_f32_e32 v118, v2
	v_fma_f32 v119, 0x3fb8aa3b, v1, -v2
	s_delay_alu instid0(VALU_DEP_1) | instskip(SKIP_1) | instid1(VALU_DEP_2)
	v_dual_sub_f32 v2, v2, v118 :: v_dual_fmac_f32 v119, 0x32a5705f, v1
	v_cvt_i32_f32_e32 v118, v118
	v_add_f32_e32 v2, v2, v119
	s_delay_alu instid0(VALU_DEP_1) | instskip(SKIP_2) | instid1(VALU_DEP_1)
	v_exp_f32_e32 v2, v2
	s_waitcnt_depctr 0xfff
	v_ldexp_f32 v2, v2, v118
	v_cndmask_b32_e32 v2, 0, v2, vcc_lo
	v_cmp_nlt_f32_e32 vcc_lo, 0x42b17218, v1
	s_delay_alu instid0(VALU_DEP_2) | instskip(NEXT) | instid1(VALU_DEP_1)
	v_cndmask_b32_e32 v1, 0x7f800000, v2, vcc_lo
	v_add_f32_e32 v1, 1.0, v1
	s_delay_alu instid0(VALU_DEP_1)
	v_rcp_f32_e32 v1, v1
	s_waitcnt_depctr 0xfff
	v_fma_f32 v120, v1, -2.0, 1.0
.LBB86_22:                              ;   in Loop: Header=BB86_8 Depth=1
	s_and_not1_saveexec_b32 s4, s4
; %bb.23:                               ;   in Loop: Header=BB86_8 Depth=1
	v_mul_f32_e32 v1, v111, v111
	s_delay_alu instid0(VALU_DEP_1) | instskip(NEXT) | instid1(VALU_DEP_1)
	v_fmaak_f32 v2, s46, v1, 0x3ca908c9
	v_fmaak_f32 v2, v1, v2, 0xbd5c1c4e
	s_delay_alu instid0(VALU_DEP_1) | instskip(NEXT) | instid1(VALU_DEP_1)
	v_fmaak_f32 v2, v1, v2, 0x3e088382
	v_fmaak_f32 v2, v1, v2, 0xbeaaaa99
	s_delay_alu instid0(VALU_DEP_1) | instskip(NEXT) | instid1(VALU_DEP_1)
	v_mul_f32_e64 v2, |v111|, v2
	v_fma_f32 v120, v1, v2, |v111|
; %bb.24:                               ;   in Loop: Header=BB86_8 Depth=1
	s_or_b32 exec_lo, exec_lo, s4
	v_add_nc_u32_e32 v1, v126, v80
	s_and_not1_b32 vcc_lo, exec_lo, s43
	s_delay_alu instid0(VALU_DEP_1)
	v_ashrrev_i32_e32 v2, 31, v1
	s_cbranch_vccnz .LBB86_107
; %bb.25:                               ;   in Loop: Header=BB86_8 Depth=1
	s_delay_alu instid0(VALU_DEP_1) | instskip(NEXT) | instid1(VALU_DEP_1)
	v_lshlrev_b64 v[118:119], 1, v[1:2]
	v_add_co_u32 v118, vcc_lo, s40, v118
	s_delay_alu instid0(VALU_DEP_2) | instskip(SKIP_3) | instid1(VALU_DEP_1)
	v_add_co_ci_u32_e32 v119, vcc_lo, s41, v119, vcc_lo
	flat_load_u16 v118, v[118:119]
	s_waitcnt vmcnt(0) lgkmcnt(0)
	v_cvt_f32_f16_e32 v118, v118
	v_mul_f32_e32 v118, v24, v118
	v_cmp_ngt_f32_e64 s4, 0x3f200000, |v112|
                                        ; implicit-def: $vgpr121
	s_delay_alu instid0(VALU_DEP_1) | instskip(NEXT) | instid1(SALU_CYCLE_1)
	s_and_saveexec_b32 s5, s4
	s_xor_b32 s4, exec_lo, s5
	s_cbranch_execz .LBB86_27
.LBB86_26:                              ;   in Loop: Header=BB86_8 Depth=1
	v_add_f32_e64 v119, |v112|, |v112|
	s_delay_alu instid0(VALU_DEP_1) | instskip(SKIP_1) | instid1(VALU_DEP_2)
	v_mul_f32_e32 v121, 0x3fb8aa3b, v119
	v_cmp_ngt_f32_e32 vcc_lo, 0xc2ce8ed0, v119
	v_rndne_f32_e32 v122, v121
	v_fma_f32 v123, 0x3fb8aa3b, v119, -v121
	s_delay_alu instid0(VALU_DEP_2) | instskip(NEXT) | instid1(VALU_DEP_2)
	v_sub_f32_e32 v121, v121, v122
	v_fmac_f32_e32 v123, 0x32a5705f, v119
	v_cvt_i32_f32_e32 v122, v122
	s_delay_alu instid0(VALU_DEP_2) | instskip(NEXT) | instid1(VALU_DEP_1)
	v_add_f32_e32 v121, v121, v123
	v_exp_f32_e32 v121, v121
	s_waitcnt_depctr 0xfff
	v_ldexp_f32 v121, v121, v122
	s_delay_alu instid0(VALU_DEP_1) | instskip(SKIP_1) | instid1(VALU_DEP_2)
	v_cndmask_b32_e32 v121, 0, v121, vcc_lo
	v_cmp_nlt_f32_e32 vcc_lo, 0x42b17218, v119
	v_cndmask_b32_e32 v119, 0x7f800000, v121, vcc_lo
	s_delay_alu instid0(VALU_DEP_1) | instskip(NEXT) | instid1(VALU_DEP_1)
	v_add_f32_e32 v119, 1.0, v119
	v_rcp_f32_e32 v119, v119
	s_waitcnt_depctr 0xfff
	v_fma_f32 v121, v119, -2.0, 1.0
.LBB86_27:                              ;   in Loop: Header=BB86_8 Depth=1
	s_and_not1_saveexec_b32 s4, s4
	s_cbranch_execz .LBB86_30
; %bb.28:                               ;   in Loop: Header=BB86_8 Depth=1
	v_mul_f32_e32 v119, v112, v112
	s_delay_alu instid0(VALU_DEP_1) | instskip(NEXT) | instid1(VALU_DEP_1)
	v_fmaak_f32 v121, s46, v119, 0x3ca908c9
	v_fmaak_f32 v121, v119, v121, 0xbd5c1c4e
	s_delay_alu instid0(VALU_DEP_1) | instskip(NEXT) | instid1(VALU_DEP_1)
	v_fmaak_f32 v121, v119, v121, 0x3e088382
	v_fmaak_f32 v121, v119, v121, 0xbeaaaa99
	s_delay_alu instid0(VALU_DEP_1) | instskip(NEXT) | instid1(VALU_DEP_1)
	v_mul_f32_e64 v121, |v112|, v121
	v_fma_f32 v121, v119, v121, |v112|
	s_or_b32 exec_lo, exec_lo, s4
	s_delay_alu instid0(SALU_CYCLE_1)
	s_and_not1_b32 vcc_lo, exec_lo, s43
	s_cbranch_vccz .LBB86_31
.LBB86_29:                              ;   in Loop: Header=BB86_8 Depth=1
	v_mov_b32_e32 v119, 0
	s_branch .LBB86_32
.LBB86_30:                              ;   in Loop: Header=BB86_8 Depth=1
	s_or_b32 exec_lo, exec_lo, s4
	s_delay_alu instid0(SALU_CYCLE_1)
	s_and_not1_b32 vcc_lo, exec_lo, s43
	s_cbranch_vccnz .LBB86_29
.LBB86_31:                              ;   in Loop: Header=BB86_8 Depth=1
	v_lshlrev_b64 v[1:2], 1, v[1:2]
	s_delay_alu instid0(VALU_DEP_1) | instskip(NEXT) | instid1(VALU_DEP_2)
	v_add_co_u32 v1, vcc_lo, s44, v1
	v_add_co_ci_u32_e32 v2, vcc_lo, s45, v2, vcc_lo
	flat_load_u16 v1, v[1:2]
	s_waitcnt vmcnt(0) lgkmcnt(0)
	v_cvt_f32_f16_e32 v1, v1
	s_delay_alu instid0(VALU_DEP_1)
	v_mul_f32_e32 v119, v24, v1
.LBB86_32:                              ;   in Loop: Header=BB86_8 Depth=1
	v_bfi_b32 v1, 0x7fffffff, v120, v111
	v_bfi_b32 v2, 0x7fffffff, v121, v112
	v_cmp_ngt_f32_e64 s4, 0x3f200000, |v109|
                                        ; implicit-def: $vgpr120
	s_delay_alu instid0(VALU_DEP_2) | instskip(NEXT) | instid1(VALU_DEP_1)
	v_dual_fmac_f32 v118, s23, v1 :: v_dual_fmac_f32 v119, s23, v2
	v_dual_add_f32 v1, 0x40051340, v118 :: v_dual_add_f32 v2, 0x40051340, v119
	s_delay_alu instid0(VALU_DEP_1) | instskip(SKIP_3) | instid1(VALU_DEP_1)
	v_max3_f32 v1, v106, v1, v2
	ds_bpermute_b32 v2, v3, v1
	s_waitcnt lgkmcnt(0)
	v_max_f32_e32 v2, v2, v2
	v_max_f32_e32 v1, v1, v2
	ds_bpermute_b32 v2, v117, v1
	s_waitcnt lgkmcnt(0)
	v_max_f32_e32 v2, v2, v2
	s_delay_alu instid0(VALU_DEP_1) | instskip(SKIP_3) | instid1(VALU_DEP_1)
	v_max_f32_e32 v1, v1, v2
	ds_bpermute_b32 v2, v114, v1
	s_waitcnt lgkmcnt(0)
	v_max_f32_e32 v2, v2, v2
	v_max_f32_e32 v1, v1, v2
	ds_bpermute_b32 v2, v113, v1
	s_waitcnt lgkmcnt(0)
	v_max_f32_e32 v2, v2, v2
	s_delay_alu instid0(VALU_DEP_1) | instskip(SKIP_2) | instid1(SALU_CYCLE_1)
	v_max_f32_e32 v133, v1, v2
	ds_bpermute_b32 v134, v4, v133
	s_and_saveexec_b32 s5, s4
	s_xor_b32 s4, exec_lo, s5
	s_cbranch_execz .LBB86_34
; %bb.33:                               ;   in Loop: Header=BB86_8 Depth=1
	v_add_f32_e64 v1, |v109|, |v109|
	s_delay_alu instid0(VALU_DEP_1) | instskip(SKIP_1) | instid1(VALU_DEP_2)
	v_mul_f32_e32 v2, 0x3fb8aa3b, v1
	v_cmp_ngt_f32_e32 vcc_lo, 0xc2ce8ed0, v1
	v_rndne_f32_e32 v111, v2
	v_fma_f32 v112, 0x3fb8aa3b, v1, -v2
	s_delay_alu instid0(VALU_DEP_2) | instskip(NEXT) | instid1(VALU_DEP_2)
	v_sub_f32_e32 v2, v2, v111
	v_fmac_f32_e32 v112, 0x32a5705f, v1
	v_cvt_i32_f32_e32 v111, v111
	s_delay_alu instid0(VALU_DEP_2) | instskip(NEXT) | instid1(VALU_DEP_1)
	v_add_f32_e32 v2, v2, v112
	v_exp_f32_e32 v2, v2
	s_waitcnt_depctr 0xfff
	v_ldexp_f32 v2, v2, v111
	s_delay_alu instid0(VALU_DEP_1) | instskip(SKIP_1) | instid1(VALU_DEP_2)
	v_cndmask_b32_e32 v2, 0, v2, vcc_lo
	v_cmp_nlt_f32_e32 vcc_lo, 0x42b17218, v1
	v_cndmask_b32_e32 v1, 0x7f800000, v2, vcc_lo
	s_delay_alu instid0(VALU_DEP_1) | instskip(NEXT) | instid1(VALU_DEP_1)
	v_add_f32_e32 v1, 1.0, v1
	v_rcp_f32_e32 v1, v1
	s_waitcnt_depctr 0xfff
	v_fma_f32 v120, v1, -2.0, 1.0
.LBB86_34:                              ;   in Loop: Header=BB86_8 Depth=1
	s_and_not1_saveexec_b32 s4, s4
; %bb.35:                               ;   in Loop: Header=BB86_8 Depth=1
	v_mul_f32_e32 v1, v109, v109
	s_delay_alu instid0(VALU_DEP_1) | instskip(NEXT) | instid1(VALU_DEP_1)
	v_fmaak_f32 v2, s46, v1, 0x3ca908c9
	v_fmaak_f32 v2, v1, v2, 0xbd5c1c4e
	s_delay_alu instid0(VALU_DEP_1) | instskip(NEXT) | instid1(VALU_DEP_1)
	v_fmaak_f32 v2, v1, v2, 0x3e088382
	v_fmaak_f32 v2, v1, v2, 0xbeaaaa99
	s_delay_alu instid0(VALU_DEP_1) | instskip(NEXT) | instid1(VALU_DEP_1)
	v_mul_f32_e64 v2, |v109|, v2
	v_fma_f32 v120, v1, v2, |v109|
; %bb.36:                               ;   in Loop: Header=BB86_8 Depth=1
	s_or_b32 exec_lo, exec_lo, s4
	v_add_nc_u32_e32 v1, v126, v81
	s_and_not1_b32 vcc_lo, exec_lo, s43
	s_delay_alu instid0(VALU_DEP_1)
	v_ashrrev_i32_e32 v2, 31, v1
	s_cbranch_vccnz .LBB86_108
; %bb.37:                               ;   in Loop: Header=BB86_8 Depth=1
	s_delay_alu instid0(VALU_DEP_1) | instskip(NEXT) | instid1(VALU_DEP_1)
	v_lshlrev_b64 v[111:112], 1, v[1:2]
	v_add_co_u32 v111, vcc_lo, s40, v111
	s_delay_alu instid0(VALU_DEP_2) | instskip(SKIP_3) | instid1(VALU_DEP_1)
	v_add_co_ci_u32_e32 v112, vcc_lo, s41, v112, vcc_lo
	flat_load_u16 v111, v[111:112]
	s_waitcnt vmcnt(0) lgkmcnt(0)
	v_cvt_f32_f16_e32 v111, v111
	v_mul_f32_e32 v111, v24, v111
	v_cmp_ngt_f32_e64 s4, 0x3f200000, |v110|
                                        ; implicit-def: $vgpr121
	s_delay_alu instid0(VALU_DEP_1) | instskip(NEXT) | instid1(SALU_CYCLE_1)
	s_and_saveexec_b32 s5, s4
	s_xor_b32 s4, exec_lo, s5
	s_cbranch_execz .LBB86_39
.LBB86_38:                              ;   in Loop: Header=BB86_8 Depth=1
	v_add_f32_e64 v112, |v110|, |v110|
	s_delay_alu instid0(VALU_DEP_1) | instskip(SKIP_1) | instid1(VALU_DEP_2)
	v_mul_f32_e32 v121, 0x3fb8aa3b, v112
	v_cmp_ngt_f32_e32 vcc_lo, 0xc2ce8ed0, v112
	v_rndne_f32_e32 v122, v121
	v_fma_f32 v123, 0x3fb8aa3b, v112, -v121
	s_delay_alu instid0(VALU_DEP_2) | instskip(NEXT) | instid1(VALU_DEP_2)
	v_sub_f32_e32 v121, v121, v122
	v_fmac_f32_e32 v123, 0x32a5705f, v112
	v_cvt_i32_f32_e32 v122, v122
	s_delay_alu instid0(VALU_DEP_2) | instskip(NEXT) | instid1(VALU_DEP_1)
	v_add_f32_e32 v121, v121, v123
	v_exp_f32_e32 v121, v121
	s_waitcnt_depctr 0xfff
	v_ldexp_f32 v121, v121, v122
	s_delay_alu instid0(VALU_DEP_1) | instskip(SKIP_1) | instid1(VALU_DEP_2)
	v_cndmask_b32_e32 v121, 0, v121, vcc_lo
	v_cmp_nlt_f32_e32 vcc_lo, 0x42b17218, v112
	v_cndmask_b32_e32 v112, 0x7f800000, v121, vcc_lo
	s_delay_alu instid0(VALU_DEP_1) | instskip(NEXT) | instid1(VALU_DEP_1)
	v_add_f32_e32 v112, 1.0, v112
	v_rcp_f32_e32 v112, v112
	s_waitcnt_depctr 0xfff
	v_fma_f32 v121, v112, -2.0, 1.0
.LBB86_39:                              ;   in Loop: Header=BB86_8 Depth=1
	s_and_not1_saveexec_b32 s4, s4
	s_cbranch_execz .LBB86_42
; %bb.40:                               ;   in Loop: Header=BB86_8 Depth=1
	v_mul_f32_e32 v112, v110, v110
	s_delay_alu instid0(VALU_DEP_1) | instskip(NEXT) | instid1(VALU_DEP_1)
	v_fmaak_f32 v121, s46, v112, 0x3ca908c9
	v_fmaak_f32 v121, v112, v121, 0xbd5c1c4e
	s_delay_alu instid0(VALU_DEP_1) | instskip(NEXT) | instid1(VALU_DEP_1)
	v_fmaak_f32 v121, v112, v121, 0x3e088382
	v_fmaak_f32 v121, v112, v121, 0xbeaaaa99
	s_delay_alu instid0(VALU_DEP_1) | instskip(NEXT) | instid1(VALU_DEP_1)
	v_mul_f32_e64 v121, |v110|, v121
	v_fma_f32 v121, v112, v121, |v110|
	s_or_b32 exec_lo, exec_lo, s4
	s_delay_alu instid0(SALU_CYCLE_1)
	s_and_not1_b32 vcc_lo, exec_lo, s43
	s_cbranch_vccz .LBB86_43
.LBB86_41:                              ;   in Loop: Header=BB86_8 Depth=1
	v_mov_b32_e32 v112, 0
	s_branch .LBB86_44
.LBB86_42:                              ;   in Loop: Header=BB86_8 Depth=1
	s_or_b32 exec_lo, exec_lo, s4
	s_delay_alu instid0(SALU_CYCLE_1)
	s_and_not1_b32 vcc_lo, exec_lo, s43
	s_cbranch_vccnz .LBB86_41
.LBB86_43:                              ;   in Loop: Header=BB86_8 Depth=1
	v_lshlrev_b64 v[1:2], 1, v[1:2]
	s_delay_alu instid0(VALU_DEP_1) | instskip(NEXT) | instid1(VALU_DEP_2)
	v_add_co_u32 v1, vcc_lo, s44, v1
	v_add_co_ci_u32_e32 v2, vcc_lo, s45, v2, vcc_lo
	flat_load_u16 v1, v[1:2]
	s_waitcnt vmcnt(0) lgkmcnt(0)
	v_cvt_f32_f16_e32 v1, v1
	s_delay_alu instid0(VALU_DEP_1)
	v_mul_f32_e32 v112, v24, v1
.LBB86_44:                              ;   in Loop: Header=BB86_8 Depth=1
	v_bfi_b32 v1, 0x7fffffff, v120, v109
	v_bfi_b32 v2, 0x7fffffff, v121, v110
	v_cmp_ngt_f32_e64 s4, 0x3f200000, |v107|
                                        ; implicit-def: $vgpr120
	s_delay_alu instid0(VALU_DEP_2) | instskip(NEXT) | instid1(VALU_DEP_1)
	v_dual_fmac_f32 v111, s23, v1 :: v_dual_fmac_f32 v112, s23, v2
	v_dual_add_f32 v1, 0x40051340, v111 :: v_dual_add_f32 v2, 0x40051340, v112
	s_delay_alu instid0(VALU_DEP_1) | instskip(SKIP_3) | instid1(VALU_DEP_1)
	v_max3_f32 v1, v103, v1, v2
	ds_bpermute_b32 v2, v3, v1
	s_waitcnt lgkmcnt(0)
	v_max_f32_e32 v2, v2, v2
	v_max_f32_e32 v1, v1, v2
	ds_bpermute_b32 v2, v117, v1
	s_waitcnt lgkmcnt(0)
	v_max_f32_e32 v2, v2, v2
	s_delay_alu instid0(VALU_DEP_1) | instskip(SKIP_3) | instid1(VALU_DEP_1)
	v_max_f32_e32 v1, v1, v2
	ds_bpermute_b32 v2, v114, v1
	s_waitcnt lgkmcnt(0)
	v_max_f32_e32 v2, v2, v2
	v_max_f32_e32 v1, v1, v2
	ds_bpermute_b32 v2, v113, v1
	s_waitcnt lgkmcnt(0)
	v_max_f32_e32 v2, v2, v2
	s_delay_alu instid0(VALU_DEP_1) | instskip(SKIP_2) | instid1(SALU_CYCLE_1)
	v_max_f32_e32 v122, v1, v2
	ds_bpermute_b32 v135, v4, v122
	s_and_saveexec_b32 s5, s4
	s_xor_b32 s4, exec_lo, s5
	s_cbranch_execz .LBB86_46
; %bb.45:                               ;   in Loop: Header=BB86_8 Depth=1
	v_add_f32_e64 v1, |v107|, |v107|
	s_delay_alu instid0(VALU_DEP_1) | instskip(SKIP_1) | instid1(VALU_DEP_2)
	v_mul_f32_e32 v2, 0x3fb8aa3b, v1
	v_cmp_ngt_f32_e32 vcc_lo, 0xc2ce8ed0, v1
	v_rndne_f32_e32 v109, v2
	v_fma_f32 v110, 0x3fb8aa3b, v1, -v2
	s_delay_alu instid0(VALU_DEP_2) | instskip(NEXT) | instid1(VALU_DEP_2)
	v_sub_f32_e32 v2, v2, v109
	v_fmac_f32_e32 v110, 0x32a5705f, v1
	v_cvt_i32_f32_e32 v109, v109
	s_delay_alu instid0(VALU_DEP_2) | instskip(NEXT) | instid1(VALU_DEP_1)
	v_add_f32_e32 v2, v2, v110
	v_exp_f32_e32 v2, v2
	s_waitcnt_depctr 0xfff
	v_ldexp_f32 v2, v2, v109
	s_delay_alu instid0(VALU_DEP_1) | instskip(SKIP_1) | instid1(VALU_DEP_2)
	v_cndmask_b32_e32 v2, 0, v2, vcc_lo
	v_cmp_nlt_f32_e32 vcc_lo, 0x42b17218, v1
	v_cndmask_b32_e32 v1, 0x7f800000, v2, vcc_lo
	s_delay_alu instid0(VALU_DEP_1) | instskip(NEXT) | instid1(VALU_DEP_1)
	v_add_f32_e32 v1, 1.0, v1
	v_rcp_f32_e32 v1, v1
	s_waitcnt_depctr 0xfff
	v_fma_f32 v120, v1, -2.0, 1.0
.LBB86_46:                              ;   in Loop: Header=BB86_8 Depth=1
	s_and_not1_saveexec_b32 s4, s4
; %bb.47:                               ;   in Loop: Header=BB86_8 Depth=1
	v_mul_f32_e32 v1, v107, v107
	s_delay_alu instid0(VALU_DEP_1) | instskip(NEXT) | instid1(VALU_DEP_1)
	v_fmaak_f32 v2, s46, v1, 0x3ca908c9
	v_fmaak_f32 v2, v1, v2, 0xbd5c1c4e
	s_delay_alu instid0(VALU_DEP_1) | instskip(NEXT) | instid1(VALU_DEP_1)
	v_fmaak_f32 v2, v1, v2, 0x3e088382
	v_fmaak_f32 v2, v1, v2, 0xbeaaaa99
	s_delay_alu instid0(VALU_DEP_1) | instskip(NEXT) | instid1(VALU_DEP_1)
	v_mul_f32_e64 v2, |v107|, v2
	v_fma_f32 v120, v1, v2, |v107|
; %bb.48:                               ;   in Loop: Header=BB86_8 Depth=1
	s_or_b32 exec_lo, exec_lo, s4
	v_add_nc_u32_e32 v1, v126, v82
	s_and_not1_b32 vcc_lo, exec_lo, s43
	s_delay_alu instid0(VALU_DEP_1)
	v_ashrrev_i32_e32 v2, 31, v1
	s_cbranch_vccnz .LBB86_109
; %bb.49:                               ;   in Loop: Header=BB86_8 Depth=1
	s_delay_alu instid0(VALU_DEP_1) | instskip(NEXT) | instid1(VALU_DEP_1)
	v_lshlrev_b64 v[109:110], 1, v[1:2]
	v_add_co_u32 v109, vcc_lo, s40, v109
	s_delay_alu instid0(VALU_DEP_2) | instskip(SKIP_3) | instid1(VALU_DEP_1)
	v_add_co_ci_u32_e32 v110, vcc_lo, s41, v110, vcc_lo
	flat_load_u16 v109, v[109:110]
	s_waitcnt vmcnt(0) lgkmcnt(0)
	v_cvt_f32_f16_e32 v109, v109
	v_mul_f32_e32 v109, v24, v109
	v_cmp_ngt_f32_e64 s4, 0x3f200000, |v108|
                                        ; implicit-def: $vgpr121
	s_delay_alu instid0(VALU_DEP_1) | instskip(NEXT) | instid1(SALU_CYCLE_1)
	s_and_saveexec_b32 s5, s4
	s_xor_b32 s4, exec_lo, s5
	s_cbranch_execz .LBB86_51
.LBB86_50:                              ;   in Loop: Header=BB86_8 Depth=1
	v_add_f32_e64 v110, |v108|, |v108|
	s_delay_alu instid0(VALU_DEP_1) | instskip(SKIP_1) | instid1(VALU_DEP_2)
	v_mul_f32_e32 v121, 0x3fb8aa3b, v110
	v_cmp_ngt_f32_e32 vcc_lo, 0xc2ce8ed0, v110
	v_rndne_f32_e32 v123, v121
	v_fma_f32 v124, 0x3fb8aa3b, v110, -v121
	s_delay_alu instid0(VALU_DEP_1) | instskip(SKIP_1) | instid1(VALU_DEP_2)
	v_dual_sub_f32 v121, v121, v123 :: v_dual_fmac_f32 v124, 0x32a5705f, v110
	v_cvt_i32_f32_e32 v123, v123
	v_add_f32_e32 v121, v121, v124
	s_delay_alu instid0(VALU_DEP_1) | instskip(SKIP_2) | instid1(VALU_DEP_1)
	v_exp_f32_e32 v121, v121
	s_waitcnt_depctr 0xfff
	v_ldexp_f32 v121, v121, v123
	v_cndmask_b32_e32 v121, 0, v121, vcc_lo
	v_cmp_nlt_f32_e32 vcc_lo, 0x42b17218, v110
	s_delay_alu instid0(VALU_DEP_2) | instskip(NEXT) | instid1(VALU_DEP_1)
	v_cndmask_b32_e32 v110, 0x7f800000, v121, vcc_lo
	v_add_f32_e32 v110, 1.0, v110
	s_delay_alu instid0(VALU_DEP_1)
	v_rcp_f32_e32 v110, v110
	s_waitcnt_depctr 0xfff
	v_fma_f32 v121, v110, -2.0, 1.0
.LBB86_51:                              ;   in Loop: Header=BB86_8 Depth=1
	s_and_not1_saveexec_b32 s4, s4
	s_cbranch_execz .LBB86_54
; %bb.52:                               ;   in Loop: Header=BB86_8 Depth=1
	v_mul_f32_e32 v110, v108, v108
	s_delay_alu instid0(VALU_DEP_1) | instskip(NEXT) | instid1(VALU_DEP_1)
	v_fmaak_f32 v121, s46, v110, 0x3ca908c9
	v_fmaak_f32 v121, v110, v121, 0xbd5c1c4e
	s_delay_alu instid0(VALU_DEP_1) | instskip(NEXT) | instid1(VALU_DEP_1)
	v_fmaak_f32 v121, v110, v121, 0x3e088382
	v_fmaak_f32 v121, v110, v121, 0xbeaaaa99
	s_delay_alu instid0(VALU_DEP_1) | instskip(NEXT) | instid1(VALU_DEP_1)
	v_mul_f32_e64 v121, |v108|, v121
	v_fma_f32 v121, v110, v121, |v108|
	s_or_b32 exec_lo, exec_lo, s4
	s_delay_alu instid0(SALU_CYCLE_1)
	s_and_not1_b32 vcc_lo, exec_lo, s43
	s_cbranch_vccz .LBB86_55
.LBB86_53:                              ;   in Loop: Header=BB86_8 Depth=1
	v_mov_b32_e32 v110, 0
	s_branch .LBB86_56
.LBB86_54:                              ;   in Loop: Header=BB86_8 Depth=1
	s_or_b32 exec_lo, exec_lo, s4
	s_delay_alu instid0(SALU_CYCLE_1)
	s_and_not1_b32 vcc_lo, exec_lo, s43
	s_cbranch_vccnz .LBB86_53
.LBB86_55:                              ;   in Loop: Header=BB86_8 Depth=1
	v_lshlrev_b64 v[1:2], 1, v[1:2]
	s_delay_alu instid0(VALU_DEP_1) | instskip(NEXT) | instid1(VALU_DEP_2)
	v_add_co_u32 v1, vcc_lo, s44, v1
	v_add_co_ci_u32_e32 v2, vcc_lo, s45, v2, vcc_lo
	flat_load_u16 v1, v[1:2]
	s_waitcnt vmcnt(0) lgkmcnt(0)
	v_cvt_f32_f16_e32 v1, v1
	s_delay_alu instid0(VALU_DEP_1)
	v_mul_f32_e32 v110, v24, v1
.LBB86_56:                              ;   in Loop: Header=BB86_8 Depth=1
	v_bfi_b32 v1, 0x7fffffff, v120, v107
	v_bfi_b32 v2, 0x7fffffff, v121, v108
	v_cmp_ngt_f32_e64 s4, 0x3f200000, |v73|
                                        ; implicit-def: $vgpr123
	s_delay_alu instid0(VALU_DEP_2) | instskip(NEXT) | instid1(VALU_DEP_1)
	v_dual_fmac_f32 v109, s23, v1 :: v_dual_fmac_f32 v110, s23, v2
	v_dual_add_f32 v1, 0x40051340, v109 :: v_dual_add_f32 v2, 0x40051340, v110
	s_delay_alu instid0(VALU_DEP_1) | instskip(SKIP_3) | instid1(VALU_DEP_1)
	v_max3_f32 v1, v102, v1, v2
	ds_bpermute_b32 v2, v3, v1
	s_waitcnt lgkmcnt(0)
	v_max_f32_e32 v2, v2, v2
	v_max_f32_e32 v1, v1, v2
	ds_bpermute_b32 v2, v117, v1
	s_waitcnt lgkmcnt(0)
	v_max_f32_e32 v2, v2, v2
	s_delay_alu instid0(VALU_DEP_1) | instskip(SKIP_3) | instid1(VALU_DEP_1)
	v_max_f32_e32 v1, v1, v2
	ds_bpermute_b32 v2, v114, v1
	s_waitcnt lgkmcnt(0)
	v_max_f32_e32 v2, v2, v2
	v_max_f32_e32 v1, v1, v2
	ds_bpermute_b32 v2, v113, v1
	s_waitcnt lgkmcnt(0)
	v_max_f32_e32 v2, v2, v2
	s_delay_alu instid0(VALU_DEP_1) | instskip(SKIP_2) | instid1(SALU_CYCLE_1)
	v_max_f32_e32 v120, v1, v2
	ds_bpermute_b32 v121, v4, v120
	s_and_saveexec_b32 s5, s4
	s_xor_b32 s4, exec_lo, s5
	s_cbranch_execz .LBB86_58
; %bb.57:                               ;   in Loop: Header=BB86_8 Depth=1
	v_add_f32_e64 v1, |v73|, |v73|
	s_delay_alu instid0(VALU_DEP_1) | instskip(SKIP_1) | instid1(VALU_DEP_2)
	v_mul_f32_e32 v2, 0x3fb8aa3b, v1
	v_cmp_ngt_f32_e32 vcc_lo, 0xc2ce8ed0, v1
	v_rndne_f32_e32 v107, v2
	v_fma_f32 v108, 0x3fb8aa3b, v1, -v2
	s_delay_alu instid0(VALU_DEP_2) | instskip(NEXT) | instid1(VALU_DEP_2)
	v_sub_f32_e32 v2, v2, v107
	v_fmac_f32_e32 v108, 0x32a5705f, v1
	v_cvt_i32_f32_e32 v107, v107
	s_delay_alu instid0(VALU_DEP_2) | instskip(NEXT) | instid1(VALU_DEP_1)
	v_add_f32_e32 v2, v2, v108
	v_exp_f32_e32 v2, v2
	s_waitcnt_depctr 0xfff
	v_ldexp_f32 v2, v2, v107
	s_delay_alu instid0(VALU_DEP_1) | instskip(SKIP_1) | instid1(VALU_DEP_2)
	v_cndmask_b32_e32 v2, 0, v2, vcc_lo
	v_cmp_nlt_f32_e32 vcc_lo, 0x42b17218, v1
	v_cndmask_b32_e32 v1, 0x7f800000, v2, vcc_lo
	s_delay_alu instid0(VALU_DEP_1) | instskip(NEXT) | instid1(VALU_DEP_1)
	v_add_f32_e32 v1, 1.0, v1
	v_rcp_f32_e32 v1, v1
	s_waitcnt_depctr 0xfff
	v_fma_f32 v123, v1, -2.0, 1.0
.LBB86_58:                              ;   in Loop: Header=BB86_8 Depth=1
	s_and_not1_saveexec_b32 s4, s4
; %bb.59:                               ;   in Loop: Header=BB86_8 Depth=1
	v_mul_f32_e32 v1, v73, v73
	s_delay_alu instid0(VALU_DEP_1) | instskip(NEXT) | instid1(VALU_DEP_1)
	v_fmaak_f32 v2, s46, v1, 0x3ca908c9
	v_fmaak_f32 v2, v1, v2, 0xbd5c1c4e
	s_delay_alu instid0(VALU_DEP_1) | instskip(NEXT) | instid1(VALU_DEP_1)
	v_fmaak_f32 v2, v1, v2, 0x3e088382
	v_fmaak_f32 v2, v1, v2, 0xbeaaaa99
	s_delay_alu instid0(VALU_DEP_1) | instskip(NEXT) | instid1(VALU_DEP_1)
	v_mul_f32_e64 v2, |v73|, v2
	v_fma_f32 v123, v1, v2, |v73|
; %bb.60:                               ;   in Loop: Header=BB86_8 Depth=1
	s_or_b32 exec_lo, exec_lo, s4
	v_add_nc_u32_e32 v1, v126, v83
	s_and_not1_b32 vcc_lo, exec_lo, s43
	s_delay_alu instid0(VALU_DEP_1)
	v_ashrrev_i32_e32 v2, 31, v1
	s_cbranch_vccnz .LBB86_110
; %bb.61:                               ;   in Loop: Header=BB86_8 Depth=1
	s_delay_alu instid0(VALU_DEP_1) | instskip(NEXT) | instid1(VALU_DEP_1)
	v_lshlrev_b64 v[107:108], 1, v[1:2]
	v_add_co_u32 v107, vcc_lo, s40, v107
	s_delay_alu instid0(VALU_DEP_2) | instskip(SKIP_3) | instid1(VALU_DEP_1)
	v_add_co_ci_u32_e32 v108, vcc_lo, s41, v108, vcc_lo
	flat_load_u16 v107, v[107:108]
	s_waitcnt vmcnt(0) lgkmcnt(0)
	v_cvt_f32_f16_e32 v107, v107
	v_mul_f32_e32 v107, v24, v107
	v_cmp_ngt_f32_e64 s4, 0x3f200000, |v74|
                                        ; implicit-def: $vgpr124
	s_delay_alu instid0(VALU_DEP_1) | instskip(NEXT) | instid1(SALU_CYCLE_1)
	s_and_saveexec_b32 s5, s4
	s_xor_b32 s4, exec_lo, s5
	s_cbranch_execz .LBB86_63
.LBB86_62:                              ;   in Loop: Header=BB86_8 Depth=1
	v_add_f32_e64 v108, |v74|, |v74|
	s_delay_alu instid0(VALU_DEP_1) | instskip(SKIP_1) | instid1(VALU_DEP_2)
	v_mul_f32_e32 v124, 0x3fb8aa3b, v108
	v_cmp_ngt_f32_e32 vcc_lo, 0xc2ce8ed0, v108
	v_rndne_f32_e32 v125, v124
	v_fma_f32 v129, 0x3fb8aa3b, v108, -v124
	s_delay_alu instid0(VALU_DEP_1) | instskip(SKIP_1) | instid1(VALU_DEP_2)
	v_dual_sub_f32 v124, v124, v125 :: v_dual_fmac_f32 v129, 0x32a5705f, v108
	v_cvt_i32_f32_e32 v125, v125
	v_add_f32_e32 v124, v124, v129
	s_delay_alu instid0(VALU_DEP_1) | instskip(SKIP_2) | instid1(VALU_DEP_1)
	v_exp_f32_e32 v124, v124
	s_waitcnt_depctr 0xfff
	v_ldexp_f32 v124, v124, v125
	v_cndmask_b32_e32 v124, 0, v124, vcc_lo
	v_cmp_nlt_f32_e32 vcc_lo, 0x42b17218, v108
	s_delay_alu instid0(VALU_DEP_2) | instskip(NEXT) | instid1(VALU_DEP_1)
	v_cndmask_b32_e32 v108, 0x7f800000, v124, vcc_lo
	v_add_f32_e32 v108, 1.0, v108
	s_delay_alu instid0(VALU_DEP_1)
	v_rcp_f32_e32 v108, v108
	s_waitcnt_depctr 0xfff
	v_fma_f32 v124, v108, -2.0, 1.0
.LBB86_63:                              ;   in Loop: Header=BB86_8 Depth=1
	s_and_not1_saveexec_b32 s4, s4
	s_cbranch_execz .LBB86_66
; %bb.64:                               ;   in Loop: Header=BB86_8 Depth=1
	v_mul_f32_e32 v108, v74, v74
	s_delay_alu instid0(VALU_DEP_1) | instskip(NEXT) | instid1(VALU_DEP_1)
	v_fmaak_f32 v124, s46, v108, 0x3ca908c9
	v_fmaak_f32 v124, v108, v124, 0xbd5c1c4e
	s_delay_alu instid0(VALU_DEP_1) | instskip(NEXT) | instid1(VALU_DEP_1)
	v_fmaak_f32 v124, v108, v124, 0x3e088382
	v_fmaak_f32 v124, v108, v124, 0xbeaaaa99
	s_delay_alu instid0(VALU_DEP_1) | instskip(NEXT) | instid1(VALU_DEP_1)
	v_mul_f32_e64 v124, |v74|, v124
	v_fma_f32 v124, v108, v124, |v74|
	s_or_b32 exec_lo, exec_lo, s4
	s_delay_alu instid0(SALU_CYCLE_1)
	s_and_not1_b32 vcc_lo, exec_lo, s43
	s_cbranch_vccz .LBB86_67
.LBB86_65:                              ;   in Loop: Header=BB86_8 Depth=1
	v_mov_b32_e32 v108, 0
	s_branch .LBB86_68
.LBB86_66:                              ;   in Loop: Header=BB86_8 Depth=1
	s_or_b32 exec_lo, exec_lo, s4
	s_delay_alu instid0(SALU_CYCLE_1)
	s_and_not1_b32 vcc_lo, exec_lo, s43
	s_cbranch_vccnz .LBB86_65
.LBB86_67:                              ;   in Loop: Header=BB86_8 Depth=1
	v_lshlrev_b64 v[1:2], 1, v[1:2]
	s_delay_alu instid0(VALU_DEP_1) | instskip(NEXT) | instid1(VALU_DEP_2)
	v_add_co_u32 v1, vcc_lo, s44, v1
	v_add_co_ci_u32_e32 v2, vcc_lo, s45, v2, vcc_lo
	flat_load_u16 v1, v[1:2]
	s_waitcnt vmcnt(0) lgkmcnt(0)
	v_cvt_f32_f16_e32 v1, v1
	s_delay_alu instid0(VALU_DEP_1)
	v_mul_f32_e32 v108, v24, v1
.LBB86_68:                              ;   in Loop: Header=BB86_8 Depth=1
	v_bfi_b32 v1, 0x7fffffff, v123, v73
	v_bfi_b32 v2, 0x7fffffff, v124, v74
	v_cmp_ngt_f32_e64 s4, 0x3f200000, |v70|
                                        ; implicit-def: $vgpr125
	s_delay_alu instid0(VALU_DEP_2) | instskip(NEXT) | instid1(VALU_DEP_1)
	v_dual_fmac_f32 v107, s23, v1 :: v_dual_fmac_f32 v108, s23, v2
	v_dual_add_f32 v1, 0x40051340, v107 :: v_dual_add_f32 v2, 0x40051340, v108
	s_delay_alu instid0(VALU_DEP_1) | instskip(SKIP_3) | instid1(VALU_DEP_1)
	v_max3_f32 v1, v101, v1, v2
	ds_bpermute_b32 v2, v3, v1
	s_waitcnt lgkmcnt(0)
	v_max_f32_e32 v2, v2, v2
	v_max_f32_e32 v1, v1, v2
	ds_bpermute_b32 v2, v117, v1
	s_waitcnt lgkmcnt(0)
	v_max_f32_e32 v2, v2, v2
	s_delay_alu instid0(VALU_DEP_1) | instskip(SKIP_3) | instid1(VALU_DEP_1)
	v_max_f32_e32 v1, v1, v2
	ds_bpermute_b32 v2, v114, v1
	s_waitcnt lgkmcnt(0)
	v_max_f32_e32 v2, v2, v2
	v_max_f32_e32 v1, v1, v2
	ds_bpermute_b32 v2, v113, v1
	s_waitcnt lgkmcnt(0)
	v_max_f32_e32 v2, v2, v2
	s_delay_alu instid0(VALU_DEP_1) | instskip(SKIP_2) | instid1(SALU_CYCLE_1)
	v_max_f32_e32 v73, v1, v2
	ds_bpermute_b32 v74, v4, v73
	s_and_saveexec_b32 s5, s4
	s_xor_b32 s4, exec_lo, s5
	s_cbranch_execz .LBB86_70
; %bb.69:                               ;   in Loop: Header=BB86_8 Depth=1
	v_add_f32_e64 v1, |v70|, |v70|
	s_delay_alu instid0(VALU_DEP_1) | instskip(SKIP_1) | instid1(VALU_DEP_2)
	v_mul_f32_e32 v2, 0x3fb8aa3b, v1
	v_cmp_ngt_f32_e32 vcc_lo, 0xc2ce8ed0, v1
	v_rndne_f32_e32 v123, v2
	v_fma_f32 v124, 0x3fb8aa3b, v1, -v2
	s_delay_alu instid0(VALU_DEP_2) | instskip(NEXT) | instid1(VALU_DEP_2)
	v_sub_f32_e32 v2, v2, v123
	v_fmac_f32_e32 v124, 0x32a5705f, v1
	v_cvt_i32_f32_e32 v123, v123
	s_delay_alu instid0(VALU_DEP_2) | instskip(NEXT) | instid1(VALU_DEP_1)
	v_add_f32_e32 v2, v2, v124
	v_exp_f32_e32 v2, v2
	s_waitcnt_depctr 0xfff
	v_ldexp_f32 v2, v2, v123
	s_delay_alu instid0(VALU_DEP_1) | instskip(SKIP_1) | instid1(VALU_DEP_2)
	v_cndmask_b32_e32 v2, 0, v2, vcc_lo
	v_cmp_nlt_f32_e32 vcc_lo, 0x42b17218, v1
	v_cndmask_b32_e32 v1, 0x7f800000, v2, vcc_lo
	s_delay_alu instid0(VALU_DEP_1) | instskip(NEXT) | instid1(VALU_DEP_1)
	v_add_f32_e32 v1, 1.0, v1
	v_rcp_f32_e32 v1, v1
	s_waitcnt_depctr 0xfff
	v_fma_f32 v125, v1, -2.0, 1.0
.LBB86_70:                              ;   in Loop: Header=BB86_8 Depth=1
	s_and_not1_saveexec_b32 s4, s4
; %bb.71:                               ;   in Loop: Header=BB86_8 Depth=1
	v_mul_f32_e32 v1, v70, v70
	s_delay_alu instid0(VALU_DEP_1) | instskip(NEXT) | instid1(VALU_DEP_1)
	v_fmaak_f32 v2, s46, v1, 0x3ca908c9
	v_fmaak_f32 v2, v1, v2, 0xbd5c1c4e
	s_delay_alu instid0(VALU_DEP_1) | instskip(NEXT) | instid1(VALU_DEP_1)
	v_fmaak_f32 v2, v1, v2, 0x3e088382
	v_fmaak_f32 v2, v1, v2, 0xbeaaaa99
	s_delay_alu instid0(VALU_DEP_1) | instskip(NEXT) | instid1(VALU_DEP_1)
	v_mul_f32_e64 v2, |v70|, v2
	v_fma_f32 v125, v1, v2, |v70|
; %bb.72:                               ;   in Loop: Header=BB86_8 Depth=1
	s_or_b32 exec_lo, exec_lo, s4
	v_add_nc_u32_e32 v1, v126, v84
	s_and_not1_b32 vcc_lo, exec_lo, s43
	s_delay_alu instid0(VALU_DEP_1)
	v_ashrrev_i32_e32 v2, 31, v1
	s_cbranch_vccnz .LBB86_111
; %bb.73:                               ;   in Loop: Header=BB86_8 Depth=1
	s_delay_alu instid0(VALU_DEP_1) | instskip(NEXT) | instid1(VALU_DEP_1)
	v_lshlrev_b64 v[123:124], 1, v[1:2]
	v_add_co_u32 v123, vcc_lo, s40, v123
	s_delay_alu instid0(VALU_DEP_2) | instskip(SKIP_3) | instid1(VALU_DEP_1)
	v_add_co_ci_u32_e32 v124, vcc_lo, s41, v124, vcc_lo
	flat_load_u16 v123, v[123:124]
	s_waitcnt vmcnt(0) lgkmcnt(0)
	v_cvt_f32_f16_e32 v123, v123
	v_mul_f32_e32 v123, v24, v123
	v_cmp_ngt_f32_e64 s4, 0x3f200000, |v71|
                                        ; implicit-def: $vgpr129
	s_delay_alu instid0(VALU_DEP_1) | instskip(NEXT) | instid1(SALU_CYCLE_1)
	s_and_saveexec_b32 s5, s4
	s_xor_b32 s4, exec_lo, s5
	s_cbranch_execz .LBB86_75
.LBB86_74:                              ;   in Loop: Header=BB86_8 Depth=1
	v_add_f32_e64 v124, |v71|, |v71|
	s_delay_alu instid0(VALU_DEP_1) | instskip(SKIP_1) | instid1(VALU_DEP_2)
	v_mul_f32_e32 v129, 0x3fb8aa3b, v124
	v_cmp_ngt_f32_e32 vcc_lo, 0xc2ce8ed0, v124
	v_rndne_f32_e32 v130, v129
	v_fma_f32 v131, 0x3fb8aa3b, v124, -v129
	s_delay_alu instid0(VALU_DEP_2) | instskip(NEXT) | instid1(VALU_DEP_2)
	v_sub_f32_e32 v129, v129, v130
	v_fmac_f32_e32 v131, 0x32a5705f, v124
	v_cvt_i32_f32_e32 v130, v130
	s_delay_alu instid0(VALU_DEP_2) | instskip(NEXT) | instid1(VALU_DEP_1)
	v_add_f32_e32 v129, v129, v131
	v_exp_f32_e32 v129, v129
	s_waitcnt_depctr 0xfff
	v_ldexp_f32 v129, v129, v130
	s_delay_alu instid0(VALU_DEP_1) | instskip(SKIP_1) | instid1(VALU_DEP_2)
	v_cndmask_b32_e32 v129, 0, v129, vcc_lo
	v_cmp_nlt_f32_e32 vcc_lo, 0x42b17218, v124
	v_cndmask_b32_e32 v124, 0x7f800000, v129, vcc_lo
	s_delay_alu instid0(VALU_DEP_1) | instskip(NEXT) | instid1(VALU_DEP_1)
	v_add_f32_e32 v124, 1.0, v124
	v_rcp_f32_e32 v124, v124
	s_waitcnt_depctr 0xfff
	v_fma_f32 v129, v124, -2.0, 1.0
.LBB86_75:                              ;   in Loop: Header=BB86_8 Depth=1
	s_and_not1_saveexec_b32 s4, s4
	s_cbranch_execz .LBB86_78
; %bb.76:                               ;   in Loop: Header=BB86_8 Depth=1
	v_mul_f32_e32 v124, v71, v71
	s_delay_alu instid0(VALU_DEP_1) | instskip(NEXT) | instid1(VALU_DEP_1)
	v_fmaak_f32 v129, s46, v124, 0x3ca908c9
	v_fmaak_f32 v129, v124, v129, 0xbd5c1c4e
	s_delay_alu instid0(VALU_DEP_1) | instskip(NEXT) | instid1(VALU_DEP_1)
	v_fmaak_f32 v129, v124, v129, 0x3e088382
	v_fmaak_f32 v129, v124, v129, 0xbeaaaa99
	s_delay_alu instid0(VALU_DEP_1) | instskip(NEXT) | instid1(VALU_DEP_1)
	v_mul_f32_e64 v129, |v71|, v129
	v_fma_f32 v129, v124, v129, |v71|
	s_or_b32 exec_lo, exec_lo, s4
	s_delay_alu instid0(SALU_CYCLE_1)
	s_and_not1_b32 vcc_lo, exec_lo, s43
	s_cbranch_vccz .LBB86_79
.LBB86_77:                              ;   in Loop: Header=BB86_8 Depth=1
	v_mov_b32_e32 v124, 0
	s_branch .LBB86_80
.LBB86_78:                              ;   in Loop: Header=BB86_8 Depth=1
	s_or_b32 exec_lo, exec_lo, s4
	s_delay_alu instid0(SALU_CYCLE_1)
	s_and_not1_b32 vcc_lo, exec_lo, s43
	s_cbranch_vccnz .LBB86_77
.LBB86_79:                              ;   in Loop: Header=BB86_8 Depth=1
	v_lshlrev_b64 v[1:2], 1, v[1:2]
	s_delay_alu instid0(VALU_DEP_1) | instskip(NEXT) | instid1(VALU_DEP_2)
	v_add_co_u32 v1, vcc_lo, s44, v1
	v_add_co_ci_u32_e32 v2, vcc_lo, s45, v2, vcc_lo
	flat_load_u16 v1, v[1:2]
	s_waitcnt vmcnt(0) lgkmcnt(0)
	v_cvt_f32_f16_e32 v1, v1
	s_delay_alu instid0(VALU_DEP_1)
	v_mul_f32_e32 v124, v24, v1
.LBB86_80:                              ;   in Loop: Header=BB86_8 Depth=1
	v_bfi_b32 v1, 0x7fffffff, v125, v70
	v_bfi_b32 v2, 0x7fffffff, v129, v71
	v_cmp_ngt_f32_e64 s4, 0x3f200000, |v67|
                                        ; implicit-def: $vgpr130
	s_delay_alu instid0(VALU_DEP_2) | instskip(NEXT) | instid1(VALU_DEP_1)
	v_dual_fmac_f32 v123, s23, v1 :: v_dual_fmac_f32 v124, s23, v2
	v_dual_add_f32 v1, 0x40051340, v123 :: v_dual_add_f32 v2, 0x40051340, v124
	s_delay_alu instid0(VALU_DEP_1) | instskip(SKIP_3) | instid1(VALU_DEP_1)
	v_max3_f32 v1, v100, v1, v2
	ds_bpermute_b32 v2, v3, v1
	s_waitcnt lgkmcnt(0)
	v_max_f32_e32 v2, v2, v2
	v_max_f32_e32 v1, v1, v2
	ds_bpermute_b32 v2, v117, v1
	s_waitcnt lgkmcnt(0)
	v_max_f32_e32 v2, v2, v2
	s_delay_alu instid0(VALU_DEP_1) | instskip(SKIP_3) | instid1(VALU_DEP_1)
	v_max_f32_e32 v1, v1, v2
	ds_bpermute_b32 v2, v114, v1
	s_waitcnt lgkmcnt(0)
	v_max_f32_e32 v2, v2, v2
	v_max_f32_e32 v1, v1, v2
	ds_bpermute_b32 v2, v113, v1
	s_waitcnt lgkmcnt(0)
	v_max_f32_e32 v2, v2, v2
	s_delay_alu instid0(VALU_DEP_1) | instskip(SKIP_2) | instid1(SALU_CYCLE_1)
	v_max_f32_e32 v70, v1, v2
	ds_bpermute_b32 v71, v4, v70
	s_and_saveexec_b32 s5, s4
	s_xor_b32 s4, exec_lo, s5
	s_cbranch_execz .LBB86_82
; %bb.81:                               ;   in Loop: Header=BB86_8 Depth=1
	v_add_f32_e64 v1, |v67|, |v67|
	s_delay_alu instid0(VALU_DEP_1) | instskip(SKIP_1) | instid1(VALU_DEP_2)
	v_mul_f32_e32 v2, 0x3fb8aa3b, v1
	v_cmp_ngt_f32_e32 vcc_lo, 0xc2ce8ed0, v1
	v_rndne_f32_e32 v125, v2
	v_fma_f32 v129, 0x3fb8aa3b, v1, -v2
	s_delay_alu instid0(VALU_DEP_2) | instskip(NEXT) | instid1(VALU_DEP_2)
	v_sub_f32_e32 v2, v2, v125
	v_fmac_f32_e32 v129, 0x32a5705f, v1
	v_cvt_i32_f32_e32 v125, v125
	s_delay_alu instid0(VALU_DEP_2) | instskip(NEXT) | instid1(VALU_DEP_1)
	v_add_f32_e32 v2, v2, v129
	v_exp_f32_e32 v2, v2
	s_waitcnt_depctr 0xfff
	v_ldexp_f32 v2, v2, v125
	s_delay_alu instid0(VALU_DEP_1) | instskip(SKIP_1) | instid1(VALU_DEP_2)
	v_cndmask_b32_e32 v2, 0, v2, vcc_lo
	v_cmp_nlt_f32_e32 vcc_lo, 0x42b17218, v1
	v_cndmask_b32_e32 v1, 0x7f800000, v2, vcc_lo
	s_delay_alu instid0(VALU_DEP_1) | instskip(NEXT) | instid1(VALU_DEP_1)
	v_add_f32_e32 v1, 1.0, v1
	v_rcp_f32_e32 v1, v1
	s_waitcnt_depctr 0xfff
	v_fma_f32 v130, v1, -2.0, 1.0
.LBB86_82:                              ;   in Loop: Header=BB86_8 Depth=1
	s_and_not1_saveexec_b32 s4, s4
; %bb.83:                               ;   in Loop: Header=BB86_8 Depth=1
	v_mul_f32_e32 v1, v67, v67
	s_delay_alu instid0(VALU_DEP_1) | instskip(NEXT) | instid1(VALU_DEP_1)
	v_fmaak_f32 v2, s46, v1, 0x3ca908c9
	v_fmaak_f32 v2, v1, v2, 0xbd5c1c4e
	s_delay_alu instid0(VALU_DEP_1) | instskip(NEXT) | instid1(VALU_DEP_1)
	v_fmaak_f32 v2, v1, v2, 0x3e088382
	v_fmaak_f32 v2, v1, v2, 0xbeaaaa99
	s_delay_alu instid0(VALU_DEP_1) | instskip(NEXT) | instid1(VALU_DEP_1)
	v_mul_f32_e64 v2, |v67|, v2
	v_fma_f32 v130, v1, v2, |v67|
; %bb.84:                               ;   in Loop: Header=BB86_8 Depth=1
	s_or_b32 exec_lo, exec_lo, s4
	v_add_nc_u32_e32 v1, v126, v85
	s_and_not1_b32 vcc_lo, exec_lo, s43
	s_delay_alu instid0(VALU_DEP_1)
	v_ashrrev_i32_e32 v2, 31, v1
	s_cbranch_vccnz .LBB86_112
; %bb.85:                               ;   in Loop: Header=BB86_8 Depth=1
	s_delay_alu instid0(VALU_DEP_1) | instskip(NEXT) | instid1(VALU_DEP_1)
	v_lshlrev_b64 v[131:132], 1, v[1:2]
	v_add_co_u32 v131, vcc_lo, s40, v131
	s_delay_alu instid0(VALU_DEP_2) | instskip(SKIP_3) | instid1(VALU_DEP_1)
	v_add_co_ci_u32_e32 v132, vcc_lo, s41, v132, vcc_lo
	flat_load_u16 v125, v[131:132]
	s_waitcnt vmcnt(0) lgkmcnt(0)
	v_cvt_f32_f16_e32 v125, v125
	v_mul_f32_e32 v125, v24, v125
	v_cmp_ngt_f32_e64 s4, 0x3f200000, |v68|
                                        ; implicit-def: $vgpr131
	s_delay_alu instid0(VALU_DEP_1) | instskip(NEXT) | instid1(SALU_CYCLE_1)
	s_and_saveexec_b32 s5, s4
	s_xor_b32 s4, exec_lo, s5
	s_cbranch_execz .LBB86_87
.LBB86_86:                              ;   in Loop: Header=BB86_8 Depth=1
	v_add_f32_e64 v129, |v68|, |v68|
	s_delay_alu instid0(VALU_DEP_1) | instskip(SKIP_1) | instid1(VALU_DEP_2)
	v_mul_f32_e32 v131, 0x3fb8aa3b, v129
	v_cmp_ngt_f32_e32 vcc_lo, 0xc2ce8ed0, v129
	v_rndne_f32_e32 v132, v131
	v_fma_f32 v136, 0x3fb8aa3b, v129, -v131
	s_delay_alu instid0(VALU_DEP_1) | instskip(SKIP_1) | instid1(VALU_DEP_2)
	v_dual_sub_f32 v131, v131, v132 :: v_dual_fmac_f32 v136, 0x32a5705f, v129
	v_cvt_i32_f32_e32 v132, v132
	v_add_f32_e32 v131, v131, v136
	s_delay_alu instid0(VALU_DEP_1) | instskip(SKIP_2) | instid1(VALU_DEP_1)
	v_exp_f32_e32 v131, v131
	s_waitcnt_depctr 0xfff
	v_ldexp_f32 v131, v131, v132
	v_cndmask_b32_e32 v131, 0, v131, vcc_lo
	v_cmp_nlt_f32_e32 vcc_lo, 0x42b17218, v129
	s_delay_alu instid0(VALU_DEP_2) | instskip(NEXT) | instid1(VALU_DEP_1)
	v_cndmask_b32_e32 v129, 0x7f800000, v131, vcc_lo
	v_add_f32_e32 v129, 1.0, v129
	s_delay_alu instid0(VALU_DEP_1)
	v_rcp_f32_e32 v129, v129
	s_waitcnt_depctr 0xfff
	v_fma_f32 v131, v129, -2.0, 1.0
.LBB86_87:                              ;   in Loop: Header=BB86_8 Depth=1
	s_and_not1_saveexec_b32 s4, s4
	s_cbranch_execz .LBB86_90
; %bb.88:                               ;   in Loop: Header=BB86_8 Depth=1
	v_mul_f32_e32 v129, v68, v68
	s_delay_alu instid0(VALU_DEP_1) | instskip(NEXT) | instid1(VALU_DEP_1)
	v_fmaak_f32 v131, s46, v129, 0x3ca908c9
	v_fmaak_f32 v131, v129, v131, 0xbd5c1c4e
	s_delay_alu instid0(VALU_DEP_1) | instskip(NEXT) | instid1(VALU_DEP_1)
	v_fmaak_f32 v131, v129, v131, 0x3e088382
	v_fmaak_f32 v131, v129, v131, 0xbeaaaa99
	s_delay_alu instid0(VALU_DEP_1) | instskip(NEXT) | instid1(VALU_DEP_1)
	v_mul_f32_e64 v131, |v68|, v131
	v_fma_f32 v131, v129, v131, |v68|
	s_or_b32 exec_lo, exec_lo, s4
	s_delay_alu instid0(SALU_CYCLE_1)
	s_and_not1_b32 vcc_lo, exec_lo, s43
	s_cbranch_vccz .LBB86_91
.LBB86_89:                              ;   in Loop: Header=BB86_8 Depth=1
	v_mov_b32_e32 v129, 0
	s_branch .LBB86_92
.LBB86_90:                              ;   in Loop: Header=BB86_8 Depth=1
	s_or_b32 exec_lo, exec_lo, s4
	s_delay_alu instid0(SALU_CYCLE_1)
	s_and_not1_b32 vcc_lo, exec_lo, s43
	s_cbranch_vccnz .LBB86_89
.LBB86_91:                              ;   in Loop: Header=BB86_8 Depth=1
	v_lshlrev_b64 v[1:2], 1, v[1:2]
	s_delay_alu instid0(VALU_DEP_1) | instskip(NEXT) | instid1(VALU_DEP_2)
	v_add_co_u32 v1, vcc_lo, s44, v1
	v_add_co_ci_u32_e32 v2, vcc_lo, s45, v2, vcc_lo
	flat_load_u16 v1, v[1:2]
	s_waitcnt vmcnt(0) lgkmcnt(0)
	v_cvt_f32_f16_e32 v1, v1
	s_delay_alu instid0(VALU_DEP_1)
	v_mul_f32_e32 v129, v24, v1
.LBB86_92:                              ;   in Loop: Header=BB86_8 Depth=1
	v_bfi_b32 v1, 0x7fffffff, v130, v67
	v_bfi_b32 v2, 0x7fffffff, v131, v68
	v_cmp_ngt_f32_e64 s4, 0x3f200000, |v64|
                                        ; implicit-def: $vgpr67
	s_delay_alu instid0(VALU_DEP_3) | instskip(NEXT) | instid1(VALU_DEP_3)
	v_fmac_f32_e32 v125, s23, v1
	v_fmac_f32_e32 v129, s23, v2
	s_delay_alu instid0(VALU_DEP_2) | instskip(NEXT) | instid1(VALU_DEP_2)
	v_add_f32_e32 v1, 0x40051340, v125
	v_add_f32_e32 v2, 0x40051340, v129
	s_delay_alu instid0(VALU_DEP_1) | instskip(SKIP_3) | instid1(VALU_DEP_1)
	v_max3_f32 v1, v99, v1, v2
	ds_bpermute_b32 v2, v3, v1
	s_waitcnt lgkmcnt(0)
	v_max_f32_e32 v2, v2, v2
	v_max_f32_e32 v1, v1, v2
	ds_bpermute_b32 v2, v117, v1
	s_waitcnt lgkmcnt(0)
	v_max_f32_e32 v2, v2, v2
	s_delay_alu instid0(VALU_DEP_1) | instskip(SKIP_3) | instid1(VALU_DEP_1)
	v_max_f32_e32 v1, v1, v2
	ds_bpermute_b32 v2, v114, v1
	s_waitcnt lgkmcnt(0)
	v_max_f32_e32 v2, v2, v2
	v_max_f32_e32 v1, v1, v2
	ds_bpermute_b32 v2, v113, v1
	s_waitcnt lgkmcnt(0)
	v_max_f32_e32 v2, v2, v2
	s_delay_alu instid0(VALU_DEP_1) | instskip(SKIP_2) | instid1(SALU_CYCLE_1)
	v_max_f32_e32 v130, v1, v2
	ds_bpermute_b32 v131, v4, v130
	s_and_saveexec_b32 s5, s4
	s_xor_b32 s4, exec_lo, s5
	s_cbranch_execz .LBB86_94
; %bb.93:                               ;   in Loop: Header=BB86_8 Depth=1
	v_add_f32_e64 v1, |v64|, |v64|
	s_delay_alu instid0(VALU_DEP_1) | instskip(SKIP_1) | instid1(VALU_DEP_2)
	v_mul_f32_e32 v2, 0x3fb8aa3b, v1
	v_cmp_ngt_f32_e32 vcc_lo, 0xc2ce8ed0, v1
	v_rndne_f32_e32 v67, v2
	v_fma_f32 v68, 0x3fb8aa3b, v1, -v2
	s_delay_alu instid0(VALU_DEP_2) | instskip(NEXT) | instid1(VALU_DEP_2)
	v_sub_f32_e32 v2, v2, v67
	v_fmac_f32_e32 v68, 0x32a5705f, v1
	v_cvt_i32_f32_e32 v67, v67
	s_delay_alu instid0(VALU_DEP_2) | instskip(NEXT) | instid1(VALU_DEP_1)
	v_add_f32_e32 v2, v2, v68
	v_exp_f32_e32 v2, v2
	s_waitcnt_depctr 0xfff
	v_ldexp_f32 v2, v2, v67
	s_delay_alu instid0(VALU_DEP_1) | instskip(SKIP_1) | instid1(VALU_DEP_2)
	v_cndmask_b32_e32 v2, 0, v2, vcc_lo
	v_cmp_nlt_f32_e32 vcc_lo, 0x42b17218, v1
	v_cndmask_b32_e32 v1, 0x7f800000, v2, vcc_lo
	s_delay_alu instid0(VALU_DEP_1) | instskip(NEXT) | instid1(VALU_DEP_1)
	v_add_f32_e32 v1, 1.0, v1
	v_rcp_f32_e32 v1, v1
	s_waitcnt_depctr 0xfff
	v_fma_f32 v67, v1, -2.0, 1.0
.LBB86_94:                              ;   in Loop: Header=BB86_8 Depth=1
	s_and_not1_saveexec_b32 s4, s4
; %bb.95:                               ;   in Loop: Header=BB86_8 Depth=1
	v_mul_f32_e32 v1, v64, v64
	s_delay_alu instid0(VALU_DEP_1) | instskip(NEXT) | instid1(VALU_DEP_1)
	v_fmaak_f32 v2, s46, v1, 0x3ca908c9
	v_fmaak_f32 v2, v1, v2, 0xbd5c1c4e
	s_delay_alu instid0(VALU_DEP_1) | instskip(NEXT) | instid1(VALU_DEP_1)
	v_fmaak_f32 v2, v1, v2, 0x3e088382
	v_fmaak_f32 v2, v1, v2, 0xbeaaaa99
	s_delay_alu instid0(VALU_DEP_1) | instskip(NEXT) | instid1(VALU_DEP_1)
	v_mul_f32_e64 v2, |v64|, v2
	v_fma_f32 v67, v1, v2, |v64|
; %bb.96:                               ;   in Loop: Header=BB86_8 Depth=1
	s_or_b32 exec_lo, exec_lo, s4
	v_add_nc_u32_e32 v1, v126, v86
	s_and_not1_b32 vcc_lo, exec_lo, s43
	s_delay_alu instid0(VALU_DEP_1)
	v_ashrrev_i32_e32 v2, 31, v1
	s_cbranch_vccnz .LBB86_113
; %bb.97:                               ;   in Loop: Header=BB86_8 Depth=1
	s_delay_alu instid0(VALU_DEP_1) | instskip(NEXT) | instid1(VALU_DEP_1)
	v_lshlrev_b64 v[136:137], 1, v[1:2]
	v_add_co_u32 v136, vcc_lo, s40, v136
	s_delay_alu instid0(VALU_DEP_2) | instskip(SKIP_3) | instid1(VALU_DEP_1)
	v_add_co_ci_u32_e32 v137, vcc_lo, s41, v137, vcc_lo
	flat_load_u16 v68, v[136:137]
	s_waitcnt vmcnt(0) lgkmcnt(0)
	v_cvt_f32_f16_e32 v68, v68
	v_mul_f32_e32 v126, v24, v68
	v_cmp_ngt_f32_e64 s4, 0x3f200000, |v65|
                                        ; implicit-def: $vgpr68
	s_delay_alu instid0(VALU_DEP_1) | instskip(NEXT) | instid1(SALU_CYCLE_1)
	s_and_saveexec_b32 s5, s4
	s_xor_b32 s4, exec_lo, s5
	s_cbranch_execz .LBB86_99
.LBB86_98:                              ;   in Loop: Header=BB86_8 Depth=1
	v_add_f32_e64 v68, |v65|, |v65|
	s_delay_alu instid0(VALU_DEP_1) | instskip(SKIP_1) | instid1(VALU_DEP_2)
	v_mul_f32_e32 v132, 0x3fb8aa3b, v68
	v_cmp_ngt_f32_e32 vcc_lo, 0xc2ce8ed0, v68
	v_rndne_f32_e32 v136, v132
	v_fma_f32 v137, 0x3fb8aa3b, v68, -v132
	s_delay_alu instid0(VALU_DEP_2) | instskip(NEXT) | instid1(VALU_DEP_2)
	v_sub_f32_e32 v132, v132, v136
	v_fmac_f32_e32 v137, 0x32a5705f, v68
	v_cvt_i32_f32_e32 v136, v136
	s_delay_alu instid0(VALU_DEP_2) | instskip(NEXT) | instid1(VALU_DEP_1)
	v_add_f32_e32 v132, v132, v137
	v_exp_f32_e32 v132, v132
	s_waitcnt_depctr 0xfff
	v_ldexp_f32 v132, v132, v136
	s_delay_alu instid0(VALU_DEP_1) | instskip(SKIP_1) | instid1(VALU_DEP_2)
	v_cndmask_b32_e32 v132, 0, v132, vcc_lo
	v_cmp_nlt_f32_e32 vcc_lo, 0x42b17218, v68
	v_cndmask_b32_e32 v68, 0x7f800000, v132, vcc_lo
	s_delay_alu instid0(VALU_DEP_1) | instskip(NEXT) | instid1(VALU_DEP_1)
	v_add_f32_e32 v68, 1.0, v68
	v_rcp_f32_e32 v68, v68
	s_waitcnt_depctr 0xfff
	v_fma_f32 v68, v68, -2.0, 1.0
.LBB86_99:                              ;   in Loop: Header=BB86_8 Depth=1
	s_and_not1_saveexec_b32 s4, s4
	s_cbranch_execz .LBB86_102
; %bb.100:                              ;   in Loop: Header=BB86_8 Depth=1
	v_mul_f32_e32 v68, v65, v65
	s_delay_alu instid0(VALU_DEP_1) | instskip(NEXT) | instid1(VALU_DEP_1)
	v_fmaak_f32 v132, s46, v68, 0x3ca908c9
	v_fmaak_f32 v132, v68, v132, 0xbd5c1c4e
	s_delay_alu instid0(VALU_DEP_1) | instskip(NEXT) | instid1(VALU_DEP_1)
	v_fmaak_f32 v132, v68, v132, 0x3e088382
	v_fmaak_f32 v132, v68, v132, 0xbeaaaa99
	s_delay_alu instid0(VALU_DEP_1) | instskip(NEXT) | instid1(VALU_DEP_1)
	v_mul_f32_e64 v132, |v65|, v132
	v_fma_f32 v68, v68, v132, |v65|
	s_or_b32 exec_lo, exec_lo, s4
	s_delay_alu instid0(SALU_CYCLE_1)
	s_and_not1_b32 vcc_lo, exec_lo, s43
	s_cbranch_vccz .LBB86_103
.LBB86_101:                             ;   in Loop: Header=BB86_8 Depth=1
	v_mov_b32_e32 v132, 0
	s_branch .LBB86_104
.LBB86_102:                             ;   in Loop: Header=BB86_8 Depth=1
	s_or_b32 exec_lo, exec_lo, s4
	s_delay_alu instid0(SALU_CYCLE_1)
	s_and_not1_b32 vcc_lo, exec_lo, s43
	s_cbranch_vccnz .LBB86_101
.LBB86_103:                             ;   in Loop: Header=BB86_8 Depth=1
	v_lshlrev_b64 v[1:2], 1, v[1:2]
	s_delay_alu instid0(VALU_DEP_1) | instskip(NEXT) | instid1(VALU_DEP_2)
	v_add_co_u32 v1, vcc_lo, s44, v1
	v_add_co_ci_u32_e32 v2, vcc_lo, s45, v2, vcc_lo
	flat_load_u16 v1, v[1:2]
	s_waitcnt vmcnt(0) lgkmcnt(0)
	v_cvt_f32_f16_e32 v1, v1
	s_delay_alu instid0(VALU_DEP_1)
	v_mul_f32_e32 v132, v24, v1
.LBB86_104:                             ;   in Loop: Header=BB86_8 Depth=1
	v_bfi_b32 v1, 0x7fffffff, v67, v64
	v_bfi_b32 v2, 0x7fffffff, v68, v65
	v_max_f32_e32 v68, v127, v127
	s_mul_hi_i32 s5, s16, s17
	s_mul_i32 s4, s16, s17
	v_dual_fmac_f32 v126, s23, v1 :: v_dual_max_f32 v1, v134, v134
	v_dual_fmac_f32 v132, s23, v2 :: v_dual_max_f32 v65, v133, v133
	s_lshl_b64 s[4:5], s[4:5], 2
	s_delay_alu instid0(VALU_DEP_2) | instskip(NEXT) | instid1(VALU_DEP_2)
	v_dual_add_f32 v2, 0x40051340, v126 :: v_dual_max_f32 v67, v128, v128
	v_dual_add_f32 v64, 0x40051340, v132 :: v_dual_max_f32 v127, v135, v135
	s_add_u32 s4, s20, s4
	s_addc_u32 s5, s21, s5
	s_waitcnt lgkmcnt(0)
	s_delay_alu instid0(VALU_DEP_1)
	v_max3_f32 v128, v98, v2, v64
	v_max_f32_e32 v64, v122, v122
	v_dual_max_f32 v2, v65, v1 :: v_dual_max_f32 v1, v68, v67
	s_barrier
	ds_bpermute_b32 v122, v3, v128
	v_max_f32_e32 v3, v64, v127
	v_dual_sub_f32 v139, v118, v2 :: v_dual_sub_f32 v138, v115, v1
	v_add_co_u32 v64, vcc_lo, s4, v13
	v_add_co_u32 v65, s4, s4, v15
	v_add_co_ci_u32_e32 v68, vcc_lo, s5, v14, vcc_lo
	v_add_co_ci_u32_e64 v127, vcc_lo, s5, v16, s4
	s_delay_alu instid0(VALU_DEP_4) | instskip(NEXT) | instid1(VALU_DEP_4)
	v_add_co_u32 v64, vcc_lo, v64, v93
	v_add_co_u32 v67, s4, v65, v93
	v_dual_sub_f32 v137, v116, v1 :: v_dual_sub_f32 v106, v106, v2
	v_mul_f32_e32 v140, 0x3fb8aa3b, v139
	v_add_co_ci_u32_e32 v65, vcc_lo, 0, v68, vcc_lo
	s_waitcnt lgkmcnt(0)
	v_max_f32_e32 v115, v122, v122
	v_sub_f32_e32 v119, v119, v2
	v_add_co_ci_u32_e64 v68, vcc_lo, 0, v127, s4
	buffer_gl0_inv
	v_dual_max_f32 v122, v128, v115 :: v_dual_mul_f32 v127, 0x3fb8aa3b, v137
	v_dual_mul_f32 v144, 0x3fb8aa3b, v106 :: v_dual_sub_f32 v105, v105, v1
	v_mul_f32_e32 v141, 0x3fb8aa3b, v138
	ds_bpermute_b32 v128, v117, v122
	v_mul_f32_e32 v143, 0x3fb8aa3b, v119
	s_clause 0x1
	global_load_b128 v[115:118], v[64:65], off
	global_load_b128 v[133:136], v[67:68], off
	v_rndne_f32_e32 v65, v127
	v_fma_f32 v64, 0x3fb8aa3b, v137, -v127
	v_mul_f32_e32 v142, 0x3fb8aa3b, v105
	v_fma_f32 v145, 0x3fb8aa3b, v138, -v141
	v_rndne_f32_e32 v146, v141
	v_fma_f32 v150, 0x3fb8aa3b, v106, -v144
	v_cmp_ngt_f32_e32 vcc_lo, 0xc2ce8ed0, v137
	v_fma_f32 v147, 0x3fb8aa3b, v105, -v142
	v_cmp_ngt_f32_e64 s5, 0xc2ce8ed0, v138
	v_cmp_ngt_f32_e64 s6, 0xc2ce8ed0, v105
	v_cmp_nlt_f32_e64 s8, 0x42b17218, v137
	v_cmp_nlt_f32_e64 s9, 0x42b17218, v138
	;; [unrolled: 1-line block ×3, first 2 shown]
	v_fma_f32 v67, 0x3fb8aa3b, v139, -v140
	v_fmac_f32_e32 v64, 0x32a5705f, v137
	v_dual_fmac_f32 v147, 0x32a5705f, v105 :: v_dual_fmac_f32 v150, 0x32a5705f, v106
	s_waitcnt lgkmcnt(0)
	v_max_f32_e32 v68, v128, v128
	v_rndne_f32_e32 v128, v140
	v_sub_f32_e32 v127, v127, v65
	v_rndne_f32_e32 v149, v143
	v_fma_f32 v148, 0x3fb8aa3b, v119, -v143
	v_max_f32_e32 v68, v122, v68
	v_rndne_f32_e32 v122, v142
	v_sub_f32_e32 v137, v140, v128
	s_delay_alu instid0(VALU_DEP_4)
	v_dual_fmac_f32 v145, 0x32a5705f, v138 :: v_dual_fmac_f32 v148, 0x32a5705f, v119
	ds_bpermute_b32 v114, v114, v68
	v_sub_f32_e32 v138, v141, v146
	v_dual_sub_f32 v105, v142, v122 :: v_dual_sub_f32 v140, v143, v149
	v_dual_fmac_f32 v67, 0x32a5705f, v139 :: v_dual_add_f32 v64, v127, v64
	v_rndne_f32_e32 v151, v144
	v_cmp_ngt_f32_e64 s4, 0xc2ce8ed0, v139
	v_cmp_nlt_f32_e64 s11, 0x42b17218, v139
	s_delay_alu instid0(VALU_DEP_4)
	v_add_f32_e32 v67, v137, v67
	v_exp_f32_e32 v64, v64
	v_cvt_i32_f32_e32 v65, v65
	v_cvt_i32_f32_e32 v139, v146
	;; [unrolled: 1-line block ×3, first 2 shown]
	v_exp_f32_e32 v67, v67
	v_cmp_ngt_f32_e64 s7, 0xc2ce8ed0, v119
	v_cvt_i32_f32_e32 v128, v128
	v_dual_add_f32 v105, v105, v147 :: v_dual_max_f32 v70, v70, v70
	s_waitcnt lgkmcnt(0)
	v_max_f32_e32 v114, v114, v114
	v_add_f32_e32 v127, v138, v145
	s_delay_alu instid0(VALU_DEP_3)
	v_exp_f32_e32 v105, v105
	v_cvt_i32_f32_e32 v138, v149
	v_ldexp_f32 v64, v64, v65
	v_max_f32_e32 v68, v68, v114
	v_exp_f32_e32 v127, v127
	v_ldexp_f32 v67, v67, v128
	ds_bpermute_b32 v113, v113, v68
	v_sub_f32_e32 v114, v144, v151
	v_ldexp_f32 v105, v105, v122
	v_cndmask_b32_e64 v67, 0, v67, s4
	v_cmp_ngt_f32_e64 s4, 0xc2ce8ed0, v106
	v_ldexp_f32 v65, v127, v139
	s_delay_alu instid0(VALU_DEP_4) | instskip(NEXT) | instid1(VALU_DEP_4)
	v_cndmask_b32_e64 v105, 0, v105, s6
	v_cndmask_b32_e64 v67, 0x7f800000, v67, s11
	s_delay_alu instid0(VALU_DEP_3) | instskip(NEXT) | instid1(VALU_DEP_3)
	v_cndmask_b32_e64 v65, 0, v65, s5
	v_cndmask_b32_e64 v105, 0x7f800000, v105, s10
	s_delay_alu instid0(VALU_DEP_2) | instskip(NEXT) | instid1(VALU_DEP_2)
	v_cndmask_b32_e64 v65, 0x7f800000, v65, s9
	v_cvt_f16_f32_e64 v128, v105
	s_waitcnt lgkmcnt(0)
	v_max_f32_e32 v113, v113, v113
	v_dual_add_f32 v137, v140, v148 :: v_dual_add_f32 v114, v114, v150
	v_cndmask_b32_e32 v64, 0, v64, vcc_lo
	v_cmp_nlt_f32_e32 vcc_lo, 0x42b17218, v119
	s_delay_alu instid0(VALU_DEP_4) | instskip(NEXT) | instid1(VALU_DEP_4)
	v_max_f32_e32 v113, v68, v113
	v_exp_f32_e32 v137, v137
	v_exp_f32_e32 v114, v114
	v_cndmask_b32_e64 v127, 0x7f800000, v64, s8
	v_cvt_i32_f32_e32 v140, v151
	v_pk_mul_f16 v58, v128, v58 op_sel_hi:[0,1]
	s_waitcnt_depctr 0xfff
	v_ldexp_f32 v122, v137, v138
	v_cvt_f16_f32_e64 v138, v65
	v_cvt_f16_f32_e64 v137, v67
	s_delay_alu instid0(VALU_DEP_3) | instskip(NEXT) | instid1(VALU_DEP_1)
	v_cndmask_b32_e64 v122, 0, v122, s7
	v_cndmask_b32_e32 v68, 0x7f800000, v122, vcc_lo
	v_cmp_nlt_f32_e32 vcc_lo, 0x42b17218, v106
	v_sub_f32_e32 v112, v112, v3
	v_add_f32_e32 v64, v65, v127
	ds_bpermute_b32 v106, v4, v113
	v_cvt_f16_f32_e32 v127, v127
	v_dual_mul_f32 v119, 0x3fb8aa3b, v112 :: v_dual_fmac_f32 v64, v104, v105
	v_pk_mul_f16 v104, v128, v57 op_sel_hi:[0,1]
	v_ldexp_f32 v57, v114, v140
	v_max_f32_e32 v105, v121, v121
	v_add_f32_e32 v65, v67, v68
	s_delay_alu instid0(VALU_DEP_3) | instskip(NEXT) | instid1(VALU_DEP_1)
	v_cndmask_b32_e64 v57, 0, v57, s4
	v_dual_cndmask_b32 v57, 0x7f800000, v57 :: v_dual_max_f32 v114, v120, v120
	v_fma_f32 v67, 0x3fb8aa3b, v112, -v119
	v_cmp_ngt_f32_e32 vcc_lo, 0xc2ce8ed0, v112
	s_delay_alu instid0(VALU_DEP_3) | instskip(NEXT) | instid1(VALU_DEP_3)
	v_fmac_f32_e32 v65, v6, v57
	v_dual_max_f32 v4, v114, v105 :: v_dual_fmac_f32 v67, 0x32a5705f, v112
	v_cvt_f16_f32_e32 v105, v68
	v_rndne_f32_e32 v68, v119
	v_cvt_f16_f32_e32 v114, v57
	s_delay_alu instid0(VALU_DEP_2) | instskip(SKIP_1) | instid1(VALU_DEP_3)
	v_sub_f32_e32 v6, v119, v68
	v_sub_f32_e32 v109, v109, v4
	v_pk_mul_f16 v119, v114, v55 op_sel_hi:[0,1]
	v_cvt_i32_f32_e32 v68, v68
	s_delay_alu instid0(VALU_DEP_3) | instskip(SKIP_3) | instid1(VALU_DEP_4)
	v_dual_add_f32 v6, v6, v67 :: v_dual_mul_f32 v57, 0x3fb8aa3b, v109
	v_sub_f32_e32 v55, v111, v3
	v_pk_mul_f16 v111, v114, v56 op_sel_hi:[0,1]
	v_cmp_nlt_f32_e64 s5, 0x42b17218, v109
	v_exp_f32_e32 v6, v6
	v_fma_f32 v56, 0x3fb8aa3b, v109, -v57
	v_rndne_f32_e32 v67, v57
	s_delay_alu instid0(VALU_DEP_1)
	v_dual_fmac_f32 v56, 0x32a5705f, v109 :: v_dual_sub_f32 v57, v57, v67
	v_sub_f32_e32 v103, v103, v3
	v_mul_f32_e32 v114, 0x3fb8aa3b, v55
	s_waitcnt_depctr 0xfff
	v_ldexp_f32 v6, v6, v68
	v_cvt_i32_f32_e32 v67, v67
	v_add_f32_e32 v56, v57, v56
	v_cmp_ngt_f32_e64 s4, 0xc2ce8ed0, v103
	v_fma_f32 v120, 0x3fb8aa3b, v55, -v114
	v_cndmask_b32_e32 v6, 0, v6, vcc_lo
	v_cmp_nlt_f32_e32 vcc_lo, 0x42b17218, v112
	v_exp_f32_e32 v56, v56
	v_rndne_f32_e32 v121, v114
	v_mul_f32_e32 v122, 0x3fb8aa3b, v103
	v_cndmask_b32_e32 v6, 0x7f800000, v6, vcc_lo
	v_cmp_ngt_f32_e32 vcc_lo, 0xc2ce8ed0, v109
	s_delay_alu instid0(VALU_DEP_4) | instskip(SKIP_3) | instid1(TRANS32_DEP_1)
	v_sub_f32_e32 v57, v114, v121
	v_sub_f32_e32 v110, v110, v4
	v_fma_f32 v114, 0x3fb8aa3b, v103, -v122
	v_rndne_f32_e32 v128, v122
	v_ldexp_f32 v56, v56, v67
	v_cvt_i32_f32_e32 v67, v121
	v_mul_f32_e32 v112, 0x3fb8aa3b, v110
	s_delay_alu instid0(VALU_DEP_4) | instskip(NEXT) | instid1(VALU_DEP_4)
	v_sub_f32_e32 v68, v122, v128
	v_cndmask_b32_e32 v56, 0, v56, vcc_lo
	v_cmp_ngt_f32_e32 vcc_lo, 0xc2ce8ed0, v55
	v_fmac_f32_e32 v120, 0x32a5705f, v55
	v_rndne_f32_e32 v121, v112
	s_delay_alu instid0(VALU_DEP_2) | instskip(SKIP_1) | instid1(VALU_DEP_3)
	v_add_f32_e32 v57, v57, v120
	v_fma_f32 v120, 0x3fb8aa3b, v110, -v112
	v_sub_f32_e32 v112, v112, v121
	v_cvt_i32_f32_e32 v109, v121
	s_delay_alu instid0(VALU_DEP_4) | instskip(NEXT) | instid1(VALU_DEP_3)
	v_exp_f32_e32 v57, v57
	v_fmac_f32_e32 v120, 0x32a5705f, v110
	v_fmac_f32_e32 v114, 0x32a5705f, v103
	s_waitcnt_depctr 0xfff
	v_ldexp_f32 v57, v57, v67
	v_cvt_i32_f32_e32 v67, v128
	s_delay_alu instid0(VALU_DEP_2) | instskip(SKIP_2) | instid1(VALU_DEP_3)
	v_cndmask_b32_e32 v57, 0, v57, vcc_lo
	v_cmp_nlt_f32_e32 vcc_lo, 0x42b17218, v55
	v_add_f32_e32 v55, v112, v120
	v_dual_add_f32 v68, v68, v114 :: v_dual_cndmask_b32 v57, 0x7f800000, v57
	s_delay_alu instid0(VALU_DEP_2) | instskip(NEXT) | instid1(VALU_DEP_1)
	v_exp_f32_e32 v55, v55
	v_exp_f32_e32 v68, v68
	s_waitcnt_depctr 0xfff
	v_ldexp_f32 v67, v68, v67
	s_delay_alu instid0(VALU_DEP_1) | instskip(SKIP_1) | instid1(VALU_DEP_1)
	v_cndmask_b32_e64 v67, 0, v67, s4
	v_cmp_nlt_f32_e64 s4, 0x42b17218, v103
	v_cndmask_b32_e64 v103, 0x7f800000, v67, s4
	v_add_f32_e32 v67, v57, v6
	v_cmp_ngt_f32_e32 vcc_lo, 0xc2ce8ed0, v110
	v_cvt_f16_f32_e32 v57, v57
	s_delay_alu instid0(VALU_DEP_3) | instskip(SKIP_3) | instid1(VALU_DEP_2)
	v_fmac_f32_e32 v67, v5, v103
	v_ldexp_f32 v5, v55, v109
	v_dual_max_f32 v55, v73, v73 :: v_dual_sub_f32 v102, v102, v4
	v_cvt_f16_f32_e32 v120, v6
	v_mul_f32_e32 v114, 0x3fb8aa3b, v102
	s_delay_alu instid0(VALU_DEP_1) | instskip(SKIP_1) | instid1(VALU_DEP_2)
	v_fma_f32 v68, 0x3fb8aa3b, v102, -v114
	v_rndne_f32_e32 v122, v114
	v_fmac_f32_e32 v68, 0x32a5705f, v102
	s_delay_alu instid0(VALU_DEP_2) | instskip(SKIP_1) | instid1(VALU_DEP_2)
	v_sub_f32_e32 v114, v114, v122
	v_cvt_i32_f32_e32 v112, v122
	v_add_f32_e32 v68, v114, v68
	v_cvt_f16_f32_e32 v114, v103
	s_delay_alu instid0(VALU_DEP_2) | instskip(NEXT) | instid1(VALU_DEP_1)
	v_exp_f32_e32 v68, v68
	v_pk_mul_f16 v103, v114, v53 op_sel_hi:[0,1]
	v_max_f32_e32 v53, v74, v74
	v_cndmask_b32_e64 v56, 0x7f800000, v56, s5
	v_pk_mul_f16 v109, v114, v54 op_sel_hi:[0,1]
	s_delay_alu instid0(VALU_DEP_2)
	v_cvt_f16_f32_e32 v54, v56
	s_waitcnt_depctr 0xfff
	v_ldexp_f32 v6, v68, v112
	v_cndmask_b32_e32 v68, 0, v5, vcc_lo
	v_max_f32_e32 v5, v55, v53
	v_cmp_ngt_f32_e64 s4, 0xc2ce8ed0, v102
	v_cmp_nlt_f32_e32 vcc_lo, 0x42b17218, v110
	s_delay_alu instid0(VALU_DEP_3) | instskip(NEXT) | instid1(VALU_DEP_3)
	v_sub_f32_e32 v73, v108, v5
	v_cndmask_b32_e64 v6, 0, v6, s4
	v_cmp_nlt_f32_e64 s4, 0x42b17218, v102
	v_cndmask_b32_e32 v53, 0x7f800000, v68, vcc_lo
	v_sub_f32_e32 v101, v101, v5
	v_cmp_ngt_f32_e32 vcc_lo, 0xc2ce8ed0, v73
	s_delay_alu instid0(VALU_DEP_4)
	v_cndmask_b32_e64 v55, 0x7f800000, v6, s4
	v_max_f32_e32 v6, v71, v71
	v_add_f32_e32 v68, v56, v53
	v_cvt_f16_f32_e32 v74, v53
	v_sub_f32_e32 v53, v107, v5
	v_cvt_f16_f32_e32 v71, v55
	v_max_f32_e32 v6, v70, v6
	v_mul_f32_e32 v56, 0x3fb8aa3b, v73
	v_fmac_f32_e32 v68, v8, v55
	v_mul_f32_e32 v8, 0x3fb8aa3b, v53
	s_delay_alu instid0(VALU_DEP_4) | instskip(NEXT) | instid1(VALU_DEP_4)
	v_dual_mul_f32 v114, 0x3fb8aa3b, v101 :: v_dual_sub_f32 v107, v123, v6
	v_fma_f32 v70, 0x3fb8aa3b, v73, -v56
	v_rndne_f32_e32 v102, v56
	s_delay_alu instid0(VALU_DEP_4) | instskip(SKIP_2) | instid1(VALU_DEP_4)
	v_fma_f32 v108, 0x3fb8aa3b, v53, -v8
	v_rndne_f32_e32 v110, v8
	v_rndne_f32_e32 v121, v114
	v_dual_fmac_f32 v70, 0x32a5705f, v73 :: v_dual_sub_f32 v55, v56, v102
	v_mul_f32_e32 v56, 0x3fb8aa3b, v107
	v_fmac_f32_e32 v108, 0x32a5705f, v53
	v_sub_f32_e32 v8, v8, v110
	v_cvt_i32_f32_e32 v102, v102
	v_add_f32_e32 v55, v55, v70
	v_fma_f32 v70, 0x3fb8aa3b, v107, -v56
	v_rndne_f32_e32 v112, v56
	v_add_f32_e32 v8, v8, v108
	v_fma_f32 v108, 0x3fb8aa3b, v101, -v114
	v_exp_f32_e32 v55, v55
	v_fmac_f32_e32 v70, 0x32a5705f, v107
	v_sub_f32_e32 v56, v56, v112
	v_exp_f32_e32 v8, v8
	v_fmac_f32_e32 v108, 0x32a5705f, v101
	v_cmp_ngt_f32_e64 s4, 0xc2ce8ed0, v53
	v_cmp_ngt_f32_e64 s5, 0xc2ce8ed0, v101
	v_add_f32_e32 v56, v56, v70
	v_sub_f32_e32 v70, v114, v121
	v_pk_mul_f16 v114, v71, v51 op_sel_hi:[0,1]
	v_ldexp_f32 v55, v55, v102
	v_cvt_i32_f32_e32 v102, v112
	v_exp_f32_e32 v51, v56
	v_cvt_i32_f32_e32 v56, v110
	s_delay_alu instid0(VALU_DEP_3) | instskip(SKIP_2) | instid1(VALU_DEP_4)
	v_dual_add_f32 v70, v70, v108 :: v_dual_cndmask_b32 v55, 0, v55
	v_cmp_nlt_f32_e32 vcc_lo, 0x42b17218, v73
	v_pk_mul_f16 v108, v71, v52 op_sel_hi:[0,1]
	v_ldexp_f32 v8, v8, v56
	s_delay_alu instid0(VALU_DEP_4) | instskip(SKIP_2) | instid1(VALU_DEP_3)
	v_exp_f32_e32 v56, v70
	v_dual_sub_f32 v71, v124, v6 :: v_dual_cndmask_b32 v52, 0x7f800000, v55
	v_cvt_i32_f32_e32 v55, v121
	v_cndmask_b32_e64 v8, 0, v8, s4
	v_cmp_nlt_f32_e64 s4, 0x42b17218, v53
	v_ldexp_f32 v51, v51, v102
	v_cvt_f16_f32_e32 v102, v52
	v_cmp_ngt_f32_e32 vcc_lo, 0xc2ce8ed0, v107
	s_delay_alu instid0(TRANS32_DEP_1)
	v_ldexp_f32 v53, v56, v55
	v_mul_f32_e32 v55, 0x3fb8aa3b, v71
	v_cndmask_b32_e64 v8, 0x7f800000, v8, s4
	v_cmp_nlt_f32_e64 s4, 0x42b17218, v101
	v_cndmask_b32_e32 v51, 0, v51, vcc_lo
	v_cndmask_b32_e64 v53, 0, v53, s5
	v_rndne_f32_e32 v73, v55
	v_fma_f32 v56, 0x3fb8aa3b, v71, -v55
	v_add_f32_e32 v70, v8, v52
	v_cmp_nlt_f32_e32 vcc_lo, 0x42b17218, v107
	v_cndmask_b32_e64 v53, 0x7f800000, v53, s4
	v_dual_sub_f32 v55, v55, v73 :: v_dual_sub_f32 v100, v100, v6
	v_dual_fmac_f32 v56, 0x32a5705f, v71 :: v_dual_max_f32 v107, v130, v130
	s_delay_alu instid0(VALU_DEP_3) | instskip(SKIP_1) | instid1(VALU_DEP_4)
	v_fmac_f32_e32 v70, v7, v53
	v_cvt_f16_f32_e32 v110, v53
	v_mul_f32_e32 v101, 0x3fb8aa3b, v100
	s_delay_alu instid0(VALU_DEP_4)
	v_add_f32_e32 v7, v55, v56
	v_cndmask_b32_e32 v51, 0x7f800000, v51, vcc_lo
	v_cmp_ngt_f32_e32 vcc_lo, 0xc2ce8ed0, v71
	v_pk_mul_f16 v49, v110, v49 op_sel_hi:[0,1]
	v_fma_f32 v52, 0x3fb8aa3b, v100, -v101
	v_rndne_f32_e32 v55, v101
	v_exp_f32_e32 v53, v7
	s_delay_alu instid0(VALU_DEP_1) | instskip(SKIP_2) | instid1(VALU_DEP_2)
	v_dual_fmac_f32 v52, 0x32a5705f, v100 :: v_dual_sub_f32 v101, v101, v55
	v_cvt_i32_f32_e32 v55, v55
	s_waitcnt lgkmcnt(0)
	v_dual_add_f32 v52, v101, v52 :: v_dual_max_f32 v101, v106, v106
	v_cvt_f16_f32_e32 v106, v8
	s_delay_alu instid0(VALU_DEP_2) | instskip(NEXT) | instid1(VALU_DEP_2)
	v_exp_f32_e32 v52, v52
	v_max_f32_e32 v8, v113, v101
	s_delay_alu instid0(VALU_DEP_1)
	v_sub_f32_e32 v122, v132, v8
	v_dual_max_f32 v56, v131, v131 :: v_dual_sub_f32 v113, v126, v8
	s_waitcnt_depctr 0xfff
	v_ldexp_f32 v52, v52, v55
	v_mul_f32_e32 v123, 0x3fb8aa3b, v122
	v_max_f32_e32 v7, v107, v56
	v_pk_mul_f16 v107, v110, v50 op_sel_hi:[0,1]
	v_cvt_i32_f32_e32 v50, v73
	v_mul_f32_e32 v121, 0x3fb8aa3b, v113
	v_cvt_f16_f32_e32 v56, v51
	v_sub_f32_e32 v73, v129, v7
	v_sub_f32_e32 v99, v99, v7
	v_ldexp_f32 v50, v53, v50
	v_rndne_f32_e32 v55, v121
	v_cmp_ngt_f32_e64 s4, 0xc2ce8ed0, v113
	s_delay_alu instid0(VALU_DEP_3) | instskip(SKIP_1) | instid1(VALU_DEP_2)
	v_dual_mul_f32 v53, 0x3fb8aa3b, v73 :: v_dual_cndmask_b32 v50, 0, v50
	v_cmp_nlt_f32_e32 vcc_lo, 0x42b17218, v71
	v_fma_f32 v101, 0x3fb8aa3b, v73, -v53
	v_rndne_f32_e32 v112, v53
	s_delay_alu instid0(VALU_DEP_4) | instskip(NEXT) | instid1(VALU_DEP_3)
	v_cndmask_b32_e32 v50, 0x7f800000, v50, vcc_lo
	v_fmac_f32_e32 v101, 0x32a5705f, v73
	s_delay_alu instid0(VALU_DEP_3) | instskip(NEXT) | instid1(VALU_DEP_3)
	v_sub_f32_e32 v53, v53, v112
	v_add_f32_e32 v71, v51, v50
	s_delay_alu instid0(VALU_DEP_2) | instskip(SKIP_2) | instid1(VALU_DEP_3)
	v_add_f32_e32 v51, v53, v101
	v_fma_f32 v53, 0x3fb8aa3b, v113, -v121
	v_sub_f32_e32 v101, v125, v7
	v_exp_f32_e32 v51, v51
	s_delay_alu instid0(VALU_DEP_2)
	v_fmac_f32_e32 v53, 0x32a5705f, v113
	v_cmp_ngt_f32_e32 vcc_lo, 0xc2ce8ed0, v100
	v_cndmask_b32_e32 v52, 0, v52, vcc_lo
	v_cmp_nlt_f32_e32 vcc_lo, 0x42b17218, v100
	v_sub_f32_e32 v100, v121, v55
	v_cvt_i32_f32_e32 v55, v55
	s_delay_alu instid0(VALU_DEP_4)
	v_cndmask_b32_e32 v121, 0x7f800000, v52, vcc_lo
	v_cvt_i32_f32_e32 v52, v112
	v_cvt_f16_f32_e32 v112, v50
	v_add_f32_e32 v50, v100, v53
	v_mul_f32_e32 v53, 0x3fb8aa3b, v101
	v_cmp_ngt_f32_e32 vcc_lo, 0xc2ce8ed0, v73
	v_ldexp_f32 v51, v51, v52
	v_fmac_f32_e32 v71, v97, v121
	s_delay_alu instid0(VALU_DEP_4) | instskip(SKIP_1) | instid1(VALU_DEP_4)
	v_fma_f32 v52, 0x3fb8aa3b, v101, -v53
	v_rndne_f32_e32 v100, v53
	v_cndmask_b32_e32 v51, 0, v51, vcc_lo
	v_cmp_nlt_f32_e32 vcc_lo, 0x42b17218, v73
	s_delay_alu instid0(VALU_DEP_3) | instskip(SKIP_1) | instid1(VALU_DEP_4)
	v_dual_fmac_f32 v52, 0x32a5705f, v101 :: v_dual_sub_f32 v53, v53, v100
	v_cvt_i32_f32_e32 v100, v100
	v_cndmask_b32_e32 v73, 0x7f800000, v51, vcc_lo
	v_cmp_nlt_f32_e32 vcc_lo, 0x42b17218, v113
	v_mul_f32_e32 v113, 0x3fb8aa3b, v99
	v_exp_f32_e32 v50, v50
	v_add_f32_e32 v52, v53, v52
	v_fma_f32 v53, 0x3fb8aa3b, v122, -v123
	v_rndne_f32_e32 v51, v123
	v_sub_f32_e32 v98, v98, v8
	s_delay_alu instid0(VALU_DEP_4) | instskip(NEXT) | instid1(VALU_DEP_3)
	v_exp_f32_e32 v52, v52
	v_fmac_f32_e32 v53, 0x32a5705f, v122
	s_delay_alu instid0(TRANS32_DEP_2) | instskip(SKIP_2) | instid1(VALU_DEP_3)
	v_ldexp_f32 v50, v50, v55
	v_sub_f32_e32 v55, v123, v51
	v_cvt_i32_f32_e32 v51, v51
	v_cndmask_b32_e64 v50, 0, v50, s4
	s_waitcnt_depctr 0xfff
	v_ldexp_f32 v52, v52, v100
	v_rndne_f32_e32 v100, v113
	v_dual_cndmask_b32 v123, 0x7f800000, v50 :: v_dual_add_f32 v50, v55, v53
	v_fma_f32 v55, 0x3fb8aa3b, v99, -v113
	s_delay_alu instid0(VALU_DEP_3) | instskip(SKIP_4) | instid1(VALU_DEP_4)
	v_sub_f32_e32 v113, v113, v100
	v_mul_f32_e32 v53, 0x3fb8aa3b, v98
	v_cmp_ngt_f32_e32 vcc_lo, 0xc2ce8ed0, v101
	v_cmp_ngt_f32_e64 s4, 0xc2ce8ed0, v122
	v_fmac_f32_e32 v55, 0x32a5705f, v99
	v_fma_f32 v124, 0x3fb8aa3b, v98, -v53
	v_rndne_f32_e32 v125, v53
	s_delay_alu instid0(VALU_DEP_3) | instskip(SKIP_1) | instid1(VALU_DEP_2)
	v_add_f32_e32 v55, v113, v55
	v_exp_f32_e32 v50, v50
	v_dual_sub_f32 v53, v53, v125 :: v_dual_fmac_f32 v124, 0x32a5705f, v98
	s_waitcnt_depctr 0xfff
	v_ldexp_f32 v50, v50, v51
	v_cndmask_b32_e32 v51, 0, v52, vcc_lo
	v_add_f32_e32 v52, v53, v124
	v_cmp_nlt_f32_e32 vcc_lo, 0x42b17218, v101
	v_exp_f32_e32 v53, v55
	v_cndmask_b32_e64 v50, 0, v50, s4
	v_cmp_nlt_f32_e64 s4, 0x42b17218, v122
	v_exp_f32_e32 v52, v52
	v_cndmask_b32_e32 v101, 0x7f800000, v51, vcc_lo
	v_cvt_i32_f32_e32 v51, v100
	v_cvt_f16_f32_e32 v55, v123
	v_cndmask_b32_e64 v100, 0x7f800000, v50, s4
	v_cvt_i32_f32_e32 v50, v125
	v_cvt_f16_f32_e32 v113, v101
	v_cvt_f16_f32_e32 v122, v73
	v_ldexp_f32 v124, v53, v51
	v_cvt_f16_f32_e32 v125, v100
	v_ldexp_f32 v126, v52, v50
	v_pack_b32_f16 v53, v113, v55
	v_pack_b32_f16 v52, v106, v56
	;; [unrolled: 1-line block ×4, first 2 shown]
	v_cmp_ngt_f32_e32 vcc_lo, 0xc2ce8ed0, v99
	v_cmp_ngt_f32_e64 s4, 0xc2ce8ed0, v98
	v_pack_b32_f16 v57, v122, v125
	v_pack_b32_f16 v56, v102, v112
	;; [unrolled: 1-line block ×4, first 2 shown]
	v_cndmask_b32_e32 v74, 0, v124, vcc_lo
	v_cndmask_b32_e64 v105, 0, v126, s4
	ds_store_b128 v92, v[50:53]
	ds_store_b128 v92, v[54:57] offset:512
	s_waitcnt vmcnt(1)
	ds_store_b128 v88, v[115:118]
	s_waitcnt vmcnt(0)
	ds_store_b128 v89, v[133:136]
	s_waitcnt lgkmcnt(0)
	s_barrier
	buffer_gl0_inv
	v_cmp_nlt_f32_e32 vcc_lo, 0x42b17218, v99
	ds_load_2addr_b64 v[50:53], v90 offset1:32
	ds_load_b128 v[54:57], v87
	v_cmp_nlt_f32_e64 s4, 0x42b17218, v98
	v_cvt_f16_f32_e32 v102, v121
	v_cndmask_b32_e32 v98, 0x7f800000, v74, vcc_lo
	v_add_f32_e32 v74, v101, v73
	s_delay_alu instid0(VALU_DEP_4) | instskip(NEXT) | instid1(VALU_DEP_4)
	v_cndmask_b32_e64 v97, 0x7f800000, v105, s4
	v_pk_mul_f16 v105, v102, v48 op_sel_hi:[0,1]
	v_add_f32_e32 v73, v123, v100
	v_cvt_f16_f32_e32 v99, v98
	v_pk_mul_f16 v47, v102, v47 op_sel_hi:[0,1]
	v_cvt_f16_f32_e32 v48, v97
	s_delay_alu instid0(VALU_DEP_4) | instskip(NEXT) | instid1(VALU_DEP_4)
	v_dual_fmac_f32 v74, v96, v98 :: v_dual_fmac_f32 v73, v95, v97
	v_pk_mul_f16 v106, v99, v45 op_sel_hi:[0,1]
	v_pk_mul_f16 v110, v99, v46 op_sel_hi:[0,1]
	s_delay_alu instid0(VALU_DEP_4)
	v_pk_mul_f16 v112, v48, v44 op_sel_hi:[0,1]
	v_pk_mul_f16 v113, v48, v43 op_sel_hi:[0,1]
	ds_load_b128 v[43:46], v87 offset:16
	ds_load_b128 v[95:98], v87 offset:32
	;; [unrolled: 1-line block ×3, first 2 shown]
	s_or_b32 s4, s16, 32
	s_waitcnt lgkmcnt(3)
	v_pk_fma_f16 v104, v50, v54, v104 op_sel_hi:[1,0,1]
	v_pk_fma_f16 v115, v50, v54, v119 op_sel:[0,1,0]
	v_pk_fma_f16 v103, v50, v55, v103 op_sel_hi:[1,0,1]
	v_pk_fma_f16 v114, v50, v55, v114 op_sel:[0,1,0]
	;; [unrolled: 2-line block ×5, first 2 shown]
	v_pk_fma_f16 v108, v51, v56, v49 op_sel_hi:[1,0,1]
	ds_load_2addr_b64 v[47:50], v90 offset0:64 offset1:96
	v_pk_fma_f16 v58, v51, v54, v58 op_sel_hi:[1,0,1]
	v_pk_fma_f16 v54, v51, v54, v111 op_sel:[0,1,0]
	v_pk_fma_f16 v56, v51, v56, v105 op_sel:[0,1,0]
	v_pk_fma_f16 v105, v51, v57, v110 op_sel_hi:[1,0,1]
	v_pk_fma_f16 v51, v51, v57, v113 op_sel:[0,1,0]
	s_waitcnt lgkmcnt(3)
	v_pk_fma_f16 v57, v52, v43, v104 op_sel_hi:[1,0,1]
	v_pk_fma_f16 v104, v52, v43, v115 op_sel:[0,1,0]
	v_pk_fma_f16 v103, v52, v44, v103 op_sel_hi:[1,0,1]
	v_pk_fma_f16 v110, v52, v44, v114 op_sel:[0,1,0]
	;; [unrolled: 2-line block ×8, first 2 shown]
	s_waitcnt lgkmcnt(0)
	v_pk_fma_f16 v57, v47, v95, v57 op_sel_hi:[1,0,1]
	v_pk_fma_f16 v104, v47, v95, v104 op_sel:[0,1,0]
	v_pk_fma_f16 v103, v47, v96, v103 op_sel_hi:[1,0,1]
	v_pk_fma_f16 v108, v47, v96, v110 op_sel:[0,1,0]
	;; [unrolled: 2-line block ×7, first 2 shown]
	ds_load_2addr_b64 v[43:46], v90 offset0:128 offset1:160
	ds_load_b128 v[51:54], v87 offset:64
	v_pk_fma_f16 v56, v48, v98, v56 op_sel_hi:[1,0,1]
	v_pk_fma_f16 v48, v48, v98, v105 op_sel:[0,1,0]
	v_pk_fma_f16 v98, v49, v99, v57 op_sel_hi:[1,0,1]
	v_pk_fma_f16 v104, v49, v99, v104 op_sel:[0,1,0]
	;; [unrolled: 2-line block ×8, first 2 shown]
	v_pk_fma_f16 v101, v50, v102, v56 op_sel_hi:[1,0,1]
	ds_load_b128 v[55:58], v87 offset:80
	v_pk_fma_f16 v102, v50, v102, v48 op_sel:[0,1,0]
	s_waitcnt lgkmcnt(1)
	v_pk_fma_f16 v109, v43, v51, v98 op_sel_hi:[1,0,1]
	v_pk_fma_f16 v104, v43, v51, v104 op_sel:[0,1,0]
	v_pk_fma_f16 v103, v43, v52, v103 op_sel_hi:[1,0,1]
	v_pk_fma_f16 v105, v43, v52, v105 op_sel:[0,1,0]
	;; [unrolled: 2-line block ×7, first 2 shown]
	ds_load_2addr_b64 v[47:50], v90 offset0:192 offset1:224
	ds_load_b128 v[95:98], v87 offset:96
	v_pk_fma_f16 v101, v44, v54, v101 op_sel_hi:[1,0,1]
	v_pk_fma_f16 v44, v44, v54, v102 op_sel:[0,1,0]
	s_mul_hi_i32 s5, s4, s17
	s_waitcnt lgkmcnt(2)
	v_pk_fma_f16 v102, v45, v55, v109 op_sel_hi:[1,0,1]
	v_pk_fma_f16 v104, v45, v55, v104 op_sel:[0,1,0]
	v_pk_fma_f16 v103, v45, v56, v103 op_sel_hi:[1,0,1]
	v_pk_fma_f16 v105, v45, v56, v105 op_sel:[0,1,0]
	;; [unrolled: 2-line block ×8, first 2 shown]
	ds_load_b128 v[51:54], v87 offset:112
	s_waitcnt lgkmcnt(1)
	v_pk_fma_f16 v46, v47, v95, v102 op_sel_hi:[1,0,1]
	v_pk_fma_f16 v104, v47, v95, v104 op_sel:[0,1,0]
	v_pk_fma_f16 v103, v47, v96, v103 op_sel_hi:[1,0,1]
	v_pk_fma_f16 v105, v47, v96, v105 op_sel:[0,1,0]
	;; [unrolled: 2-line block ×4, first 2 shown]
	v_pk_fma_f16 v47, v48, v95, v45 op_sel_hi:[1,0,1]
	v_add_nc_u32_e32 v45, 0x800, v90
	v_pk_fma_f16 v95, v48, v95, v55 op_sel:[0,1,0]
	v_pk_fma_f16 v110, v48, v96, v99 op_sel_hi:[1,0,1]
	v_pk_fma_f16 v96, v48, v96, v56 op_sel:[0,1,0]
	v_pk_fma_f16 v111, v48, v97, v100 op_sel_hi:[1,0,1]
	v_pk_fma_f16 v97, v48, v97, v57 op_sel:[0,1,0]
	ds_load_2addr_b64 v[55:58], v45 offset1:32
	ds_load_b128 v[99:102], v87 offset:128
	v_pk_fma_f16 v109, v48, v98, v109 op_sel_hi:[1,0,1]
	v_pk_fma_f16 v44, v48, v98, v44 op_sel:[0,1,0]
	s_mul_i32 s4, s4, s17
	s_waitcnt lgkmcnt(2)
	v_pk_fma_f16 v98, v49, v51, v46 op_sel_hi:[1,0,1]
	v_pk_fma_f16 v104, v49, v51, v104 op_sel:[0,1,0]
	v_pk_fma_f16 v103, v49, v52, v103 op_sel_hi:[1,0,1]
	v_pk_fma_f16 v105, v49, v52, v105 op_sel:[0,1,0]
	;; [unrolled: 2-line block ×7, first 2 shown]
	ds_load_b128 v[46:49], v87 offset:144
	v_pk_fma_f16 v109, v50, v54, v109 op_sel_hi:[1,0,1]
	v_pk_fma_f16 v44, v50, v54, v44 op_sel:[0,1,0]
	s_waitcnt lgkmcnt(1)
	v_pk_fma_f16 v54, v55, v99, v98 op_sel_hi:[1,0,1]
	v_pk_fma_f16 v104, v55, v99, v104 op_sel:[0,1,0]
	v_pk_fma_f16 v103, v55, v100, v103 op_sel_hi:[1,0,1]
	v_pk_fma_f16 v105, v55, v100, v105 op_sel:[0,1,0]
	;; [unrolled: 2-line block ×7, first 2 shown]
	ds_load_2addr_b64 v[50:53], v45 offset0:64 offset1:96
	ds_load_b128 v[95:98], v87 offset:160
	v_pk_fma_f16 v109, v56, v102, v109 op_sel_hi:[1,0,1]
	v_pk_fma_f16 v44, v56, v102, v44 op_sel:[0,1,0]
	s_waitcnt lgkmcnt(2)
	v_pk_fma_f16 v102, v57, v46, v54 op_sel_hi:[1,0,1]
	v_pk_fma_f16 v104, v57, v46, v104 op_sel:[0,1,0]
	v_pk_fma_f16 v103, v57, v47, v103 op_sel_hi:[1,0,1]
	v_pk_fma_f16 v105, v57, v47, v105 op_sel:[0,1,0]
	;; [unrolled: 2-line block ×4, first 2 shown]
	v_pk_fma_f16 v112, v58, v46, v55 op_sel_hi:[1,0,1]
	ds_load_b128 v[54:57], v87 offset:176
	s_lshl_b64 s[4:5], s[4:5], 2
	v_pk_fma_f16 v46, v58, v46, v99 op_sel:[0,1,0]
	v_pk_fma_f16 v99, v58, v47, v110 op_sel_hi:[1,0,1]
	v_pk_fma_f16 v47, v58, v47, v100 op_sel:[0,1,0]
	v_pk_fma_f16 v100, v58, v48, v111 op_sel_hi:[1,0,1]
	;; [unrolled: 2-line block ×3, first 2 shown]
	v_pk_fma_f16 v44, v58, v49, v44 op_sel:[0,1,0]
	s_add_u32 s4, s20, s4
	s_waitcnt lgkmcnt(1)
	v_pk_fma_f16 v49, v50, v95, v102 op_sel_hi:[1,0,1]
	v_pk_fma_f16 v58, v50, v95, v104 op_sel:[0,1,0]
	v_pk_fma_f16 v219, v50, v96, v103 op_sel_hi:[1,0,1]
	v_pk_fma_f16 v220, v50, v96, v105 op_sel:[0,1,0]
	;; [unrolled: 2-line block ×4, first 2 shown]
	s_addc_u32 s5, s21, s5
	v_add_co_u32 v50, vcc_lo, s4, v13
	v_pk_fma_f16 v225, v51, v95, v112 op_sel_hi:[1,0,1]
	v_pk_fma_f16 v226, v51, v95, v46 op_sel:[0,1,0]
	v_pk_fma_f16 v227, v51, v96, v99 op_sel_hi:[1,0,1]
	v_pk_fma_f16 v228, v51, v96, v47 op_sel:[0,1,0]
	;; [unrolled: 2-line block ×4, first 2 shown]
	v_add_co_ci_u32_e32 v51, vcc_lo, s5, v14, vcc_lo
	v_add_co_u32 v211, vcc_lo, s4, v15
	v_add_co_ci_u32_e32 v212, vcc_lo, s5, v16, vcc_lo
	v_add_co_u32 v50, vcc_lo, v50, v93
	s_delay_alu instid0(VALU_DEP_4) | instskip(NEXT) | instid1(VALU_DEP_4)
	v_add_co_ci_u32_e32 v51, vcc_lo, 0, v51, vcc_lo
	v_add_co_u32 v215, vcc_lo, v211, v93
	v_add_nc_u32_e32 v43, 0x1800, v90
	v_add_co_ci_u32_e32 v216, vcc_lo, 0, v212, vcc_lo
	v_add_nc_u32_e32 v44, 0x1000, v90
	s_waitcnt lgkmcnt(0)
	v_pk_fma_f16 v233, v52, v54, v49 op_sel_hi:[1,0,1]
	ds_load_2addr_b64 v[46:49], v45 offset0:128 offset1:160
	ds_load_b128 v[95:98], v87 offset:192
	ds_load_b128 v[99:102], v87 offset:208
	ds_load_2addr_b64 v[103:106], v45 offset0:192 offset1:224
	ds_load_b128 v[107:110], v87 offset:224
	ds_load_b128 v[111:114], v87 offset:240
	ds_load_2addr_b64 v[115:118], v44 offset1:32
	ds_load_b128 v[119:122], v87 offset:256
	ds_load_b128 v[123:126], v87 offset:272
	ds_load_2addr_b64 v[127:130], v44 offset0:64 offset1:96
	ds_load_b128 v[131:134], v87 offset:288
	ds_load_b128 v[135:138], v87 offset:304
	ds_load_2addr_b64 v[139:142], v44 offset0:128 offset1:160
	;; [unrolled: 3-line block ×3, first 2 shown]
	ds_load_b128 v[155:158], v87 offset:352
	ds_load_b128 v[159:162], v87 offset:368
	ds_load_2addr_b64 v[163:166], v43 offset1:32
	ds_load_b128 v[167:170], v87 offset:384
	ds_load_b128 v[171:174], v87 offset:400
	ds_load_2addr_b64 v[175:178], v43 offset0:64 offset1:96
	ds_load_b128 v[179:182], v87 offset:416
	ds_load_b128 v[183:186], v87 offset:432
	ds_load_2addr_b64 v[187:190], v43 offset0:128 offset1:160
	;; [unrolled: 3-line block ×3, first 2 shown]
	ds_load_b128 v[203:206], v87 offset:480
	ds_load_b128 v[207:210], v87 offset:496
	s_waitcnt lgkmcnt(0)
	s_barrier
	buffer_gl0_inv
	s_clause 0x1
	global_load_b128 v[211:214], v[50:51], off
	global_load_b128 v[215:218], v[215:216], off
	v_pk_fma_f16 v58, v52, v54, v58 op_sel:[0,1,0]
	v_pk_fma_f16 v50, v52, v55, v219 op_sel_hi:[1,0,1]
	v_pk_fma_f16 v51, v52, v55, v220 op_sel:[0,1,0]
	v_pk_fma_f16 v219, v52, v56, v221 op_sel_hi:[1,0,1]
	;; [unrolled: 2-line block ×20, first 2 shown]
	v_pk_fma_f16 v52, v49, v99, v54 op_sel:[0,1,0]
	v_pk_fma_f16 v47, v49, v102, v47 op_sel:[0,1,0]
	v_pk_fma_f16 v54, v49, v100, v95 op_sel_hi:[1,0,1]
	v_pk_fma_f16 v55, v49, v100, v55 op_sel:[0,1,0]
	v_pk_fma_f16 v95, v49, v101, v96 op_sel_hi:[1,0,1]
	;; [unrolled: 2-line block ×3, first 2 shown]
	v_pk_fma_f16 v49, v103, v107, v53 op_sel_hi:[1,0,1]
	v_pk_fma_f16 v53, v103, v107, v57 op_sel:[0,1,0]
	v_pk_fma_f16 v50, v103, v108, v50 op_sel_hi:[1,0,1]
	v_pk_fma_f16 v51, v103, v108, v51 op_sel:[0,1,0]
	v_pk_fma_f16 v46, v103, v110, v46 op_sel:[0,1,0]
	v_pk_fma_f16 v48, v104, v107, v48 op_sel_hi:[1,0,1]
	v_pk_fma_f16 v52, v104, v107, v52 op_sel:[0,1,0]
	;; [unrolled: 3-line block ×3, first 2 shown]
	v_pk_fma_f16 v50, v105, v112, v50 op_sel_hi:[1,0,1]
	v_pk_fma_f16 v51, v105, v112, v51 op_sel:[0,1,0]
	v_pk_fma_f16 v46, v105, v114, v46 op_sel:[0,1,0]
	v_pk_fma_f16 v48, v106, v111, v48 op_sel_hi:[1,0,1]
	v_pk_fma_f16 v52, v106, v111, v52 op_sel:[0,1,0]
	v_pk_fma_f16 v47, v106, v114, v47 op_sel:[0,1,0]
	v_pk_fma_f16 v57, v103, v109, v58 op_sel_hi:[1,0,1]
	v_pk_fma_f16 v58, v103, v109, v98 op_sel:[0,1,0]
	v_pk_fma_f16 v97, v103, v110, v219 op_sel_hi:[1,0,1]
	v_pk_fma_f16 v49, v115, v119, v49 op_sel_hi:[1,0,1]
	v_pk_fma_f16 v53, v115, v119, v53 op_sel:[0,1,0]
	v_pk_fma_f16 v50, v115, v120, v50 op_sel_hi:[1,0,1]
	v_pk_fma_f16 v51, v115, v120, v51 op_sel:[0,1,0]
	v_pk_fma_f16 v46, v115, v122, v46 op_sel:[0,1,0]
	v_pk_fma_f16 v48, v116, v119, v48 op_sel_hi:[1,0,1]
	v_pk_fma_f16 v52, v116, v119, v52 op_sel:[0,1,0]
	v_pk_fma_f16 v47, v116, v122, v47 op_sel:[0,1,0]
	v_pk_fma_f16 v54, v104, v108, v54 op_sel_hi:[1,0,1]
	v_pk_fma_f16 v55, v104, v108, v55 op_sel:[0,1,0]
	v_pk_fma_f16 v95, v104, v109, v95 op_sel_hi:[1,0,1]
	v_pk_fma_f16 v56, v104, v109, v56 op_sel:[0,1,0]
	v_pk_fma_f16 v96, v104, v110, v96 op_sel_hi:[1,0,1]
	v_pk_fma_f16 v57, v105, v113, v57 op_sel_hi:[1,0,1]
	v_pk_fma_f16 v58, v105, v113, v58 op_sel:[0,1,0]
	v_pk_fma_f16 v97, v105, v114, v97 op_sel_hi:[1,0,1]
	v_pk_fma_f16 v49, v117, v123, v49 op_sel_hi:[1,0,1]
	v_pk_fma_f16 v53, v117, v123, v53 op_sel:[0,1,0]
	v_pk_fma_f16 v50, v117, v124, v50 op_sel_hi:[1,0,1]
	v_pk_fma_f16 v51, v117, v124, v51 op_sel:[0,1,0]
	v_pk_fma_f16 v46, v117, v126, v46 op_sel:[0,1,0]
	v_pk_fma_f16 v48, v118, v123, v48 op_sel_hi:[1,0,1]
	v_pk_fma_f16 v52, v118, v123, v52 op_sel:[0,1,0]
	v_pk_fma_f16 v47, v118, v126, v47 op_sel:[0,1,0]
	v_pk_fma_f16 v54, v106, v112, v54 op_sel_hi:[1,0,1]
	v_pk_fma_f16 v55, v106, v112, v55 op_sel:[0,1,0]
	v_pk_fma_f16 v95, v106, v113, v95 op_sel_hi:[1,0,1]
	v_pk_fma_f16 v56, v106, v113, v56 op_sel:[0,1,0]
	v_pk_fma_f16 v96, v106, v114, v96 op_sel_hi:[1,0,1]
	;; [unrolled: 16-line block ×14, first 2 shown]
	v_pk_fma_f16 v57, v187, v193, v57 op_sel_hi:[1,0,1]
	v_pk_fma_f16 v58, v187, v193, v58 op_sel:[0,1,0]
	v_pk_fma_f16 v97, v187, v194, v97 op_sel_hi:[1,0,1]
	v_pk_fma_f16 v98, v199, v203, v49 op_sel_hi:[1,0,1]
	v_pk_fma_f16 v99, v199, v203, v53 op_sel:[0,1,0]
	v_pk_fma_f16 v100, v199, v204, v50 op_sel_hi:[1,0,1]
	v_pk_fma_f16 v101, v199, v204, v51 op_sel:[0,1,0]
	v_pk_fma_f16 v102, v199, v206, v46 op_sel:[0,1,0]
	v_pk_fma_f16 v103, v200, v203, v48 op_sel_hi:[1,0,1]
	v_pk_fma_f16 v104, v200, v203, v52 op_sel:[0,1,0]
	v_pk_fma_f16 v105, v200, v206, v47 op_sel:[0,1,0]
	s_waitcnt vmcnt(1)
	ds_store_b128 v88, v[211:214]
	s_waitcnt vmcnt(0)
	ds_store_b128 v89, v[215:218]
	s_waitcnt lgkmcnt(0)
	s_barrier
	buffer_gl0_inv
	ds_load_2addr_b64 v[46:49], v90 offset1:32
	ds_load_b128 v[50:53], v87 offset:512
	v_pk_fma_f16 v54, v188, v192, v54 op_sel_hi:[1,0,1]
	v_pk_fma_f16 v55, v188, v192, v55 op_sel:[0,1,0]
	v_pk_fma_f16 v95, v188, v193, v95 op_sel_hi:[1,0,1]
	v_pk_fma_f16 v56, v188, v193, v56 op_sel:[0,1,0]
	v_pk_fma_f16 v96, v188, v194, v96 op_sel_hi:[1,0,1]
	v_pk_fma_f16 v57, v189, v197, v57 op_sel_hi:[1,0,1]
	v_pk_fma_f16 v58, v189, v197, v58 op_sel:[0,1,0]
	v_pk_fma_f16 v97, v189, v198, v97 op_sel_hi:[1,0,1]
	v_pk_fma_f16 v54, v190, v196, v54 op_sel_hi:[1,0,1]
	v_pk_fma_f16 v55, v190, v196, v55 op_sel:[0,1,0]
	v_pk_fma_f16 v95, v190, v197, v95 op_sel_hi:[1,0,1]
	v_pk_fma_f16 v56, v190, v197, v56 op_sel:[0,1,0]
	v_pk_fma_f16 v96, v190, v198, v96 op_sel_hi:[1,0,1]
	v_pk_fma_f16 v57, v199, v205, v57 op_sel_hi:[1,0,1]
	v_pk_fma_f16 v58, v199, v205, v58 op_sel:[0,1,0]
	v_pk_fma_f16 v97, v199, v206, v97 op_sel_hi:[1,0,1]
	;; [unrolled: 8-line block ×3, first 2 shown]
	v_pk_fma_f16 v109, v201, v208, v101 op_sel:[0,1,0]
	v_pk_fma_f16 v110, v201, v209, v57 op_sel_hi:[1,0,1]
	v_pk_fma_f16 v58, v201, v209, v58 op_sel:[0,1,0]
	v_pk_fma_f16 v111, v201, v210, v97 op_sel_hi:[1,0,1]
	;; [unrolled: 2-line block ×6, first 2 shown]
	ds_load_b128 v[54:57], v87 offset:528
	ds_load_b128 v[95:98], v87 offset:544
	;; [unrolled: 1-line block ×3, first 2 shown]
	v_pk_fma_f16 v118, v202, v210, v105 op_sel:[0,1,0]
	s_waitcnt lgkmcnt(3)
	v_pk_fma_f16 v119, v46, v50, v106 op_sel_hi:[1,0,1]
	v_pk_fma_f16 v107, v46, v50, v107 op_sel:[0,1,0]
	v_pk_fma_f16 v108, v46, v51, v108 op_sel_hi:[1,0,1]
	v_pk_fma_f16 v109, v46, v51, v109 op_sel:[0,1,0]
	;; [unrolled: 2-line block ×5, first 2 shown]
	ds_load_2addr_b64 v[103:106], v90 offset0:64 offset1:96
	v_pk_fma_f16 v113, v47, v51, v113 op_sel_hi:[1,0,1]
	v_pk_fma_f16 v51, v47, v51, v114 op_sel:[0,1,0]
	v_pk_fma_f16 v114, v47, v52, v115 op_sel_hi:[1,0,1]
	v_pk_fma_f16 v52, v47, v52, v116 op_sel:[0,1,0]
	;; [unrolled: 2-line block ×3, first 2 shown]
	s_waitcnt lgkmcnt(3)
	v_pk_fma_f16 v53, v48, v54, v119 op_sel_hi:[1,0,1]
	v_pk_fma_f16 v107, v48, v54, v107 op_sel:[0,1,0]
	v_pk_fma_f16 v108, v48, v55, v108 op_sel_hi:[1,0,1]
	v_pk_fma_f16 v109, v48, v55, v109 op_sel:[0,1,0]
	;; [unrolled: 2-line block ×8, first 2 shown]
	s_waitcnt lgkmcnt(0)
	v_pk_fma_f16 v112, v103, v95, v53 op_sel_hi:[1,0,1]
	v_pk_fma_f16 v107, v103, v95, v107 op_sel:[0,1,0]
	v_pk_fma_f16 v108, v103, v96, v108 op_sel_hi:[1,0,1]
	v_pk_fma_f16 v109, v103, v96, v109 op_sel:[0,1,0]
	;; [unrolled: 2-line block ×7, first 2 shown]
	ds_load_2addr_b64 v[46:49], v90 offset0:128 offset1:160
	ds_load_b128 v[50:53], v87 offset:576
	v_pk_fma_f16 v56, v104, v98, v56 op_sel_hi:[1,0,1]
	v_pk_fma_f16 v98, v104, v98, v57 op_sel:[0,1,0]
	v_pk_fma_f16 v104, v105, v99, v112 op_sel_hi:[1,0,1]
	v_pk_fma_f16 v107, v105, v99, v107 op_sel:[0,1,0]
	;; [unrolled: 2-line block ×7, first 2 shown]
	v_pk_fma_f16 v100, v106, v101, v55 op_sel_hi:[1,0,1]
	v_pk_fma_f16 v112, v106, v102, v56 op_sel_hi:[1,0,1]
	ds_load_b128 v[54:57], v87 offset:592
	v_pk_fma_f16 v97, v106, v101, v97 op_sel:[0,1,0]
	v_pk_fma_f16 v106, v106, v102, v98 op_sel:[0,1,0]
	s_waitcnt lgkmcnt(1)
	v_pk_fma_f16 v104, v46, v50, v104 op_sel_hi:[1,0,1]
	v_pk_fma_f16 v107, v46, v50, v107 op_sel:[0,1,0]
	v_pk_fma_f16 v108, v46, v51, v108 op_sel_hi:[1,0,1]
	v_pk_fma_f16 v109, v46, v51, v109 op_sel:[0,1,0]
	;; [unrolled: 2-line block ×7, first 2 shown]
	ds_load_2addr_b64 v[95:98], v90 offset0:192 offset1:224
	ds_load_b128 v[99:102], v87 offset:608
	v_pk_fma_f16 v112, v47, v53, v112 op_sel_hi:[1,0,1]
	v_pk_fma_f16 v47, v47, v53, v106 op_sel:[0,1,0]
	s_waitcnt lgkmcnt(2)
	v_pk_fma_f16 v104, v48, v54, v104 op_sel_hi:[1,0,1]
	v_pk_fma_f16 v106, v48, v54, v107 op_sel:[0,1,0]
	v_pk_fma_f16 v107, v48, v55, v108 op_sel_hi:[1,0,1]
	v_pk_fma_f16 v108, v48, v55, v109 op_sel:[0,1,0]
	;; [unrolled: 2-line block ×7, first 2 shown]
	ds_load_b128 v[50:53], v87 offset:624
	v_pk_fma_f16 v111, v49, v57, v112 op_sel_hi:[1,0,1]
	v_pk_fma_f16 v112, v49, v57, v47 op_sel:[0,1,0]
	s_waitcnt lgkmcnt(1)
	v_pk_fma_f16 v104, v95, v99, v104 op_sel_hi:[1,0,1]
	v_pk_fma_f16 v106, v95, v99, v106 op_sel:[0,1,0]
	v_pk_fma_f16 v107, v95, v100, v107 op_sel_hi:[1,0,1]
	v_pk_fma_f16 v108, v95, v100, v108 op_sel:[0,1,0]
	;; [unrolled: 2-line block ×7, first 2 shown]
	ds_load_2addr_b64 v[46:49], v45 offset1:32
	ds_load_b128 v[54:57], v87 offset:640
	v_pk_fma_f16 v111, v96, v102, v111 op_sel_hi:[1,0,1]
	v_pk_fma_f16 v96, v96, v102, v112 op_sel:[0,1,0]
	s_waitcnt lgkmcnt(2)
	v_pk_fma_f16 v104, v97, v50, v104 op_sel_hi:[1,0,1]
	v_pk_fma_f16 v106, v97, v50, v106 op_sel:[0,1,0]
	v_pk_fma_f16 v107, v97, v51, v107 op_sel_hi:[1,0,1]
	v_pk_fma_f16 v108, v97, v51, v108 op_sel:[0,1,0]
	v_pk_fma_f16 v109, v97, v52, v109 op_sel_hi:[1,0,1]
	v_pk_fma_f16 v58, v97, v52, v58 op_sel:[0,1,0]
	v_pk_fma_f16 v110, v97, v53, v110 op_sel_hi:[1,0,1]
	v_pk_fma_f16 v95, v97, v53, v95 op_sel:[0,1,0]
	v_pk_fma_f16 v97, v98, v50, v113 op_sel_hi:[1,0,1]
	v_pk_fma_f16 v50, v98, v50, v99 op_sel:[0,1,0]
	v_pk_fma_f16 v103, v98, v51, v103 op_sel_hi:[1,0,1]
	v_pk_fma_f16 v51, v98, v51, v100 op_sel:[0,1,0]
	v_pk_fma_f16 v105, v98, v52, v105 op_sel_hi:[1,0,1]
	v_pk_fma_f16 v52, v98, v52, v101 op_sel:[0,1,0]
	ds_load_b128 v[99:102], v87 offset:656
	v_pk_fma_f16 v111, v98, v53, v111 op_sel_hi:[1,0,1]
	v_pk_fma_f16 v112, v98, v53, v96 op_sel:[0,1,0]
	s_waitcnt lgkmcnt(1)
	v_pk_fma_f16 v104, v46, v54, v104 op_sel_hi:[1,0,1]
	v_pk_fma_f16 v106, v46, v54, v106 op_sel:[0,1,0]
	v_pk_fma_f16 v107, v46, v55, v107 op_sel_hi:[1,0,1]
	v_pk_fma_f16 v108, v46, v55, v108 op_sel:[0,1,0]
	v_pk_fma_f16 v109, v46, v56, v109 op_sel_hi:[1,0,1]
	v_pk_fma_f16 v58, v46, v56, v58 op_sel:[0,1,0]
	v_pk_fma_f16 v110, v46, v57, v110 op_sel_hi:[1,0,1]
	v_pk_fma_f16 v46, v46, v57, v95 op_sel:[0,1,0]
	v_pk_fma_f16 v113, v47, v54, v97 op_sel_hi:[1,0,1]
	v_pk_fma_f16 v54, v47, v54, v50 op_sel:[0,1,0]
	v_pk_fma_f16 v103, v47, v55, v103 op_sel_hi:[1,0,1]
	v_pk_fma_f16 v55, v47, v55, v51 op_sel:[0,1,0]
	v_pk_fma_f16 v105, v47, v56, v105 op_sel_hi:[1,0,1]
	v_pk_fma_f16 v56, v47, v56, v52 op_sel:[0,1,0]
	ds_load_2addr_b64 v[50:53], v45 offset0:64 offset1:96
	ds_load_b128 v[95:98], v87 offset:672
	v_pk_fma_f16 v111, v47, v57, v111 op_sel_hi:[1,0,1]
	v_pk_fma_f16 v47, v47, v57, v112 op_sel:[0,1,0]
	s_waitcnt lgkmcnt(2)
	v_pk_fma_f16 v104, v48, v99, v104 op_sel_hi:[1,0,1]
	v_pk_fma_f16 v106, v48, v99, v106 op_sel:[0,1,0]
	v_pk_fma_f16 v107, v48, v100, v107 op_sel_hi:[1,0,1]
	v_pk_fma_f16 v108, v48, v100, v108 op_sel:[0,1,0]
	v_pk_fma_f16 v109, v48, v101, v109 op_sel_hi:[1,0,1]
	v_pk_fma_f16 v58, v48, v101, v58 op_sel:[0,1,0]
	v_pk_fma_f16 v110, v48, v102, v110 op_sel_hi:[1,0,1]
	v_pk_fma_f16 v46, v48, v102, v46 op_sel:[0,1,0]
	v_pk_fma_f16 v48, v49, v99, v113 op_sel_hi:[1,0,1]
	v_pk_fma_f16 v99, v49, v99, v54 op_sel:[0,1,0]
	v_pk_fma_f16 v103, v49, v100, v103 op_sel_hi:[1,0,1]
	v_pk_fma_f16 v100, v49, v100, v55 op_sel:[0,1,0]
	v_pk_fma_f16 v105, v49, v101, v105 op_sel_hi:[1,0,1]
	v_pk_fma_f16 v101, v49, v101, v56 op_sel:[0,1,0]
	ds_load_b128 v[54:57], v87 offset:688
	v_pk_fma_f16 v111, v49, v102, v111 op_sel_hi:[1,0,1]
	v_pk_fma_f16 v112, v49, v102, v47 op_sel:[0,1,0]
	s_waitcnt lgkmcnt(1)
	v_pk_fma_f16 v104, v50, v95, v104 op_sel_hi:[1,0,1]
	v_pk_fma_f16 v106, v50, v95, v106 op_sel:[0,1,0]
	v_pk_fma_f16 v107, v50, v96, v107 op_sel_hi:[1,0,1]
	v_pk_fma_f16 v108, v50, v96, v108 op_sel:[0,1,0]
	v_pk_fma_f16 v109, v50, v97, v109 op_sel_hi:[1,0,1]
	v_pk_fma_f16 v58, v50, v97, v58 op_sel:[0,1,0]
	v_pk_fma_f16 v110, v50, v98, v110 op_sel_hi:[1,0,1]
	v_pk_fma_f16 v50, v50, v98, v46 op_sel:[0,1,0]
	v_pk_fma_f16 v113, v51, v95, v48 op_sel_hi:[1,0,1]
	v_pk_fma_f16 v95, v51, v95, v99 op_sel:[0,1,0]
	v_pk_fma_f16 v103, v51, v96, v103 op_sel_hi:[1,0,1]
	v_pk_fma_f16 v96, v51, v96, v100 op_sel:[0,1,0]
	v_pk_fma_f16 v105, v51, v97, v105 op_sel_hi:[1,0,1]
	v_pk_fma_f16 v97, v51, v97, v101 op_sel:[0,1,0]
	ds_load_2addr_b64 v[46:49], v45 offset0:128 offset1:160
	;; [unrolled: 37-line block ×3, first 2 shown]
	ds_load_b128 v[54:57], v87 offset:736
	v_pk_fma_f16 v45, v47, v102, v111 op_sel_hi:[1,0,1]
	v_pk_fma_f16 v102, v47, v102, v112 op_sel:[0,1,0]
	s_waitcnt lgkmcnt(2)
	v_pk_fma_f16 v104, v48, v95, v104 op_sel_hi:[1,0,1]
	v_pk_fma_f16 v106, v48, v95, v106 op_sel:[0,1,0]
	v_pk_fma_f16 v107, v48, v96, v107 op_sel_hi:[1,0,1]
	v_pk_fma_f16 v108, v48, v96, v108 op_sel:[0,1,0]
	v_pk_fma_f16 v109, v48, v97, v109 op_sel_hi:[1,0,1]
	v_pk_fma_f16 v58, v48, v97, v58 op_sel:[0,1,0]
	v_pk_fma_f16 v110, v48, v98, v110 op_sel_hi:[1,0,1]
	v_pk_fma_f16 v111, v48, v98, v46 op_sel:[0,1,0]
	v_pk_fma_f16 v112, v49, v95, v113 op_sel_hi:[1,0,1]
	v_pk_fma_f16 v95, v49, v95, v99 op_sel:[0,1,0]
	v_pk_fma_f16 v99, v49, v96, v103 op_sel_hi:[1,0,1]
	v_pk_fma_f16 v103, v49, v98, v45 op_sel_hi:[1,0,1]
	ds_load_b128 v[45:48], v87 offset:752
	v_pk_fma_f16 v96, v49, v96, v100 op_sel:[0,1,0]
	v_pk_fma_f16 v100, v49, v97, v105 op_sel_hi:[1,0,1]
	v_pk_fma_f16 v97, v49, v97, v101 op_sel:[0,1,0]
	v_pk_fma_f16 v49, v49, v98, v102 op_sel:[0,1,0]
	s_waitcnt lgkmcnt(1)
	v_pk_fma_f16 v104, v50, v54, v104 op_sel_hi:[1,0,1]
	v_pk_fma_f16 v105, v50, v54, v106 op_sel:[0,1,0]
	v_pk_fma_f16 v106, v50, v55, v107 op_sel_hi:[1,0,1]
	v_pk_fma_f16 v107, v50, v55, v108 op_sel:[0,1,0]
	;; [unrolled: 2-line block ×7, first 2 shown]
	ds_load_2addr_b64 v[95:98], v44 offset1:32
	ds_load_b128 v[99:102], v87 offset:768
	v_pk_fma_f16 v103, v51, v57, v103 op_sel_hi:[1,0,1]
	v_pk_fma_f16 v57, v51, v57, v49 op_sel:[0,1,0]
	s_waitcnt lgkmcnt(2)
	v_pk_fma_f16 v104, v52, v45, v104 op_sel_hi:[1,0,1]
	v_pk_fma_f16 v105, v52, v45, v105 op_sel:[0,1,0]
	v_pk_fma_f16 v106, v52, v46, v106 op_sel_hi:[1,0,1]
	v_pk_fma_f16 v107, v52, v46, v107 op_sel:[0,1,0]
	v_pk_fma_f16 v108, v52, v47, v108 op_sel_hi:[1,0,1]
	v_pk_fma_f16 v58, v52, v47, v58 op_sel:[0,1,0]
	v_pk_fma_f16 v109, v52, v48, v109 op_sel_hi:[1,0,1]
	v_pk_fma_f16 v113, v52, v48, v50 op_sel:[0,1,0]
	ds_load_b128 v[49:52], v87 offset:784
	v_pk_fma_f16 v110, v53, v45, v110 op_sel_hi:[1,0,1]
	v_pk_fma_f16 v45, v53, v45, v54 op_sel:[0,1,0]
	v_pk_fma_f16 v54, v53, v46, v111 op_sel_hi:[1,0,1]
	v_pk_fma_f16 v46, v53, v46, v55 op_sel:[0,1,0]
	;; [unrolled: 2-line block ×4, first 2 shown]
	s_waitcnt lgkmcnt(1)
	v_pk_fma_f16 v104, v95, v99, v104 op_sel_hi:[1,0,1]
	v_pk_fma_f16 v105, v95, v99, v105 op_sel:[0,1,0]
	v_pk_fma_f16 v106, v95, v100, v106 op_sel_hi:[1,0,1]
	v_pk_fma_f16 v107, v95, v100, v107 op_sel:[0,1,0]
	v_pk_fma_f16 v108, v95, v101, v108 op_sel_hi:[1,0,1]
	v_pk_fma_f16 v58, v95, v101, v58 op_sel:[0,1,0]
	v_pk_fma_f16 v109, v95, v102, v109 op_sel_hi:[1,0,1]
	v_pk_fma_f16 v95, v95, v102, v113 op_sel:[0,1,0]
	v_pk_fma_f16 v110, v96, v99, v110 op_sel_hi:[1,0,1]
	v_pk_fma_f16 v99, v96, v99, v45 op_sel:[0,1,0]
	v_pk_fma_f16 v111, v96, v100, v54 op_sel_hi:[1,0,1]
	v_pk_fma_f16 v100, v96, v100, v46 op_sel:[0,1,0]
	v_pk_fma_f16 v112, v96, v101, v55 op_sel_hi:[1,0,1]
	v_pk_fma_f16 v101, v96, v101, v47 op_sel:[0,1,0]
	ds_load_2addr_b64 v[45:48], v44 offset0:64 offset1:96
	ds_load_b128 v[53:56], v87 offset:800
	v_pk_fma_f16 v103, v96, v102, v103 op_sel_hi:[1,0,1]
	v_pk_fma_f16 v57, v96, v102, v57 op_sel:[0,1,0]
	s_waitcnt lgkmcnt(2)
	v_pk_fma_f16 v96, v97, v49, v104 op_sel_hi:[1,0,1]
	v_pk_fma_f16 v104, v97, v49, v105 op_sel:[0,1,0]
	v_pk_fma_f16 v105, v97, v50, v106 op_sel_hi:[1,0,1]
	v_pk_fma_f16 v106, v97, v50, v107 op_sel:[0,1,0]
	;; [unrolled: 2-line block ×7, first 2 shown]
	ds_load_b128 v[99:102], v87 offset:816
	v_pk_fma_f16 v103, v98, v52, v103 op_sel_hi:[1,0,1]
	v_pk_fma_f16 v57, v98, v52, v57 op_sel:[0,1,0]
	s_waitcnt lgkmcnt(1)
	v_pk_fma_f16 v111, v45, v53, v96 op_sel_hi:[1,0,1]
	v_pk_fma_f16 v104, v45, v53, v104 op_sel:[0,1,0]
	v_pk_fma_f16 v105, v45, v54, v105 op_sel_hi:[1,0,1]
	v_pk_fma_f16 v106, v45, v54, v106 op_sel:[0,1,0]
	;; [unrolled: 2-line block ×7, first 2 shown]
	ds_load_2addr_b64 v[49:52], v44 offset0:128 offset1:160
	ds_load_b128 v[95:98], v87 offset:832
	v_pk_fma_f16 v103, v46, v56, v103 op_sel_hi:[1,0,1]
	v_pk_fma_f16 v46, v46, v56, v57 op_sel:[0,1,0]
	s_waitcnt lgkmcnt(2)
	v_pk_fma_f16 v57, v47, v99, v111 op_sel_hi:[1,0,1]
	v_pk_fma_f16 v104, v47, v99, v104 op_sel:[0,1,0]
	v_pk_fma_f16 v105, v47, v100, v105 op_sel_hi:[1,0,1]
	v_pk_fma_f16 v106, v47, v100, v106 op_sel:[0,1,0]
	;; [unrolled: 2-line block ×7, first 2 shown]
	ds_load_b128 v[53:56], v87 offset:848
	v_pk_fma_f16 v103, v48, v102, v103 op_sel_hi:[1,0,1]
	v_pk_fma_f16 v48, v48, v102, v46 op_sel:[0,1,0]
	s_waitcnt lgkmcnt(1)
	v_pk_fma_f16 v57, v49, v95, v57 op_sel_hi:[1,0,1]
	v_pk_fma_f16 v104, v49, v95, v104 op_sel:[0,1,0]
	v_pk_fma_f16 v105, v49, v96, v105 op_sel_hi:[1,0,1]
	v_pk_fma_f16 v106, v49, v96, v106 op_sel:[0,1,0]
	;; [unrolled: 2-line block ×7, first 2 shown]
	ds_load_2addr_b64 v[44:47], v44 offset0:192 offset1:224
	ds_load_b128 v[99:102], v87 offset:864
	v_pk_fma_f16 v103, v50, v98, v103 op_sel_hi:[1,0,1]
	v_pk_fma_f16 v98, v50, v98, v48 op_sel:[0,1,0]
	s_waitcnt lgkmcnt(2)
	v_pk_fma_f16 v57, v51, v53, v57 op_sel_hi:[1,0,1]
	v_pk_fma_f16 v104, v51, v53, v104 op_sel:[0,1,0]
	v_pk_fma_f16 v105, v51, v54, v105 op_sel_hi:[1,0,1]
	v_pk_fma_f16 v106, v51, v54, v106 op_sel:[0,1,0]
	;; [unrolled: 2-line block ×4, first 2 shown]
	ds_load_b128 v[48:51], v87 offset:880
	v_pk_fma_f16 v111, v52, v53, v111 op_sel_hi:[1,0,1]
	v_pk_fma_f16 v53, v52, v53, v95 op_sel:[0,1,0]
	v_pk_fma_f16 v95, v52, v54, v109 op_sel_hi:[1,0,1]
	v_pk_fma_f16 v54, v52, v54, v96 op_sel:[0,1,0]
	;; [unrolled: 2-line block ×4, first 2 shown]
	s_waitcnt lgkmcnt(1)
	v_pk_fma_f16 v57, v44, v99, v57 op_sel_hi:[1,0,1]
	v_pk_fma_f16 v104, v44, v99, v104 op_sel:[0,1,0]
	v_pk_fma_f16 v105, v44, v100, v105 op_sel_hi:[1,0,1]
	v_pk_fma_f16 v106, v44, v100, v106 op_sel:[0,1,0]
	;; [unrolled: 2-line block ×7, first 2 shown]
	ds_load_2addr_b64 v[52:55], v43 offset1:32
	ds_load_b128 v[95:98], v87 offset:896
	v_pk_fma_f16 v103, v45, v102, v103 op_sel_hi:[1,0,1]
	v_pk_fma_f16 v45, v45, v102, v56 op_sel:[0,1,0]
	s_waitcnt lgkmcnt(2)
	v_pk_fma_f16 v56, v46, v48, v57 op_sel_hi:[1,0,1]
	v_pk_fma_f16 v57, v46, v48, v104 op_sel:[0,1,0]
	v_pk_fma_f16 v104, v46, v49, v105 op_sel_hi:[1,0,1]
	v_pk_fma_f16 v105, v46, v49, v106 op_sel:[0,1,0]
	v_pk_fma_f16 v106, v46, v50, v107 op_sel_hi:[1,0,1]
	v_pk_fma_f16 v58, v46, v50, v58 op_sel:[0,1,0]
	v_pk_fma_f16 v107, v46, v51, v108 op_sel_hi:[1,0,1]
	v_pk_fma_f16 v44, v46, v51, v44 op_sel:[0,1,0]
	v_pk_fma_f16 v46, v47, v48, v109 op_sel_hi:[1,0,1]
	v_pk_fma_f16 v48, v47, v48, v99 op_sel:[0,1,0]
	v_pk_fma_f16 v108, v47, v49, v110 op_sel_hi:[1,0,1]
	v_pk_fma_f16 v49, v47, v49, v100 op_sel:[0,1,0]
	v_pk_fma_f16 v109, v47, v50, v111 op_sel_hi:[1,0,1]
	v_pk_fma_f16 v50, v47, v50, v101 op_sel:[0,1,0]
	ds_load_b128 v[99:102], v87 offset:912
	v_pk_fma_f16 v103, v47, v51, v103 op_sel_hi:[1,0,1]
	v_pk_fma_f16 v110, v47, v51, v45 op_sel:[0,1,0]
	s_waitcnt lgkmcnt(1)
	v_pk_fma_f16 v56, v52, v95, v56 op_sel_hi:[1,0,1]
	v_pk_fma_f16 v57, v52, v95, v57 op_sel:[0,1,0]
	v_pk_fma_f16 v104, v52, v96, v104 op_sel_hi:[1,0,1]
	v_pk_fma_f16 v105, v52, v96, v105 op_sel:[0,1,0]
	v_pk_fma_f16 v106, v52, v97, v106 op_sel_hi:[1,0,1]
	v_pk_fma_f16 v58, v52, v97, v58 op_sel:[0,1,0]
	v_pk_fma_f16 v107, v52, v98, v107 op_sel_hi:[1,0,1]
	v_pk_fma_f16 v52, v52, v98, v44 op_sel:[0,1,0]
	v_pk_fma_f16 v111, v53, v95, v46 op_sel_hi:[1,0,1]
	v_pk_fma_f16 v95, v53, v95, v48 op_sel:[0,1,0]
	v_pk_fma_f16 v108, v53, v96, v108 op_sel_hi:[1,0,1]
	v_pk_fma_f16 v96, v53, v96, v49 op_sel:[0,1,0]
	v_pk_fma_f16 v109, v53, v97, v109 op_sel_hi:[1,0,1]
	v_pk_fma_f16 v97, v53, v97, v50 op_sel:[0,1,0]
	ds_load_2addr_b64 v[44:47], v43 offset0:64 offset1:96
	ds_load_b128 v[48:51], v87 offset:928
	v_pk_fma_f16 v103, v53, v98, v103 op_sel_hi:[1,0,1]
	v_pk_fma_f16 v53, v53, v98, v110 op_sel:[0,1,0]
	s_waitcnt lgkmcnt(2)
	v_pk_fma_f16 v56, v54, v99, v56 op_sel_hi:[1,0,1]
	v_pk_fma_f16 v57, v54, v99, v57 op_sel:[0,1,0]
	v_pk_fma_f16 v104, v54, v100, v104 op_sel_hi:[1,0,1]
	v_pk_fma_f16 v105, v54, v100, v105 op_sel:[0,1,0]
	v_pk_fma_f16 v106, v54, v101, v106 op_sel_hi:[1,0,1]
	v_pk_fma_f16 v58, v54, v101, v58 op_sel:[0,1,0]
	v_pk_fma_f16 v107, v54, v102, v107 op_sel_hi:[1,0,1]
	v_pk_fma_f16 v52, v54, v102, v52 op_sel:[0,1,0]
	v_pk_fma_f16 v54, v55, v99, v111 op_sel_hi:[1,0,1]
	v_pk_fma_f16 v99, v55, v99, v95 op_sel:[0,1,0]
	v_pk_fma_f16 v108, v55, v100, v108 op_sel_hi:[1,0,1]
	v_pk_fma_f16 v100, v55, v100, v96 op_sel:[0,1,0]
	v_pk_fma_f16 v109, v55, v101, v109 op_sel_hi:[1,0,1]
	v_pk_fma_f16 v101, v55, v101, v97 op_sel:[0,1,0]
	ds_load_b128 v[95:98], v87 offset:944
	v_pk_fma_f16 v103, v55, v102, v103 op_sel_hi:[1,0,1]
	v_pk_fma_f16 v110, v55, v102, v53 op_sel:[0,1,0]
	s_waitcnt lgkmcnt(1)
	v_pk_fma_f16 v56, v44, v48, v56 op_sel_hi:[1,0,1]
	v_pk_fma_f16 v57, v44, v48, v57 op_sel:[0,1,0]
	v_pk_fma_f16 v104, v44, v49, v104 op_sel_hi:[1,0,1]
	v_pk_fma_f16 v105, v44, v49, v105 op_sel:[0,1,0]
	v_pk_fma_f16 v106, v44, v50, v106 op_sel_hi:[1,0,1]
	v_pk_fma_f16 v58, v44, v50, v58 op_sel:[0,1,0]
	v_pk_fma_f16 v107, v44, v51, v107 op_sel_hi:[1,0,1]
	v_pk_fma_f16 v44, v44, v51, v52 op_sel:[0,1,0]
	v_pk_fma_f16 v111, v45, v48, v54 op_sel_hi:[1,0,1]
	v_pk_fma_f16 v48, v45, v48, v99 op_sel:[0,1,0]
	v_pk_fma_f16 v108, v45, v49, v108 op_sel_hi:[1,0,1]
	v_pk_fma_f16 v49, v45, v49, v100 op_sel:[0,1,0]
	v_pk_fma_f16 v109, v45, v50, v109 op_sel_hi:[1,0,1]
	v_pk_fma_f16 v50, v45, v50, v101 op_sel:[0,1,0]
	ds_load_2addr_b64 v[52:55], v43 offset0:128 offset1:160
	ds_load_b128 v[99:102], v87 offset:960
	v_pk_fma_f16 v103, v45, v51, v103 op_sel_hi:[1,0,1]
	v_pk_fma_f16 v45, v45, v51, v110 op_sel:[0,1,0]
	s_waitcnt lgkmcnt(2)
	v_pk_fma_f16 v56, v46, v95, v56 op_sel_hi:[1,0,1]
	v_pk_fma_f16 v57, v46, v95, v57 op_sel:[0,1,0]
	v_pk_fma_f16 v104, v46, v96, v104 op_sel_hi:[1,0,1]
	v_pk_fma_f16 v105, v46, v96, v105 op_sel:[0,1,0]
	v_pk_fma_f16 v106, v46, v97, v106 op_sel_hi:[1,0,1]
	v_pk_fma_f16 v58, v46, v97, v58 op_sel:[0,1,0]
	v_pk_fma_f16 v107, v46, v98, v107 op_sel_hi:[1,0,1]
	v_pk_fma_f16 v44, v46, v98, v44 op_sel:[0,1,0]
	v_pk_fma_f16 v46, v47, v95, v111 op_sel_hi:[1,0,1]
	v_pk_fma_f16 v95, v47, v95, v48 op_sel:[0,1,0]
	v_pk_fma_f16 v108, v47, v96, v108 op_sel_hi:[1,0,1]
	v_pk_fma_f16 v96, v47, v96, v49 op_sel:[0,1,0]
	v_pk_fma_f16 v109, v47, v97, v109 op_sel_hi:[1,0,1]
	v_pk_fma_f16 v97, v47, v97, v50 op_sel:[0,1,0]
	ds_load_b128 v[48:51], v87 offset:976
	v_pk_fma_f16 v103, v47, v98, v103 op_sel_hi:[1,0,1]
	v_pk_fma_f16 v47, v47, v98, v45 op_sel:[0,1,0]
	s_waitcnt lgkmcnt(1)
	v_pk_fma_f16 v56, v52, v99, v56 op_sel_hi:[1,0,1]
	v_pk_fma_f16 v57, v52, v99, v57 op_sel:[0,1,0]
	v_pk_fma_f16 v104, v52, v100, v104 op_sel_hi:[1,0,1]
	v_pk_fma_f16 v105, v52, v100, v105 op_sel:[0,1,0]
	v_pk_fma_f16 v106, v52, v101, v106 op_sel_hi:[1,0,1]
	v_pk_fma_f16 v58, v52, v101, v58 op_sel:[0,1,0]
	v_pk_fma_f16 v107, v52, v102, v107 op_sel_hi:[1,0,1]
	v_pk_fma_f16 v52, v52, v102, v44 op_sel:[0,1,0]
	v_pk_fma_f16 v110, v53, v99, v46 op_sel_hi:[1,0,1]
	v_pk_fma_f16 v99, v53, v99, v95 op_sel:[0,1,0]
	v_pk_fma_f16 v108, v53, v100, v108 op_sel_hi:[1,0,1]
	v_pk_fma_f16 v100, v53, v100, v96 op_sel:[0,1,0]
	v_pk_fma_f16 v109, v53, v101, v109 op_sel_hi:[1,0,1]
	v_pk_fma_f16 v101, v53, v101, v97 op_sel:[0,1,0]
	ds_load_2addr_b64 v[95:98], v43 offset0:192 offset1:224
	ds_load_b128 v[43:46], v87 offset:992
	v_pk_fma_f16 v103, v53, v102, v103 op_sel_hi:[1,0,1]
	v_pk_fma_f16 v47, v53, v102, v47 op_sel:[0,1,0]
	s_waitcnt lgkmcnt(2)
	v_pk_fma_f16 v53, v54, v48, v56 op_sel_hi:[1,0,1]
	v_pk_fma_f16 v56, v54, v48, v57 op_sel:[0,1,0]
	v_pk_fma_f16 v57, v54, v49, v104 op_sel_hi:[1,0,1]
	v_pk_fma_f16 v104, v54, v49, v105 op_sel:[0,1,0]
	;; [unrolled: 2-line block ×7, first 2 shown]
	ds_load_b128 v[99:102], v87 offset:1008
	s_waitcnt lgkmcnt(0)
	s_barrier
	buffer_gl0_inv
	s_load_b32 s4, s[12:13], 0x4
	v_pk_fma_f16 v103, v55, v51, v103 op_sel_hi:[1,0,1]
	v_pk_fma_f16 v47, v55, v51, v47 op_sel:[0,1,0]
	v_pk_fma_f16 v51, v95, v43, v53 op_sel_hi:[1,0,1]
	v_pk_fma_f16 v53, v95, v43, v56 op_sel:[0,1,0]
	;; [unrolled: 2-line block ×9, first 2 shown]
	v_pk_fma_f16 v57, v97, v99, v51 op_sel_hi:[1,0,1]
	s_waitcnt lgkmcnt(0)
	s_lshl_b32 s4, s4, 6
	v_pk_fma_f16 v55, v97, v99, v53 op_sel:[0,1,0]
	v_pk_fma_f16 v53, v97, v100, v56 op_sel_hi:[1,0,1]
	v_pk_fma_f16 v51, v97, v100, v104 op_sel:[0,1,0]
	v_pk_fma_f16 v50, v97, v101, v105 op_sel_hi:[1,0,1]
	;; [unrolled: 2-line block ×7, first 2 shown]
	v_pk_fma_f16 v43, v98, v102, v96 op_sel:[0,1,0]
	s_add_i32 s16, s4, s16
	s_delay_alu instid0(SALU_CYCLE_1)
	s_cmp_lt_i32 s16, s27
	s_cbranch_scc0 .LBB86_115
; %bb.105:                              ;   in Loop: Header=BB86_8 Depth=1
	v_dual_mov_b32 v105, v1 :: v_dual_mov_b32 v106, v2
	v_dual_mov_b32 v103, v3 :: v_dual_mov_b32 v102, v4
	;; [unrolled: 1-line block ×8, first 2 shown]
	s_branch .LBB86_8
.LBB86_106:                             ;   in Loop: Header=BB86_8 Depth=1
	v_mov_b32_e32 v115, 0
	v_cmp_ngt_f32_e64 s4, 0x3f200000, |v114|
                                        ; implicit-def: $vgpr4
	s_delay_alu instid0(VALU_DEP_1) | instskip(NEXT) | instid1(SALU_CYCLE_1)
	s_and_saveexec_b32 s5, s4
	s_xor_b32 s4, exec_lo, s5
	s_cbranch_execz .LBB86_15
	s_branch .LBB86_14
.LBB86_107:                             ;   in Loop: Header=BB86_8 Depth=1
	v_mov_b32_e32 v118, 0
	v_cmp_ngt_f32_e64 s4, 0x3f200000, |v112|
                                        ; implicit-def: $vgpr121
	s_delay_alu instid0(VALU_DEP_1) | instskip(NEXT) | instid1(SALU_CYCLE_1)
	s_and_saveexec_b32 s5, s4
	s_xor_b32 s4, exec_lo, s5
	s_cbranch_execz .LBB86_27
	s_branch .LBB86_26
.LBB86_108:                             ;   in Loop: Header=BB86_8 Depth=1
	v_mov_b32_e32 v111, 0
	v_cmp_ngt_f32_e64 s4, 0x3f200000, |v110|
                                        ; implicit-def: $vgpr121
	s_delay_alu instid0(VALU_DEP_1) | instskip(NEXT) | instid1(SALU_CYCLE_1)
	s_and_saveexec_b32 s5, s4
	s_xor_b32 s4, exec_lo, s5
	s_cbranch_execz .LBB86_39
	s_branch .LBB86_38
.LBB86_109:                             ;   in Loop: Header=BB86_8 Depth=1
	v_mov_b32_e32 v109, 0
	v_cmp_ngt_f32_e64 s4, 0x3f200000, |v108|
                                        ; implicit-def: $vgpr121
	s_delay_alu instid0(VALU_DEP_1) | instskip(NEXT) | instid1(SALU_CYCLE_1)
	s_and_saveexec_b32 s5, s4
	s_xor_b32 s4, exec_lo, s5
	s_cbranch_execz .LBB86_51
	s_branch .LBB86_50
.LBB86_110:                             ;   in Loop: Header=BB86_8 Depth=1
	v_mov_b32_e32 v107, 0
	v_cmp_ngt_f32_e64 s4, 0x3f200000, |v74|
                                        ; implicit-def: $vgpr124
	s_delay_alu instid0(VALU_DEP_1) | instskip(NEXT) | instid1(SALU_CYCLE_1)
	s_and_saveexec_b32 s5, s4
	s_xor_b32 s4, exec_lo, s5
	s_cbranch_execz .LBB86_63
	s_branch .LBB86_62
.LBB86_111:                             ;   in Loop: Header=BB86_8 Depth=1
	v_mov_b32_e32 v123, 0
	v_cmp_ngt_f32_e64 s4, 0x3f200000, |v71|
                                        ; implicit-def: $vgpr129
	s_delay_alu instid0(VALU_DEP_1) | instskip(NEXT) | instid1(SALU_CYCLE_1)
	s_and_saveexec_b32 s5, s4
	s_xor_b32 s4, exec_lo, s5
	s_cbranch_execz .LBB86_75
	s_branch .LBB86_74
.LBB86_112:                             ;   in Loop: Header=BB86_8 Depth=1
	v_mov_b32_e32 v125, 0
	v_cmp_ngt_f32_e64 s4, 0x3f200000, |v68|
                                        ; implicit-def: $vgpr131
	s_delay_alu instid0(VALU_DEP_1) | instskip(NEXT) | instid1(SALU_CYCLE_1)
	s_and_saveexec_b32 s5, s4
	s_xor_b32 s4, exec_lo, s5
	s_cbranch_execz .LBB86_87
	s_branch .LBB86_86
.LBB86_113:                             ;   in Loop: Header=BB86_8 Depth=1
	v_mov_b32_e32 v126, 0
	v_cmp_ngt_f32_e64 s4, 0x3f200000, |v65|
                                        ; implicit-def: $vgpr68
	s_delay_alu instid0(VALU_DEP_1) | instskip(NEXT) | instid1(SALU_CYCLE_1)
	s_and_saveexec_b32 s5, s4
	s_xor_b32 s4, exec_lo, s5
	s_cbranch_execz .LBB86_99
	s_branch .LBB86_98
.LBB86_114:
	s_mov_b32 s5, s4
	s_mov_b32 s6, s4
	s_mov_b32 s7, s4
	s_mov_b32 s8, s4
	s_mov_b32 s9, s4
	s_mov_b32 s10, s4
	s_mov_b32 s11, s4
	v_dual_mov_b32 v1, s4 :: v_dual_mov_b32 v2, s5
	v_dual_mov_b32 v3, s6 :: v_dual_mov_b32 v4, s7
	;; [unrolled: 1-line block ×14, first 2 shown]
	v_mov_b32_e32 v46, 0
	v_mov_b32_e32 v44, 0
.LBB86_115:
	s_cmp_gt_i32 s42, s16
	s_cbranch_scc1 .LBB86_117
; %bb.116:
	v_mbcnt_lo_u32_b32 v9, -1, 0
	v_mov_b32_e32 v77, 32
	s_delay_alu instid0(VALU_DEP_2)
	v_xor_b32_e32 v82, 16, v9
	v_xor_b32_e32 v81, 8, v9
	;; [unrolled: 1-line block ×5, first 2 shown]
	s_cbranch_execz .LBB86_118
	s_branch .LBB86_263
.LBB86_117:
                                        ; implicit-def: $vgpr9
                                        ; implicit-def: $vgpr77
                                        ; implicit-def: $vgpr82
                                        ; implicit-def: $vgpr81
                                        ; implicit-def: $vgpr80
                                        ; implicit-def: $vgpr79
                                        ; implicit-def: $vgpr78
.LBB86_118:
	s_load_b64 s[0:1], s[0:1], 0x4
	v_lshl_add_u32 v76, v21, 2, v76
	v_bfe_u32 v0, v0, 20, 10
	s_mul_hi_i32 s7, s16, s26
	s_mul_i32 s6, s16, s26
	s_sub_i32 s27, s42, s16
	v_mul_lo_u32 v9, s26, v76
	s_lshl_b64 s[6:7], s[6:7], 2
	s_mov_b64 s[4:5], src_shared_base
	v_dual_mov_b32 v88, 0 :: v_dual_lshlrev_b32 v77, 2, v75
	v_dual_mov_b32 v86, 0 :: v_dual_mov_b32 v93, 0
	v_dual_mov_b32 v84, 0 :: v_dual_mov_b32 v91, 0
	s_delay_alu instid0(VALU_DEP_4)
	v_ashrrev_i32_e32 v10, 31, v9
	v_mov_b32_e32 v87, 0
	v_dual_mov_b32 v83, 0 :: v_dual_mov_b32 v94, 0
	v_mov_b32_e32 v92, 0
	s_waitcnt lgkmcnt(0)
	s_lshr_b32 s0, s0, 16
	v_mul_u32_u24_e32 v13, s1, v21
	s_mul_i32 s0, s0, s1
	v_lshlrev_b64 v[10:11], 2, v[9:10]
	v_mul_lo_u32 v12, s0, v41
	s_add_u32 s1, s18, s6
	s_addc_u32 s4, s19, s7
	v_cmp_gt_i32_e64 s0, s27, v76
	v_mov_b32_e32 v90, 0
	v_add_co_u32 v10, vcc_lo, s1, v10
	v_add_co_ci_u32_e32 v11, vcc_lo, s4, v11, vcc_lo
	v_add3_u32 v0, v12, v13, v0
	s_delay_alu instid0(VALU_DEP_3) | instskip(NEXT) | instid1(VALU_DEP_3)
	v_add_co_u32 v16, vcc_lo, v10, v77
	v_add_co_ci_u32_e32 v78, vcc_lo, 0, v11, vcc_lo
	s_delay_alu instid0(VALU_DEP_3) | instskip(SKIP_1) | instid1(VALU_DEP_3)
	v_dual_mov_b32 v10, 0 :: v_dual_lshlrev_b32 v75, 4, v0
	v_mov_b32_e32 v89, 0
	v_cndmask_b32_e64 v14, s5, v78, s0
	s_delay_alu instid0(VALU_DEP_3)
	v_add_nc_u32_e32 v11, 0x8400, v75
	v_add_nc_u32_e32 v12, 0x8404, v75
	ds_store_b32 v75, v10 offset:33792
	ds_store_2addr_b32 v12, v10, v10 offset1:1
	ds_store_b32 v75, v10 offset:33804
	v_cndmask_b32_e64 v13, v11, v16, s0
	flat_load_b128 v[79:82], v[13:14]
	v_lshl_add_u32 v13, s26, 5, v9
	s_delay_alu instid0(VALU_DEP_1) | instskip(NEXT) | instid1(VALU_DEP_1)
	v_ashrrev_i32_e32 v14, 31, v13
	v_lshlrev_b64 v[13:14], 2, v[13:14]
	s_delay_alu instid0(VALU_DEP_1) | instskip(NEXT) | instid1(VALU_DEP_2)
	v_add_co_u32 v0, vcc_lo, s1, v13
	v_add_co_ci_u32_e32 v9, vcc_lo, s4, v14, vcc_lo
	v_add_nc_u32_e32 v13, 32, v76
	s_delay_alu instid0(VALU_DEP_3) | instskip(NEXT) | instid1(VALU_DEP_3)
	v_add_co_u32 v14, vcc_lo, v0, v77
	v_add_co_ci_u32_e32 v15, vcc_lo, 0, v9, vcc_lo
	s_delay_alu instid0(VALU_DEP_3)
	v_cmp_gt_i32_e32 vcc_lo, s27, v13
	v_mad_u32_u24 v13, 0x90, v76, v77
	v_mov_b32_e32 v9, 0
	v_add_co_u32 v16, s1, 0x80, v16
	v_cndmask_b32_e32 v77, s5, v15, vcc_lo
	v_cndmask_b32_e32 v76, v11, v14, vcc_lo
	ds_store_b32 v75, v10 offset:33792
	ds_store_2addr_b32 v12, v10, v10 offset1:1
	ds_store_b32 v75, v10 offset:33804
	s_waitcnt vmcnt(0) lgkmcnt(3)
	ds_store_b128 v13, v[79:82] offset:16384
	flat_load_b128 v[79:82], v[76:77]
	v_dual_mov_b32 v77, 0 :: v_dual_mov_b32 v76, 0
	v_add_co_ci_u32_e64 v78, s1, 0, v78, s1
	v_cndmask_b32_e64 v131, v11, v16, s0
	v_mov_b32_e32 v0, 0
	s_delay_alu instid0(VALU_DEP_3) | instskip(SKIP_3) | instid1(VALU_DEP_3)
	v_cndmask_b32_e64 v132, s5, v78, s0
	v_add_co_u32 v14, s0, 0x80, v14
	v_mov_b32_e32 v85, 0
	v_add_co_ci_u32_e64 v15, s0, 0, v15, s0
	v_cndmask_b32_e32 v14, v11, v14, vcc_lo
	s_delay_alu instid0(VALU_DEP_2)
	v_cndmask_b32_e32 v15, s5, v15, vcc_lo
	s_waitcnt vmcnt(0) lgkmcnt(0)
	ds_store_b128 v13, v[79:82] offset:20992
	s_waitcnt lgkmcnt(0)
	s_barrier
	buffer_gl0_inv
	ds_load_b128 v[79:82], v18 offset:16384
	ds_load_b128 v[95:98], v17
	ds_load_b128 v[99:102], v17 offset:256
	ds_load_b128 v[103:106], v17 offset:512
	;; [unrolled: 1-line block ×8, first 2 shown]
	s_waitcnt lgkmcnt(8)
	;;#ASMSTART
	v_dot2_f32_f16 v9, v79, v95, v9
	;;#ASMEND
	;;#ASMSTART
	v_dot2_f32_f16 v9, v80, v96, v9
	;;#ASMEND
	;;#ASMSTART
	v_dot2_f32_f16 v9, v81, v97, v9
	;;#ASMEND
	;;#ASMSTART
	v_dot2_f32_f16 v9, v82, v98, v9
	;;#ASMEND
	s_waitcnt lgkmcnt(7)
	;;#ASMSTART
	v_dot2_f32_f16 v94, v79, v99, v94
	;;#ASMEND
	;;#ASMSTART
	v_dot2_f32_f16 v94, v80, v100, v94
	;;#ASMEND
	;;#ASMSTART
	v_dot2_f32_f16 v94, v81, v101, v94
	;;#ASMEND
	;;#ASMSTART
	v_dot2_f32_f16 v94, v82, v102, v94
	;;#ASMEND
	;; [unrolled: 13-line block ×8, first 2 shown]
	;;#ASMSTART
	v_dot2_f32_f16 v77, v111, v95, v77
	;;#ASMEND
	;;#ASMSTART
	v_dot2_f32_f16 v77, v112, v96, v77
	;;#ASMEND
	;; [unrolled: 3-line block ×32, first 2 shown]
	ds_load_b128 v[79:82], v18 offset:16400
	ds_load_b128 v[95:98], v17 offset:16
	ds_load_b128 v[99:102], v17 offset:272
	ds_load_b128 v[103:106], v17 offset:528
	ds_load_b128 v[107:110], v17 offset:784
	ds_load_b128 v[111:114], v18 offset:21008
	ds_load_b128 v[115:118], v17 offset:1040
	ds_load_b128 v[119:122], v17 offset:1296
	ds_load_b128 v[123:126], v17 offset:1552
	ds_load_b128 v[127:130], v17 offset:1808
	s_waitcnt lgkmcnt(8)
	;;#ASMSTART
	v_dot2_f32_f16 v9, v79, v95, v9
	;;#ASMEND
	;;#ASMSTART
	v_dot2_f32_f16 v9, v80, v96, v9
	;;#ASMEND
	;;#ASMSTART
	v_dot2_f32_f16 v9, v81, v97, v9
	;;#ASMEND
	;;#ASMSTART
	v_dot2_f32_f16 v9, v82, v98, v9
	;;#ASMEND
	s_waitcnt lgkmcnt(7)
	;;#ASMSTART
	v_dot2_f32_f16 v94, v79, v99, v94
	;;#ASMEND
	;;#ASMSTART
	v_dot2_f32_f16 v94, v80, v100, v94
	;;#ASMEND
	;;#ASMSTART
	v_dot2_f32_f16 v94, v81, v101, v94
	;;#ASMEND
	;;#ASMSTART
	v_dot2_f32_f16 v94, v82, v102, v94
	;;#ASMEND
	;; [unrolled: 13-line block ×8, first 2 shown]
	;;#ASMSTART
	v_dot2_f32_f16 v77, v111, v95, v77
	;;#ASMEND
	;;#ASMSTART
	v_dot2_f32_f16 v77, v112, v96, v77
	;;#ASMEND
	;; [unrolled: 3-line block ×32, first 2 shown]
	ds_load_b128 v[79:82], v18 offset:16416
	ds_load_b128 v[95:98], v17 offset:32
	;; [unrolled: 1-line block ×10, first 2 shown]
	s_waitcnt lgkmcnt(8)
	;;#ASMSTART
	v_dot2_f32_f16 v9, v79, v95, v9
	;;#ASMEND
	;;#ASMSTART
	v_dot2_f32_f16 v9, v80, v96, v9
	;;#ASMEND
	;;#ASMSTART
	v_dot2_f32_f16 v9, v81, v97, v9
	;;#ASMEND
	;;#ASMSTART
	v_dot2_f32_f16 v9, v82, v98, v9
	;;#ASMEND
	s_waitcnt lgkmcnt(7)
	;;#ASMSTART
	v_dot2_f32_f16 v94, v79, v99, v94
	;;#ASMEND
	;;#ASMSTART
	v_dot2_f32_f16 v94, v80, v100, v94
	;;#ASMEND
	;;#ASMSTART
	v_dot2_f32_f16 v94, v81, v101, v94
	;;#ASMEND
	;;#ASMSTART
	v_dot2_f32_f16 v94, v82, v102, v94
	;;#ASMEND
	;; [unrolled: 13-line block ×8, first 2 shown]
	;;#ASMSTART
	v_dot2_f32_f16 v77, v111, v95, v77
	;;#ASMEND
	;;#ASMSTART
	v_dot2_f32_f16 v77, v112, v96, v77
	;;#ASMEND
	;;#ASMSTART
	v_dot2_f32_f16 v77, v113, v97, v77
	;;#ASMEND
	;;#ASMSTART
	v_dot2_f32_f16 v77, v114, v98, v77
	;;#ASMEND
	;;#ASMSTART
	v_dot2_f32_f16 v93, v111, v99, v93
	;;#ASMEND
	;;#ASMSTART
	v_dot2_f32_f16 v93, v112, v100, v93
	;;#ASMEND
	;;#ASMSTART
	v_dot2_f32_f16 v93, v113, v101, v93
	;;#ASMEND
	;;#ASMSTART
	v_dot2_f32_f16 v93, v114, v102, v93
	;;#ASMEND
	;;#ASMSTART
	v_dot2_f32_f16 v91, v111, v103, v91
	;;#ASMEND
	;;#ASMSTART
	v_dot2_f32_f16 v91, v112, v104, v91
	;;#ASMEND
	;;#ASMSTART
	v_dot2_f32_f16 v91, v113, v105, v91
	;;#ASMEND
	;;#ASMSTART
	v_dot2_f32_f16 v91, v114, v106, v91
	;;#ASMEND
	;;#ASMSTART
	v_dot2_f32_f16 v89, v111, v107, v89
	;;#ASMEND
	;;#ASMSTART
	v_dot2_f32_f16 v89, v112, v108, v89
	;;#ASMEND
	;;#ASMSTART
	v_dot2_f32_f16 v89, v113, v109, v89
	;;#ASMEND
	;;#ASMSTART
	v_dot2_f32_f16 v89, v114, v110, v89
	;;#ASMEND
	;;#ASMSTART
	v_dot2_f32_f16 v87, v111, v115, v87
	;;#ASMEND
	;;#ASMSTART
	v_dot2_f32_f16 v87, v112, v116, v87
	;;#ASMEND
	;;#ASMSTART
	v_dot2_f32_f16 v87, v113, v117, v87
	;;#ASMEND
	;;#ASMSTART
	v_dot2_f32_f16 v87, v114, v118, v87
	;;#ASMEND
	;;#ASMSTART
	v_dot2_f32_f16 v85, v111, v119, v85
	;;#ASMEND
	;;#ASMSTART
	v_dot2_f32_f16 v85, v112, v120, v85
	;;#ASMEND
	;;#ASMSTART
	v_dot2_f32_f16 v85, v113, v121, v85
	;;#ASMEND
	;;#ASMSTART
	v_dot2_f32_f16 v85, v114, v122, v85
	;;#ASMEND
	;;#ASMSTART
	v_dot2_f32_f16 v83, v111, v123, v83
	;;#ASMEND
	;;#ASMSTART
	v_dot2_f32_f16 v83, v112, v124, v83
	;;#ASMEND
	;;#ASMSTART
	v_dot2_f32_f16 v83, v113, v125, v83
	;;#ASMEND
	;;#ASMSTART
	v_dot2_f32_f16 v83, v114, v126, v83
	;;#ASMEND
	;;#ASMSTART
	v_dot2_f32_f16 v0, v111, v127, v0
	;;#ASMEND
	;;#ASMSTART
	v_dot2_f32_f16 v0, v112, v128, v0
	;;#ASMEND
	;;#ASMSTART
	v_dot2_f32_f16 v0, v113, v129, v0
	;;#ASMEND
	;;#ASMSTART
	v_dot2_f32_f16 v0, v114, v130, v0
	;;#ASMEND
	ds_load_b128 v[79:82], v18 offset:16432
	ds_load_b128 v[95:98], v17 offset:48
	;; [unrolled: 1-line block ×10, first 2 shown]
	s_waitcnt lgkmcnt(8)
	;;#ASMSTART
	v_dot2_f32_f16 v9, v79, v95, v9
	;;#ASMEND
	;;#ASMSTART
	v_dot2_f32_f16 v9, v80, v96, v9
	;;#ASMEND
	;;#ASMSTART
	v_dot2_f32_f16 v9, v81, v97, v9
	;;#ASMEND
	;;#ASMSTART
	v_dot2_f32_f16 v9, v82, v98, v9
	;;#ASMEND
	s_waitcnt lgkmcnt(7)
	;;#ASMSTART
	v_dot2_f32_f16 v94, v79, v99, v94
	;;#ASMEND
	;;#ASMSTART
	v_dot2_f32_f16 v94, v80, v100, v94
	;;#ASMEND
	;;#ASMSTART
	v_dot2_f32_f16 v94, v81, v101, v94
	;;#ASMEND
	;;#ASMSTART
	v_dot2_f32_f16 v94, v82, v102, v94
	;;#ASMEND
	s_waitcnt lgkmcnt(6)
	;;#ASMSTART
	v_dot2_f32_f16 v92, v79, v103, v92
	;;#ASMEND
	;;#ASMSTART
	v_dot2_f32_f16 v92, v80, v104, v92
	;;#ASMEND
	;;#ASMSTART
	v_dot2_f32_f16 v92, v81, v105, v92
	;;#ASMEND
	;;#ASMSTART
	v_dot2_f32_f16 v92, v82, v106, v92
	;;#ASMEND
	s_waitcnt lgkmcnt(5)
	;;#ASMSTART
	v_dot2_f32_f16 v90, v79, v107, v90
	;;#ASMEND
	;;#ASMSTART
	v_dot2_f32_f16 v90, v80, v108, v90
	;;#ASMEND
	;;#ASMSTART
	v_dot2_f32_f16 v90, v81, v109, v90
	;;#ASMEND
	;;#ASMSTART
	v_dot2_f32_f16 v90, v82, v110, v90
	;;#ASMEND
	s_waitcnt lgkmcnt(3)
	;;#ASMSTART
	v_dot2_f32_f16 v88, v79, v115, v88
	;;#ASMEND
	;;#ASMSTART
	v_dot2_f32_f16 v88, v80, v116, v88
	;;#ASMEND
	;;#ASMSTART
	v_dot2_f32_f16 v88, v81, v117, v88
	;;#ASMEND
	;;#ASMSTART
	v_dot2_f32_f16 v88, v82, v118, v88
	;;#ASMEND
	s_waitcnt lgkmcnt(2)
	;;#ASMSTART
	v_dot2_f32_f16 v86, v79, v119, v86
	;;#ASMEND
	;;#ASMSTART
	v_dot2_f32_f16 v86, v80, v120, v86
	;;#ASMEND
	;;#ASMSTART
	v_dot2_f32_f16 v86, v81, v121, v86
	;;#ASMEND
	;;#ASMSTART
	v_dot2_f32_f16 v86, v82, v122, v86
	;;#ASMEND
	s_waitcnt lgkmcnt(1)
	;;#ASMSTART
	v_dot2_f32_f16 v84, v79, v123, v84
	;;#ASMEND
	;;#ASMSTART
	v_dot2_f32_f16 v84, v80, v124, v84
	;;#ASMEND
	;;#ASMSTART
	v_dot2_f32_f16 v84, v81, v125, v84
	;;#ASMEND
	;;#ASMSTART
	v_dot2_f32_f16 v84, v82, v126, v84
	;;#ASMEND
	s_waitcnt lgkmcnt(0)
	;;#ASMSTART
	v_dot2_f32_f16 v76, v79, v127, v76
	;;#ASMEND
	;;#ASMSTART
	v_dot2_f32_f16 v76, v80, v128, v76
	;;#ASMEND
	;;#ASMSTART
	v_dot2_f32_f16 v76, v81, v129, v76
	;;#ASMEND
	;;#ASMSTART
	v_dot2_f32_f16 v76, v82, v130, v76
	;;#ASMEND
	;;#ASMSTART
	v_dot2_f32_f16 v77, v111, v95, v77
	;;#ASMEND
	;;#ASMSTART
	v_dot2_f32_f16 v77, v112, v96, v77
	;;#ASMEND
	;; [unrolled: 3-line block ×32, first 2 shown]
	ds_load_b128 v[79:82], v18 offset:16448
	ds_load_b128 v[95:98], v17 offset:64
	;; [unrolled: 1-line block ×10, first 2 shown]
	s_waitcnt lgkmcnt(8)
	;;#ASMSTART
	v_dot2_f32_f16 v9, v79, v95, v9
	;;#ASMEND
	;;#ASMSTART
	v_dot2_f32_f16 v9, v80, v96, v9
	;;#ASMEND
	;;#ASMSTART
	v_dot2_f32_f16 v9, v81, v97, v9
	;;#ASMEND
	;;#ASMSTART
	v_dot2_f32_f16 v9, v82, v98, v9
	;;#ASMEND
	s_waitcnt lgkmcnt(7)
	;;#ASMSTART
	v_dot2_f32_f16 v94, v79, v99, v94
	;;#ASMEND
	;;#ASMSTART
	v_dot2_f32_f16 v94, v80, v100, v94
	;;#ASMEND
	;;#ASMSTART
	v_dot2_f32_f16 v94, v81, v101, v94
	;;#ASMEND
	;;#ASMSTART
	v_dot2_f32_f16 v94, v82, v102, v94
	;;#ASMEND
	;; [unrolled: 13-line block ×8, first 2 shown]
	;;#ASMSTART
	v_dot2_f32_f16 v77, v111, v95, v77
	;;#ASMEND
	;;#ASMSTART
	v_dot2_f32_f16 v77, v112, v96, v77
	;;#ASMEND
	;; [unrolled: 3-line block ×32, first 2 shown]
	ds_load_b128 v[79:82], v18 offset:16464
	ds_load_b128 v[95:98], v17 offset:80
	;; [unrolled: 1-line block ×10, first 2 shown]
	s_waitcnt lgkmcnt(8)
	;;#ASMSTART
	v_dot2_f32_f16 v9, v79, v95, v9
	;;#ASMEND
	;;#ASMSTART
	v_dot2_f32_f16 v9, v80, v96, v9
	;;#ASMEND
	;;#ASMSTART
	v_dot2_f32_f16 v9, v81, v97, v9
	;;#ASMEND
	;;#ASMSTART
	v_dot2_f32_f16 v9, v82, v98, v9
	;;#ASMEND
	s_waitcnt lgkmcnt(7)
	;;#ASMSTART
	v_dot2_f32_f16 v94, v79, v99, v94
	;;#ASMEND
	;;#ASMSTART
	v_dot2_f32_f16 v94, v80, v100, v94
	;;#ASMEND
	;;#ASMSTART
	v_dot2_f32_f16 v94, v81, v101, v94
	;;#ASMEND
	;;#ASMSTART
	v_dot2_f32_f16 v94, v82, v102, v94
	;;#ASMEND
	s_waitcnt lgkmcnt(6)
	;;#ASMSTART
	v_dot2_f32_f16 v92, v79, v103, v92
	;;#ASMEND
	;;#ASMSTART
	v_dot2_f32_f16 v92, v80, v104, v92
	;;#ASMEND
	;;#ASMSTART
	v_dot2_f32_f16 v92, v81, v105, v92
	;;#ASMEND
	;;#ASMSTART
	v_dot2_f32_f16 v92, v82, v106, v92
	;;#ASMEND
	s_waitcnt lgkmcnt(5)
	;;#ASMSTART
	v_dot2_f32_f16 v90, v79, v107, v90
	;;#ASMEND
	;;#ASMSTART
	v_dot2_f32_f16 v90, v80, v108, v90
	;;#ASMEND
	;;#ASMSTART
	v_dot2_f32_f16 v90, v81, v109, v90
	;;#ASMEND
	;;#ASMSTART
	v_dot2_f32_f16 v90, v82, v110, v90
	;;#ASMEND
	s_waitcnt lgkmcnt(3)
	;;#ASMSTART
	v_dot2_f32_f16 v88, v79, v115, v88
	;;#ASMEND
	;;#ASMSTART
	v_dot2_f32_f16 v88, v80, v116, v88
	;;#ASMEND
	;;#ASMSTART
	v_dot2_f32_f16 v88, v81, v117, v88
	;;#ASMEND
	;;#ASMSTART
	v_dot2_f32_f16 v88, v82, v118, v88
	;;#ASMEND
	s_waitcnt lgkmcnt(2)
	;;#ASMSTART
	v_dot2_f32_f16 v86, v79, v119, v86
	;;#ASMEND
	;;#ASMSTART
	v_dot2_f32_f16 v86, v80, v120, v86
	;;#ASMEND
	;;#ASMSTART
	v_dot2_f32_f16 v86, v81, v121, v86
	;;#ASMEND
	;;#ASMSTART
	v_dot2_f32_f16 v86, v82, v122, v86
	;;#ASMEND
	s_waitcnt lgkmcnt(1)
	;;#ASMSTART
	v_dot2_f32_f16 v84, v79, v123, v84
	;;#ASMEND
	;;#ASMSTART
	v_dot2_f32_f16 v84, v80, v124, v84
	;;#ASMEND
	;;#ASMSTART
	v_dot2_f32_f16 v84, v81, v125, v84
	;;#ASMEND
	;;#ASMSTART
	v_dot2_f32_f16 v84, v82, v126, v84
	;;#ASMEND
	s_waitcnt lgkmcnt(0)
	;;#ASMSTART
	v_dot2_f32_f16 v76, v79, v127, v76
	;;#ASMEND
	;;#ASMSTART
	v_dot2_f32_f16 v76, v80, v128, v76
	;;#ASMEND
	;;#ASMSTART
	v_dot2_f32_f16 v76, v81, v129, v76
	;;#ASMEND
	;;#ASMSTART
	v_dot2_f32_f16 v76, v82, v130, v76
	;;#ASMEND
	;;#ASMSTART
	v_dot2_f32_f16 v77, v111, v95, v77
	;;#ASMEND
	;;#ASMSTART
	v_dot2_f32_f16 v77, v112, v96, v77
	;;#ASMEND
	;; [unrolled: 3-line block ×32, first 2 shown]
	ds_load_b128 v[79:82], v18 offset:16480
	ds_load_b128 v[95:98], v17 offset:96
	;; [unrolled: 1-line block ×10, first 2 shown]
	s_waitcnt lgkmcnt(8)
	;;#ASMSTART
	v_dot2_f32_f16 v9, v79, v95, v9
	;;#ASMEND
	;;#ASMSTART
	v_dot2_f32_f16 v9, v80, v96, v9
	;;#ASMEND
	;;#ASMSTART
	v_dot2_f32_f16 v9, v81, v97, v9
	;;#ASMEND
	;;#ASMSTART
	v_dot2_f32_f16 v9, v82, v98, v9
	;;#ASMEND
	s_waitcnt lgkmcnt(7)
	;;#ASMSTART
	v_dot2_f32_f16 v94, v79, v99, v94
	;;#ASMEND
	;;#ASMSTART
	v_dot2_f32_f16 v94, v80, v100, v94
	;;#ASMEND
	;;#ASMSTART
	v_dot2_f32_f16 v94, v81, v101, v94
	;;#ASMEND
	;;#ASMSTART
	v_dot2_f32_f16 v94, v82, v102, v94
	;;#ASMEND
	;; [unrolled: 13-line block ×8, first 2 shown]
	;;#ASMSTART
	v_dot2_f32_f16 v77, v111, v95, v77
	;;#ASMEND
	;;#ASMSTART
	v_dot2_f32_f16 v77, v112, v96, v77
	;;#ASMEND
	;; [unrolled: 3-line block ×32, first 2 shown]
	ds_load_b128 v[79:82], v18 offset:16496
	ds_load_b128 v[95:98], v17 offset:112
	;; [unrolled: 1-line block ×10, first 2 shown]
	s_waitcnt lgkmcnt(8)
	;;#ASMSTART
	v_dot2_f32_f16 v9, v79, v95, v9
	;;#ASMEND
	;;#ASMSTART
	v_dot2_f32_f16 v9, v80, v96, v9
	;;#ASMEND
	;;#ASMSTART
	v_dot2_f32_f16 v9, v81, v97, v9
	;;#ASMEND
	;;#ASMSTART
	v_dot2_f32_f16 v9, v82, v98, v9
	;;#ASMEND
	s_waitcnt lgkmcnt(7)
	;;#ASMSTART
	v_dot2_f32_f16 v94, v79, v99, v94
	;;#ASMEND
	;;#ASMSTART
	v_dot2_f32_f16 v94, v80, v100, v94
	;;#ASMEND
	;;#ASMSTART
	v_dot2_f32_f16 v94, v81, v101, v94
	;;#ASMEND
	;;#ASMSTART
	v_dot2_f32_f16 v94, v82, v102, v94
	;;#ASMEND
	;; [unrolled: 13-line block ×8, first 2 shown]
	;;#ASMSTART
	v_dot2_f32_f16 v77, v111, v95, v77
	;;#ASMEND
	;;#ASMSTART
	v_dot2_f32_f16 v77, v112, v96, v77
	;;#ASMEND
	;; [unrolled: 3-line block ×32, first 2 shown]
	s_barrier
	buffer_gl0_inv
	ds_store_b32 v75, v10 offset:33792
	ds_store_2addr_b32 v12, v10, v10 offset1:1
	ds_store_b32 v75, v10 offset:33804
	flat_load_b128 v[78:81], v[131:132]
	ds_store_b32 v75, v10 offset:33792
	ds_store_2addr_b32 v12, v10, v10 offset1:1
	ds_store_b32 v75, v10 offset:33804
	s_waitcnt vmcnt(0) lgkmcnt(3)
	ds_store_b128 v13, v[78:81] offset:16384
	flat_load_b128 v[78:81], v[14:15]
	s_waitcnt vmcnt(0) lgkmcnt(0)
	ds_store_b128 v13, v[78:81] offset:20992
	s_waitcnt lgkmcnt(0)
	s_barrier
	buffer_gl0_inv
	ds_load_b128 v[10:13], v18 offset:16384
	ds_load_b128 v[78:81], v17 offset:128
	;; [unrolled: 1-line block ×10, first 2 shown]
	s_waitcnt lgkmcnt(8)
	;;#ASMSTART
	v_dot2_f32_f16 v9, v10, v78, v9
	;;#ASMEND
	;;#ASMSTART
	v_dot2_f32_f16 v9, v11, v79, v9
	;;#ASMEND
	;;#ASMSTART
	v_dot2_f32_f16 v9, v12, v80, v9
	;;#ASMEND
	;;#ASMSTART
	v_dot2_f32_f16 v9, v13, v81, v9
	;;#ASMEND
	s_waitcnt lgkmcnt(7)
	;;#ASMSTART
	v_dot2_f32_f16 v94, v10, v95, v94
	;;#ASMEND
	;;#ASMSTART
	v_dot2_f32_f16 v94, v11, v96, v94
	;;#ASMEND
	;;#ASMSTART
	v_dot2_f32_f16 v94, v12, v97, v94
	;;#ASMEND
	;;#ASMSTART
	v_dot2_f32_f16 v94, v13, v98, v94
	;;#ASMEND
	;; [unrolled: 13-line block ×8, first 2 shown]
	;;#ASMSTART
	v_dot2_f32_f16 v77, v107, v78, v77
	;;#ASMEND
	;;#ASMSTART
	v_dot2_f32_f16 v77, v108, v79, v77
	;;#ASMEND
	;; [unrolled: 3-line block ×32, first 2 shown]
	ds_load_b128 v[10:13], v18 offset:16400
	ds_load_b128 v[78:81], v17 offset:144
	;; [unrolled: 1-line block ×10, first 2 shown]
	s_waitcnt lgkmcnt(8)
	;;#ASMSTART
	v_dot2_f32_f16 v9, v10, v78, v9
	;;#ASMEND
	;;#ASMSTART
	v_dot2_f32_f16 v9, v11, v79, v9
	;;#ASMEND
	;;#ASMSTART
	v_dot2_f32_f16 v9, v12, v80, v9
	;;#ASMEND
	;;#ASMSTART
	v_dot2_f32_f16 v9, v13, v81, v9
	;;#ASMEND
	s_waitcnt lgkmcnt(7)
	;;#ASMSTART
	v_dot2_f32_f16 v94, v10, v95, v94
	;;#ASMEND
	;;#ASMSTART
	v_dot2_f32_f16 v94, v11, v96, v94
	;;#ASMEND
	;;#ASMSTART
	v_dot2_f32_f16 v94, v12, v97, v94
	;;#ASMEND
	;;#ASMSTART
	v_dot2_f32_f16 v94, v13, v98, v94
	;;#ASMEND
	;; [unrolled: 13-line block ×8, first 2 shown]
	;;#ASMSTART
	v_dot2_f32_f16 v77, v107, v78, v77
	;;#ASMEND
	;;#ASMSTART
	v_dot2_f32_f16 v77, v108, v79, v77
	;;#ASMEND
	;; [unrolled: 3-line block ×32, first 2 shown]
	ds_load_b128 v[10:13], v18 offset:16416
	ds_load_b128 v[78:81], v17 offset:160
	;; [unrolled: 1-line block ×10, first 2 shown]
	s_waitcnt lgkmcnt(8)
	;;#ASMSTART
	v_dot2_f32_f16 v9, v10, v78, v9
	;;#ASMEND
	;;#ASMSTART
	v_dot2_f32_f16 v9, v11, v79, v9
	;;#ASMEND
	;;#ASMSTART
	v_dot2_f32_f16 v9, v12, v80, v9
	;;#ASMEND
	;;#ASMSTART
	v_dot2_f32_f16 v9, v13, v81, v9
	;;#ASMEND
	s_waitcnt lgkmcnt(7)
	;;#ASMSTART
	v_dot2_f32_f16 v94, v10, v95, v94
	;;#ASMEND
	;;#ASMSTART
	v_dot2_f32_f16 v94, v11, v96, v94
	;;#ASMEND
	;;#ASMSTART
	v_dot2_f32_f16 v94, v12, v97, v94
	;;#ASMEND
	;;#ASMSTART
	v_dot2_f32_f16 v94, v13, v98, v94
	;;#ASMEND
	;; [unrolled: 13-line block ×8, first 2 shown]
	;;#ASMSTART
	v_dot2_f32_f16 v77, v107, v78, v77
	;;#ASMEND
	;;#ASMSTART
	v_dot2_f32_f16 v77, v108, v79, v77
	;;#ASMEND
	;; [unrolled: 3-line block ×32, first 2 shown]
	ds_load_b128 v[10:13], v18 offset:16432
	ds_load_b128 v[78:81], v17 offset:176
	;; [unrolled: 1-line block ×10, first 2 shown]
	s_waitcnt lgkmcnt(8)
	;;#ASMSTART
	v_dot2_f32_f16 v9, v10, v78, v9
	;;#ASMEND
	;;#ASMSTART
	v_dot2_f32_f16 v9, v11, v79, v9
	;;#ASMEND
	;;#ASMSTART
	v_dot2_f32_f16 v9, v12, v80, v9
	;;#ASMEND
	;;#ASMSTART
	v_dot2_f32_f16 v9, v13, v81, v9
	;;#ASMEND
	s_waitcnt lgkmcnt(7)
	;;#ASMSTART
	v_dot2_f32_f16 v94, v10, v95, v94
	;;#ASMEND
	;;#ASMSTART
	v_dot2_f32_f16 v94, v11, v96, v94
	;;#ASMEND
	;;#ASMSTART
	v_dot2_f32_f16 v94, v12, v97, v94
	;;#ASMEND
	;;#ASMSTART
	v_dot2_f32_f16 v94, v13, v98, v94
	;;#ASMEND
	;; [unrolled: 13-line block ×8, first 2 shown]
	;;#ASMSTART
	v_dot2_f32_f16 v77, v107, v78, v77
	;;#ASMEND
	;;#ASMSTART
	v_dot2_f32_f16 v77, v108, v79, v77
	;;#ASMEND
	;; [unrolled: 3-line block ×32, first 2 shown]
	ds_load_b128 v[10:13], v18 offset:16448
	ds_load_b128 v[78:81], v17 offset:192
	;; [unrolled: 1-line block ×10, first 2 shown]
	s_waitcnt lgkmcnt(8)
	;;#ASMSTART
	v_dot2_f32_f16 v9, v10, v78, v9
	;;#ASMEND
	;;#ASMSTART
	v_dot2_f32_f16 v9, v11, v79, v9
	;;#ASMEND
	;;#ASMSTART
	v_dot2_f32_f16 v9, v12, v80, v9
	;;#ASMEND
	;;#ASMSTART
	v_dot2_f32_f16 v9, v13, v81, v9
	;;#ASMEND
	s_waitcnt lgkmcnt(7)
	;;#ASMSTART
	v_dot2_f32_f16 v94, v10, v95, v94
	;;#ASMEND
	;;#ASMSTART
	v_dot2_f32_f16 v94, v11, v96, v94
	;;#ASMEND
	;;#ASMSTART
	v_dot2_f32_f16 v94, v12, v97, v94
	;;#ASMEND
	;;#ASMSTART
	v_dot2_f32_f16 v94, v13, v98, v94
	;;#ASMEND
	;; [unrolled: 13-line block ×8, first 2 shown]
	;;#ASMSTART
	v_dot2_f32_f16 v77, v107, v78, v77
	;;#ASMEND
	;;#ASMSTART
	v_dot2_f32_f16 v77, v108, v79, v77
	;;#ASMEND
	;; [unrolled: 3-line block ×32, first 2 shown]
	ds_load_b128 v[10:13], v18 offset:16464
	ds_load_b128 v[78:81], v17 offset:208
	;; [unrolled: 1-line block ×10, first 2 shown]
	s_waitcnt lgkmcnt(8)
	;;#ASMSTART
	v_dot2_f32_f16 v9, v10, v78, v9
	;;#ASMEND
	;;#ASMSTART
	v_dot2_f32_f16 v9, v11, v79, v9
	;;#ASMEND
	;;#ASMSTART
	v_dot2_f32_f16 v9, v12, v80, v9
	;;#ASMEND
	;;#ASMSTART
	v_dot2_f32_f16 v9, v13, v81, v9
	;;#ASMEND
	s_waitcnt lgkmcnt(7)
	;;#ASMSTART
	v_dot2_f32_f16 v94, v10, v95, v94
	;;#ASMEND
	;;#ASMSTART
	v_dot2_f32_f16 v94, v11, v96, v94
	;;#ASMEND
	;;#ASMSTART
	v_dot2_f32_f16 v94, v12, v97, v94
	;;#ASMEND
	;;#ASMSTART
	v_dot2_f32_f16 v94, v13, v98, v94
	;;#ASMEND
	;; [unrolled: 13-line block ×8, first 2 shown]
	;;#ASMSTART
	v_dot2_f32_f16 v77, v107, v78, v77
	;;#ASMEND
	;;#ASMSTART
	v_dot2_f32_f16 v77, v108, v79, v77
	;;#ASMEND
	;; [unrolled: 3-line block ×32, first 2 shown]
	ds_load_b128 v[10:13], v18 offset:16480
	ds_load_b128 v[78:81], v17 offset:224
	;; [unrolled: 1-line block ×10, first 2 shown]
	s_waitcnt lgkmcnt(8)
	;;#ASMSTART
	v_dot2_f32_f16 v9, v10, v78, v9
	;;#ASMEND
	;;#ASMSTART
	v_dot2_f32_f16 v9, v11, v79, v9
	;;#ASMEND
	;;#ASMSTART
	v_dot2_f32_f16 v9, v12, v80, v9
	;;#ASMEND
	;;#ASMSTART
	v_dot2_f32_f16 v9, v13, v81, v9
	;;#ASMEND
	s_waitcnt lgkmcnt(7)
	;;#ASMSTART
	v_dot2_f32_f16 v94, v10, v95, v94
	;;#ASMEND
	;;#ASMSTART
	v_dot2_f32_f16 v94, v11, v96, v94
	;;#ASMEND
	;;#ASMSTART
	v_dot2_f32_f16 v94, v12, v97, v94
	;;#ASMEND
	;;#ASMSTART
	v_dot2_f32_f16 v94, v13, v98, v94
	;;#ASMEND
	;; [unrolled: 13-line block ×8, first 2 shown]
	;;#ASMSTART
	v_dot2_f32_f16 v77, v107, v78, v77
	;;#ASMEND
	;;#ASMSTART
	v_dot2_f32_f16 v77, v108, v79, v77
	;;#ASMEND
	;; [unrolled: 3-line block ×32, first 2 shown]
	ds_load_b128 v[10:13], v18 offset:16496
	ds_load_b128 v[78:81], v17 offset:240
	;; [unrolled: 1-line block ×10, first 2 shown]
	s_waitcnt lgkmcnt(8)
	;;#ASMSTART
	v_dot2_f32_f16 v9, v10, v78, v9
	;;#ASMEND
	;;#ASMSTART
	v_dot2_f32_f16 v9, v11, v79, v9
	;;#ASMEND
	;;#ASMSTART
	v_dot2_f32_f16 v9, v12, v80, v9
	;;#ASMEND
	;;#ASMSTART
	v_dot2_f32_f16 v9, v13, v81, v9
	;;#ASMEND
	s_waitcnt lgkmcnt(7)
	;;#ASMSTART
	v_dot2_f32_f16 v94, v10, v95, v94
	;;#ASMEND
	;;#ASMSTART
	v_dot2_f32_f16 v94, v11, v96, v94
	;;#ASMEND
	;;#ASMSTART
	v_dot2_f32_f16 v94, v12, v97, v94
	;;#ASMEND
	;;#ASMSTART
	v_dot2_f32_f16 v94, v13, v98, v94
	;;#ASMEND
	;; [unrolled: 13-line block ×8, first 2 shown]
	;;#ASMSTART
	v_dot2_f32_f16 v77, v107, v78, v77
	;;#ASMEND
	;;#ASMSTART
	v_dot2_f32_f16 v77, v108, v79, v77
	;;#ASMEND
	;; [unrolled: 3-line block ×25, first 2 shown]
	v_cmp_ngt_f32_e64 s0, 0x3f200000, |v9|
	;;#ASMSTART
	v_dot2_f32_f16 v83, v108, v120, v83
	;;#ASMEND
	;;#ASMSTART
	v_dot2_f32_f16 v83, v109, v121, v83
	;;#ASMEND
	;; [unrolled: 3-line block ×7, first 2 shown]
                                        ; implicit-def: $vgpr10
	s_and_saveexec_b32 s1, s0
	s_delay_alu instid0(SALU_CYCLE_1)
	s_xor_b32 s0, exec_lo, s1
	s_cbranch_execz .LBB86_120
; %bb.119:
	v_add_f32_e64 v10, |v9|, |v9|
	s_delay_alu instid0(VALU_DEP_1) | instskip(SKIP_1) | instid1(VALU_DEP_2)
	v_mul_f32_e32 v11, 0x3fb8aa3b, v10
	v_cmp_ngt_f32_e32 vcc_lo, 0xc2ce8ed0, v10
	v_rndne_f32_e32 v12, v11
	v_fma_f32 v13, 0x3fb8aa3b, v10, -v11
	s_delay_alu instid0(VALU_DEP_2) | instskip(NEXT) | instid1(VALU_DEP_2)
	v_sub_f32_e32 v11, v11, v12
	v_fmamk_f32 v13, v10, 0x32a5705f, v13
	v_cvt_i32_f32_e32 v12, v12
	s_delay_alu instid0(VALU_DEP_2) | instskip(NEXT) | instid1(VALU_DEP_1)
	v_add_f32_e32 v11, v11, v13
	v_exp_f32_e32 v11, v11
	s_waitcnt_depctr 0xfff
	v_ldexp_f32 v11, v11, v12
	s_delay_alu instid0(VALU_DEP_1) | instskip(SKIP_1) | instid1(VALU_DEP_2)
	v_cndmask_b32_e32 v11, 0, v11, vcc_lo
	v_cmp_nlt_f32_e32 vcc_lo, 0x42b17218, v10
	v_cndmask_b32_e32 v10, 0x7f800000, v11, vcc_lo
	s_delay_alu instid0(VALU_DEP_1) | instskip(NEXT) | instid1(VALU_DEP_1)
	v_add_f32_e32 v10, 1.0, v10
	v_rcp_f32_e32 v10, v10
	s_waitcnt_depctr 0xfff
	v_fma_f32 v10, v10, -2.0, 1.0
.LBB86_120:
	s_and_not1_saveexec_b32 s0, s0
; %bb.121:
	v_mul_f32_e32 v10, v9, v9
	s_mov_b32 s1, 0xbbbac73d
	s_delay_alu instid0(VALU_DEP_1) | instid1(SALU_CYCLE_1)
	v_fmaak_f32 v11, s1, v10, 0x3ca908c9
	s_delay_alu instid0(VALU_DEP_1) | instskip(NEXT) | instid1(VALU_DEP_1)
	v_fmaak_f32 v11, v10, v11, 0xbd5c1c4e
	v_fmaak_f32 v11, v10, v11, 0x3e088382
	s_delay_alu instid0(VALU_DEP_1) | instskip(NEXT) | instid1(VALU_DEP_1)
	v_fmaak_f32 v11, v10, v11, 0xbeaaaa99
	v_mul_f32_e64 v11, |v9|, v11
	s_delay_alu instid0(VALU_DEP_1)
	v_fma_f32 v10, v10, v11, |v9|
; %bb.122:
	s_or_b32 exec_lo, exec_lo, s0
	s_delay_alu instid0(VALU_DEP_1) | instskip(SKIP_3) | instid1(VALU_DEP_2)
	v_bfi_b32 v9, 0x7fffffff, v10, v9
	s_cmp_lg_u64 s[40:41], 0
	v_mad_u64_u32 v[17:18], null, v69, s15, s[16:17]
	s_cselect_b32 s4, -1, 0
	v_mul_f32_e32 v96, s23, v9
	v_dual_mov_b32 v16, v8 :: v_dual_mov_b32 v13, v5
	v_cmp_gt_i32_e64 s0, s27, v41
	v_cndmask_b32_e64 v97, 0, 1, s4
	v_dual_mov_b32 v15, v7 :: v_dual_mov_b32 v14, v6
	v_dual_mov_b32 v11, v3 :: v_dual_mov_b32 v12, v4
	v_dual_mov_b32 v9, v1 :: v_dual_mov_b32 v10, v2
	s_and_saveexec_b32 s1, s0
	s_cbranch_execz .LBB86_127
; %bb.123:
	s_and_not1_b32 vcc_lo, exec_lo, s4
	s_cbranch_vccnz .LBB86_125
; %bb.124:
	v_add_nc_u32_e32 v9, v17, v41
	s_delay_alu instid0(VALU_DEP_1) | instskip(NEXT) | instid1(VALU_DEP_1)
	v_ashrrev_i32_e32 v10, 31, v9
	v_lshlrev_b64 v[9:10], 1, v[9:10]
	s_delay_alu instid0(VALU_DEP_1) | instskip(NEXT) | instid1(VALU_DEP_2)
	v_add_co_u32 v9, vcc_lo, s40, v9
	v_add_co_ci_u32_e32 v10, vcc_lo, s41, v10, vcc_lo
	flat_load_u16 v9, v[9:10]
	s_waitcnt vmcnt(0) lgkmcnt(0)
	v_cvt_f32_f16_e32 v9, v9
	s_delay_alu instid0(VALU_DEP_1)
	v_mul_f32_e32 v9, v24, v9
	s_branch .LBB86_126
.LBB86_125:
	v_mov_b32_e32 v9, 0
.LBB86_126:
	s_delay_alu instid0(VALU_DEP_1) | instskip(NEXT) | instid1(VALU_DEP_1)
	v_add_f32_e32 v96, v96, v9
	v_dual_max_f32 v10, v1, v1 :: v_dual_add_f32 v9, 0x40051340, v96
	s_delay_alu instid0(VALU_DEP_1)
	v_max_f32_e32 v18, v10, v9
	v_dual_mov_b32 v16, v8 :: v_dual_mov_b32 v11, v3
	v_dual_mov_b32 v14, v6 :: v_dual_mov_b32 v9, v1
	v_mov_b32_e32 v15, v7
	v_dual_mov_b32 v13, v5 :: v_dual_mov_b32 v12, v4
	v_mov_b32_e32 v9, v18
	v_mov_b32_e32 v10, v2
.LBB86_127:
	s_or_b32 exec_lo, exec_lo, s1
	v_cmp_ngt_f32_e64 s1, 0x3f200000, |v77|
                                        ; implicit-def: $vgpr18
	s_delay_alu instid0(VALU_DEP_1) | instskip(NEXT) | instid1(SALU_CYCLE_1)
	s_and_saveexec_b32 s4, s1
	s_xor_b32 s1, exec_lo, s4
	s_cbranch_execz .LBB86_129
; %bb.128:
	v_add_f32_e64 v18, |v77|, |v77|
	s_delay_alu instid0(VALU_DEP_1) | instskip(SKIP_1) | instid1(VALU_DEP_2)
	v_mul_f32_e32 v69, 0x3fb8aa3b, v18
	v_cmp_ngt_f32_e32 vcc_lo, 0xc2ce8ed0, v18
	v_rndne_f32_e32 v78, v69
	v_fma_f32 v79, 0x3fb8aa3b, v18, -v69
	s_delay_alu instid0(VALU_DEP_2) | instskip(NEXT) | instid1(VALU_DEP_2)
	v_sub_f32_e32 v69, v69, v78
	v_fmamk_f32 v79, v18, 0x32a5705f, v79
	v_cvt_i32_f32_e32 v78, v78
	s_delay_alu instid0(VALU_DEP_2) | instskip(NEXT) | instid1(VALU_DEP_1)
	v_add_f32_e32 v69, v69, v79
	v_exp_f32_e32 v69, v69
	s_waitcnt_depctr 0xfff
	v_ldexp_f32 v69, v69, v78
	s_delay_alu instid0(VALU_DEP_1) | instskip(SKIP_1) | instid1(VALU_DEP_2)
	v_cndmask_b32_e32 v69, 0, v69, vcc_lo
	v_cmp_nlt_f32_e32 vcc_lo, 0x42b17218, v18
	v_cndmask_b32_e32 v18, 0x7f800000, v69, vcc_lo
	s_delay_alu instid0(VALU_DEP_1) | instskip(NEXT) | instid1(VALU_DEP_1)
	v_add_f32_e32 v18, 1.0, v18
	v_rcp_f32_e32 v18, v18
	s_waitcnt_depctr 0xfff
	v_fma_f32 v18, v18, -2.0, 1.0
.LBB86_129:
	s_and_not1_saveexec_b32 s1, s1
; %bb.130:
	v_mul_f32_e32 v18, v77, v77
	s_mov_b32 s4, 0xbbbac73d
	s_delay_alu instid0(VALU_DEP_1) | instid1(SALU_CYCLE_1)
	v_fmaak_f32 v69, s4, v18, 0x3ca908c9
	s_delay_alu instid0(VALU_DEP_1) | instskip(NEXT) | instid1(VALU_DEP_1)
	v_fmaak_f32 v69, v18, v69, 0xbd5c1c4e
	v_fmaak_f32 v69, v18, v69, 0x3e088382
	s_delay_alu instid0(VALU_DEP_1) | instskip(NEXT) | instid1(VALU_DEP_1)
	v_fmaak_f32 v69, v18, v69, 0xbeaaaa99
	v_mul_f32_e64 v69, |v77|, v69
	s_delay_alu instid0(VALU_DEP_1)
	v_fma_f32 v18, v18, v69, |v77|
; %bb.131:
	s_or_b32 exec_lo, exec_lo, s1
	s_delay_alu instid0(VALU_DEP_1) | instskip(SKIP_1) | instid1(VALU_DEP_2)
	v_bfi_b32 v18, 0x7fffffff, v18, v77
	v_add_nc_u32_e32 v69, 32, v41
	v_mul_f32_e32 v95, s23, v18
	s_delay_alu instid0(VALU_DEP_2) | instskip(NEXT) | instid1(VALU_DEP_1)
	v_cmp_gt_i32_e64 s1, s27, v69
	s_and_saveexec_b32 s4, s1
	s_cbranch_execz .LBB86_136
; %bb.132:
	v_cmp_ne_u32_e32 vcc_lo, 1, v97
	s_cbranch_vccnz .LBB86_134
; %bb.133:
	v_ashrrev_i32_e32 v18, 31, v17
	v_add_co_u32 v17, vcc_lo, v17, v41
	s_delay_alu instid0(VALU_DEP_2) | instskip(NEXT) | instid1(VALU_DEP_1)
	v_add_co_ci_u32_e32 v18, vcc_lo, 0, v18, vcc_lo
	v_lshlrev_b64 v[17:18], 1, v[17:18]
	s_delay_alu instid0(VALU_DEP_1) | instskip(NEXT) | instid1(VALU_DEP_2)
	v_add_co_u32 v17, vcc_lo, s40, v17
	v_add_co_ci_u32_e32 v18, vcc_lo, s41, v18, vcc_lo
	flat_load_u16 v17, v[17:18] offset:64
	s_waitcnt vmcnt(0) lgkmcnt(0)
	v_cvt_f32_f16_e32 v17, v17
	s_delay_alu instid0(VALU_DEP_1)
	v_mul_f32_e32 v17, v24, v17
	s_branch .LBB86_135
.LBB86_134:
	v_mov_b32_e32 v17, 0
.LBB86_135:
	s_delay_alu instid0(VALU_DEP_1) | instskip(SKIP_1) | instid1(VALU_DEP_2)
	v_add_f32_e32 v95, v95, v17
	v_max_f32_e32 v9, v9, v9
	v_add_f32_e32 v17, 0x40051340, v95
	s_delay_alu instid0(VALU_DEP_1)
	v_max_f32_e32 v9, v9, v17
.LBB86_136:
	s_or_b32 exec_lo, exec_lo, s4
	v_xor_b32_e32 v82, 16, v19
	v_xor_b32_e32 v81, 8, v19
	;; [unrolled: 1-line block ×5, first 2 shown]
	v_cmp_gt_i32_e32 vcc_lo, 32, v82
	v_cmp_ngt_f32_e64 s4, 0x3f200000, |v94|
	v_mov_b32_e32 v77, 32
	v_cndmask_b32_e32 v17, v19, v82, vcc_lo
	v_cmp_gt_i32_e32 vcc_lo, 32, v81
	s_delay_alu instid0(VALU_DEP_2)
	v_lshlrev_b32_e32 v98, 2, v17
	v_cndmask_b32_e32 v18, v19, v81, vcc_lo
	v_cmp_gt_i32_e32 vcc_lo, 32, v80
	ds_bpermute_b32 v17, v98, v9
	v_dual_cndmask_b32 v18, v19, v80 :: v_dual_lshlrev_b32 v99, 2, v18
	v_max_f32_e32 v9, v9, v9
	v_cmp_gt_i32_e32 vcc_lo, 32, v79
	s_delay_alu instid0(VALU_DEP_3) | instskip(SKIP_2) | instid1(VALU_DEP_2)
	v_lshlrev_b32_e32 v100, 2, v18
	v_cndmask_b32_e32 v18, v19, v79, vcc_lo
	v_cmp_gt_i32_e32 vcc_lo, 32, v78
	v_lshlrev_b32_e32 v101, 2, v18
	s_waitcnt lgkmcnt(0)
	v_dual_cndmask_b32 v18, v19, v78 :: v_dual_max_f32 v17, v17, v17
	s_delay_alu instid0(VALU_DEP_1) | instskip(NEXT) | instid1(VALU_DEP_2)
	v_lshlrev_b32_e32 v102, 2, v18
                                        ; implicit-def: $vgpr18
	v_max_f32_e32 v9, v9, v17
	ds_bpermute_b32 v17, v99, v9
	s_waitcnt lgkmcnt(0)
	v_max_f32_e32 v17, v17, v17
	s_delay_alu instid0(VALU_DEP_1) | instskip(SKIP_3) | instid1(VALU_DEP_1)
	v_max_f32_e32 v9, v9, v17
	ds_bpermute_b32 v17, v100, v9
	s_waitcnt lgkmcnt(0)
	v_max_f32_e32 v17, v17, v17
	v_max_f32_e32 v9, v9, v17
	ds_bpermute_b32 v17, v101, v9
	s_waitcnt lgkmcnt(0)
	v_max_f32_e32 v17, v17, v17
	s_delay_alu instid0(VALU_DEP_1) | instskip(SKIP_2) | instid1(SALU_CYCLE_1)
	v_max_f32_e32 v9, v9, v17
	ds_bpermute_b32 v17, v102, v9
	s_and_saveexec_b32 s5, s4
	s_xor_b32 s4, exec_lo, s5
	s_cbranch_execz .LBB86_138
; %bb.137:
	v_add_f32_e64 v18, |v94|, |v94|
	s_delay_alu instid0(VALU_DEP_1) | instskip(SKIP_1) | instid1(VALU_DEP_2)
	v_mul_f32_e32 v103, 0x3fb8aa3b, v18
	v_cmp_ngt_f32_e32 vcc_lo, 0xc2ce8ed0, v18
	v_rndne_f32_e32 v104, v103
	v_fma_f32 v105, 0x3fb8aa3b, v18, -v103
	s_delay_alu instid0(VALU_DEP_2) | instskip(NEXT) | instid1(VALU_DEP_2)
	v_sub_f32_e32 v103, v103, v104
	v_fmamk_f32 v105, v18, 0x32a5705f, v105
	v_cvt_i32_f32_e32 v104, v104
	s_delay_alu instid0(VALU_DEP_2) | instskip(NEXT) | instid1(VALU_DEP_1)
	v_add_f32_e32 v103, v103, v105
	v_exp_f32_e32 v103, v103
	s_waitcnt_depctr 0xfff
	v_ldexp_f32 v103, v103, v104
	s_delay_alu instid0(VALU_DEP_1) | instskip(SKIP_1) | instid1(VALU_DEP_2)
	v_cndmask_b32_e32 v103, 0, v103, vcc_lo
	v_cmp_nlt_f32_e32 vcc_lo, 0x42b17218, v18
	v_cndmask_b32_e32 v18, 0x7f800000, v103, vcc_lo
	s_delay_alu instid0(VALU_DEP_1) | instskip(NEXT) | instid1(VALU_DEP_1)
	v_add_f32_e32 v18, 1.0, v18
	v_rcp_f32_e32 v18, v18
	s_waitcnt_depctr 0xfff
	v_fma_f32 v18, v18, -2.0, 1.0
.LBB86_138:
	s_and_not1_saveexec_b32 s4, s4
; %bb.139:
	v_mul_f32_e32 v18, v94, v94
	s_mov_b32 s5, 0xbbbac73d
	s_delay_alu instid0(VALU_DEP_1) | instid1(SALU_CYCLE_1)
	v_fmaak_f32 v103, s5, v18, 0x3ca908c9
	s_delay_alu instid0(VALU_DEP_1) | instskip(NEXT) | instid1(VALU_DEP_1)
	v_fmaak_f32 v103, v18, v103, 0xbd5c1c4e
	v_fmaak_f32 v103, v18, v103, 0x3e088382
	s_delay_alu instid0(VALU_DEP_1) | instskip(NEXT) | instid1(VALU_DEP_1)
	v_fmaak_f32 v103, v18, v103, 0xbeaaaa99
	v_mul_f32_e64 v103, |v94|, v103
	s_delay_alu instid0(VALU_DEP_1)
	v_fma_f32 v18, v18, v103, |v94|
; %bb.140:
	s_or_b32 exec_lo, exec_lo, s4
	v_mul_hi_u32 v103, s36, v72
	s_delay_alu instid0(VALU_DEP_2) | instskip(NEXT) | instid1(VALU_DEP_1)
	v_bfi_b32 v94, 0x7fffffff, v18, v94
	v_dual_max_f32 v9, v9, v9 :: v_dual_mul_f32 v94, s23, v94
	s_delay_alu instid0(VALU_DEP_3) | instskip(NEXT) | instid1(VALU_DEP_1)
	v_add_nc_u32_e32 v103, v72, v103
	v_lshrrev_b32_e32 v103, s37, v103
	s_delay_alu instid0(VALU_DEP_1) | instskip(NEXT) | instid1(VALU_DEP_1)
	v_mul_lo_u32 v103, v103, s38
	v_sub_nc_u32_e32 v72, v72, v103
	s_waitcnt lgkmcnt(0)
	v_max_f32_e32 v103, v17, v17
	s_delay_alu instid0(VALU_DEP_2) | instskip(NEXT) | instid1(VALU_DEP_2)
	v_mad_u64_u32 v[17:18], null, v72, s15, s[16:17]
	v_max_f32_e32 v9, v9, v103
	s_and_saveexec_b32 s4, s0
	s_cbranch_execz .LBB86_145
; %bb.141:
	v_cmp_ne_u32_e32 vcc_lo, 1, v97
	s_cbranch_vccnz .LBB86_143
; %bb.142:
	s_delay_alu instid0(VALU_DEP_3) | instskip(NEXT) | instid1(VALU_DEP_1)
	v_add_nc_u32_e32 v103, v17, v41
	v_ashrrev_i32_e32 v104, 31, v103
	s_delay_alu instid0(VALU_DEP_1) | instskip(NEXT) | instid1(VALU_DEP_1)
	v_lshlrev_b64 v[103:104], 1, v[103:104]
	v_add_co_u32 v103, vcc_lo, s40, v103
	s_delay_alu instid0(VALU_DEP_2) | instskip(SKIP_3) | instid1(VALU_DEP_1)
	v_add_co_ci_u32_e32 v104, vcc_lo, s41, v104, vcc_lo
	flat_load_u16 v18, v[103:104]
	s_waitcnt vmcnt(0) lgkmcnt(0)
	v_cvt_f32_f16_e32 v18, v18
	v_mul_f32_e32 v18, v24, v18
	s_branch .LBB86_144
.LBB86_143:
	v_mov_b32_e32 v18, 0
.LBB86_144:
	s_delay_alu instid0(VALU_DEP_1) | instskip(SKIP_1) | instid1(VALU_DEP_2)
	v_add_f32_e32 v94, v94, v18
	v_max_f32_e32 v10, v10, v10
	v_add_f32_e32 v18, 0x40051340, v94
	s_delay_alu instid0(VALU_DEP_1)
	v_max_f32_e32 v10, v10, v18
.LBB86_145:
	s_or_b32 exec_lo, exec_lo, s4
	v_cmp_ngt_f32_e64 s4, 0x3f200000, |v93|
                                        ; implicit-def: $vgpr18
	s_delay_alu instid0(VALU_DEP_1) | instskip(NEXT) | instid1(SALU_CYCLE_1)
	s_and_saveexec_b32 s5, s4
	s_xor_b32 s4, exec_lo, s5
	s_cbranch_execz .LBB86_147
; %bb.146:
	v_add_f32_e64 v18, |v93|, |v93|
	s_delay_alu instid0(VALU_DEP_1) | instskip(SKIP_1) | instid1(VALU_DEP_2)
	v_mul_f32_e32 v72, 0x3fb8aa3b, v18
	v_cmp_ngt_f32_e32 vcc_lo, 0xc2ce8ed0, v18
	v_rndne_f32_e32 v103, v72
	v_fma_f32 v104, 0x3fb8aa3b, v18, -v72
	s_delay_alu instid0(VALU_DEP_2) | instskip(NEXT) | instid1(VALU_DEP_2)
	v_sub_f32_e32 v72, v72, v103
	v_fmamk_f32 v104, v18, 0x32a5705f, v104
	v_cvt_i32_f32_e32 v103, v103
	s_delay_alu instid0(VALU_DEP_2) | instskip(NEXT) | instid1(VALU_DEP_1)
	v_add_f32_e32 v72, v72, v104
	v_exp_f32_e32 v72, v72
	s_waitcnt_depctr 0xfff
	v_ldexp_f32 v72, v72, v103
	s_delay_alu instid0(VALU_DEP_1) | instskip(SKIP_1) | instid1(VALU_DEP_2)
	v_cndmask_b32_e32 v72, 0, v72, vcc_lo
	v_cmp_nlt_f32_e32 vcc_lo, 0x42b17218, v18
	v_cndmask_b32_e32 v18, 0x7f800000, v72, vcc_lo
	s_delay_alu instid0(VALU_DEP_1) | instskip(NEXT) | instid1(VALU_DEP_1)
	v_add_f32_e32 v18, 1.0, v18
	v_rcp_f32_e32 v18, v18
	s_waitcnt_depctr 0xfff
	v_fma_f32 v18, v18, -2.0, 1.0
.LBB86_147:
	s_and_not1_saveexec_b32 s4, s4
; %bb.148:
	v_mul_f32_e32 v18, v93, v93
	s_mov_b32 s5, 0xbbbac73d
	s_delay_alu instid0(VALU_DEP_1) | instid1(SALU_CYCLE_1)
	v_fmaak_f32 v72, s5, v18, 0x3ca908c9
	s_delay_alu instid0(VALU_DEP_1) | instskip(NEXT) | instid1(VALU_DEP_1)
	v_fmaak_f32 v72, v18, v72, 0xbd5c1c4e
	v_fmaak_f32 v72, v18, v72, 0x3e088382
	s_delay_alu instid0(VALU_DEP_1) | instskip(NEXT) | instid1(VALU_DEP_1)
	v_fmaak_f32 v72, v18, v72, 0xbeaaaa99
	v_mul_f32_e64 v72, |v93|, v72
	s_delay_alu instid0(VALU_DEP_1)
	v_fma_f32 v18, v18, v72, |v93|
; %bb.149:
	s_or_b32 exec_lo, exec_lo, s4
	s_delay_alu instid0(VALU_DEP_1) | instskip(NEXT) | instid1(VALU_DEP_1)
	v_bfi_b32 v18, 0x7fffffff, v18, v93
	v_mul_f32_e32 v72, s23, v18
	s_and_saveexec_b32 s4, s1
	s_cbranch_execz .LBB86_154
; %bb.150:
	v_cmp_ne_u32_e32 vcc_lo, 1, v97
	s_cbranch_vccnz .LBB86_152
; %bb.151:
	v_ashrrev_i32_e32 v18, 31, v17
	v_add_co_u32 v17, vcc_lo, v17, v41
	s_delay_alu instid0(VALU_DEP_2) | instskip(NEXT) | instid1(VALU_DEP_1)
	v_add_co_ci_u32_e32 v18, vcc_lo, 0, v18, vcc_lo
	v_lshlrev_b64 v[17:18], 1, v[17:18]
	s_delay_alu instid0(VALU_DEP_1) | instskip(NEXT) | instid1(VALU_DEP_2)
	v_add_co_u32 v17, vcc_lo, s40, v17
	v_add_co_ci_u32_e32 v18, vcc_lo, s41, v18, vcc_lo
	flat_load_u16 v17, v[17:18] offset:64
	s_waitcnt vmcnt(0) lgkmcnt(0)
	v_cvt_f32_f16_e32 v17, v17
	s_delay_alu instid0(VALU_DEP_1)
	v_mul_f32_e32 v17, v24, v17
	s_branch .LBB86_153
.LBB86_152:
	v_mov_b32_e32 v17, 0
.LBB86_153:
	s_delay_alu instid0(VALU_DEP_1) | instskip(NEXT) | instid1(VALU_DEP_1)
	v_add_f32_e32 v72, v72, v17
	v_dual_max_f32 v10, v10, v10 :: v_dual_add_f32 v17, 0x40051340, v72
	s_delay_alu instid0(VALU_DEP_1)
	v_max_f32_e32 v10, v10, v17
.LBB86_154:
	s_or_b32 exec_lo, exec_lo, s4
	ds_bpermute_b32 v17, v98, v10
	v_cmp_ngt_f32_e64 s4, 0x3f200000, |v92|
                                        ; implicit-def: $vgpr18
	s_waitcnt lgkmcnt(0)
	v_dual_max_f32 v10, v10, v10 :: v_dual_max_f32 v17, v17, v17
	s_delay_alu instid0(VALU_DEP_1) | instskip(SKIP_3) | instid1(VALU_DEP_1)
	v_max_f32_e32 v10, v10, v17
	ds_bpermute_b32 v17, v99, v10
	s_waitcnt lgkmcnt(0)
	v_max_f32_e32 v17, v17, v17
	v_max_f32_e32 v10, v10, v17
	ds_bpermute_b32 v17, v100, v10
	s_waitcnt lgkmcnt(0)
	v_max_f32_e32 v17, v17, v17
	s_delay_alu instid0(VALU_DEP_1) | instskip(SKIP_3) | instid1(VALU_DEP_1)
	v_max_f32_e32 v10, v10, v17
	ds_bpermute_b32 v17, v101, v10
	s_waitcnt lgkmcnt(0)
	v_max_f32_e32 v17, v17, v17
	v_max_f32_e32 v10, v10, v17
	ds_bpermute_b32 v17, v102, v10
	s_and_saveexec_b32 s5, s4
	s_delay_alu instid0(SALU_CYCLE_1)
	s_xor_b32 s4, exec_lo, s5
	s_cbranch_execz .LBB86_156
; %bb.155:
	v_add_f32_e64 v18, |v92|, |v92|
	s_delay_alu instid0(VALU_DEP_1) | instskip(SKIP_1) | instid1(VALU_DEP_2)
	v_mul_f32_e32 v93, 0x3fb8aa3b, v18
	v_cmp_ngt_f32_e32 vcc_lo, 0xc2ce8ed0, v18
	v_rndne_f32_e32 v103, v93
	v_fma_f32 v104, 0x3fb8aa3b, v18, -v93
	s_delay_alu instid0(VALU_DEP_1) | instskip(SKIP_1) | instid1(VALU_DEP_2)
	v_dual_sub_f32 v93, v93, v103 :: v_dual_fmamk_f32 v104, v18, 0x32a5705f, v104
	v_cvt_i32_f32_e32 v103, v103
	v_add_f32_e32 v93, v93, v104
	s_delay_alu instid0(VALU_DEP_1) | instskip(SKIP_2) | instid1(VALU_DEP_1)
	v_exp_f32_e32 v93, v93
	s_waitcnt_depctr 0xfff
	v_ldexp_f32 v93, v93, v103
	v_cndmask_b32_e32 v93, 0, v93, vcc_lo
	v_cmp_nlt_f32_e32 vcc_lo, 0x42b17218, v18
	s_delay_alu instid0(VALU_DEP_2) | instskip(NEXT) | instid1(VALU_DEP_1)
	v_cndmask_b32_e32 v18, 0x7f800000, v93, vcc_lo
	v_add_f32_e32 v18, 1.0, v18
	s_delay_alu instid0(VALU_DEP_1)
	v_rcp_f32_e32 v18, v18
	s_waitcnt_depctr 0xfff
	v_fma_f32 v18, v18, -2.0, 1.0
.LBB86_156:
	s_and_not1_saveexec_b32 s4, s4
; %bb.157:
	v_mul_f32_e32 v18, v92, v92
	s_mov_b32 s5, 0xbbbac73d
	s_delay_alu instid0(VALU_DEP_1) | instid1(SALU_CYCLE_1)
	v_fmaak_f32 v93, s5, v18, 0x3ca908c9
	s_delay_alu instid0(VALU_DEP_1) | instskip(NEXT) | instid1(VALU_DEP_1)
	v_fmaak_f32 v93, v18, v93, 0xbd5c1c4e
	v_fmaak_f32 v93, v18, v93, 0x3e088382
	s_delay_alu instid0(VALU_DEP_1) | instskip(NEXT) | instid1(VALU_DEP_1)
	v_fmaak_f32 v93, v18, v93, 0xbeaaaa99
	v_mul_f32_e64 v93, |v92|, v93
	s_delay_alu instid0(VALU_DEP_1)
	v_fma_f32 v18, v18, v93, |v92|
; %bb.158:
	s_or_b32 exec_lo, exec_lo, s4
	v_mul_hi_u32 v93, s36, v66
	s_delay_alu instid0(VALU_DEP_2) | instskip(SKIP_1) | instid1(VALU_DEP_2)
	v_bfi_b32 v92, 0x7fffffff, v18, v92
	v_max_f32_e32 v10, v10, v10
	v_dual_mul_f32 v92, s23, v92 :: v_dual_add_nc_u32 v93, v66, v93
	s_delay_alu instid0(VALU_DEP_1) | instskip(NEXT) | instid1(VALU_DEP_1)
	v_lshrrev_b32_e32 v93, s37, v93
	v_mul_lo_u32 v93, v93, s38
	s_delay_alu instid0(VALU_DEP_1) | instskip(SKIP_2) | instid1(VALU_DEP_2)
	v_sub_nc_u32_e32 v66, v66, v93
	s_waitcnt lgkmcnt(0)
	v_max_f32_e32 v93, v17, v17
	v_mad_u64_u32 v[17:18], null, v66, s15, s[16:17]
	s_delay_alu instid0(VALU_DEP_2)
	v_max_f32_e32 v10, v10, v93
	s_and_saveexec_b32 s4, s0
	s_cbranch_execz .LBB86_163
; %bb.159:
	v_cmp_ne_u32_e32 vcc_lo, 1, v97
	s_cbranch_vccnz .LBB86_161
; %bb.160:
	s_delay_alu instid0(VALU_DEP_3) | instskip(NEXT) | instid1(VALU_DEP_1)
	v_add_nc_u32_e32 v103, v17, v41
	v_ashrrev_i32_e32 v104, 31, v103
	s_delay_alu instid0(VALU_DEP_1) | instskip(NEXT) | instid1(VALU_DEP_1)
	v_lshlrev_b64 v[103:104], 1, v[103:104]
	v_add_co_u32 v103, vcc_lo, s40, v103
	s_delay_alu instid0(VALU_DEP_2) | instskip(SKIP_3) | instid1(VALU_DEP_1)
	v_add_co_ci_u32_e32 v104, vcc_lo, s41, v104, vcc_lo
	flat_load_u16 v18, v[103:104]
	s_waitcnt vmcnt(0) lgkmcnt(0)
	v_cvt_f32_f16_e32 v18, v18
	v_mul_f32_e32 v18, v24, v18
	s_branch .LBB86_162
.LBB86_161:
	v_mov_b32_e32 v18, 0
.LBB86_162:
	s_delay_alu instid0(VALU_DEP_1) | instskip(NEXT) | instid1(VALU_DEP_1)
	v_dual_add_f32 v92, v92, v18 :: v_dual_max_f32 v11, v11, v11
	v_add_f32_e32 v18, 0x40051340, v92
	s_delay_alu instid0(VALU_DEP_1)
	v_max_f32_e32 v11, v11, v18
.LBB86_163:
	s_or_b32 exec_lo, exec_lo, s4
	v_cmp_ngt_f32_e64 s4, 0x3f200000, |v91|
                                        ; implicit-def: $vgpr18
	s_delay_alu instid0(VALU_DEP_1) | instskip(NEXT) | instid1(SALU_CYCLE_1)
	s_and_saveexec_b32 s5, s4
	s_xor_b32 s4, exec_lo, s5
	s_cbranch_execz .LBB86_165
; %bb.164:
	v_add_f32_e64 v18, |v91|, |v91|
	s_delay_alu instid0(VALU_DEP_1) | instskip(SKIP_1) | instid1(VALU_DEP_2)
	v_mul_f32_e32 v66, 0x3fb8aa3b, v18
	v_cmp_ngt_f32_e32 vcc_lo, 0xc2ce8ed0, v18
	v_rndne_f32_e32 v93, v66
	v_fma_f32 v103, 0x3fb8aa3b, v18, -v66
	s_delay_alu instid0(VALU_DEP_2) | instskip(NEXT) | instid1(VALU_DEP_2)
	v_sub_f32_e32 v66, v66, v93
	v_fmamk_f32 v103, v18, 0x32a5705f, v103
	v_cvt_i32_f32_e32 v93, v93
	s_delay_alu instid0(VALU_DEP_2) | instskip(NEXT) | instid1(VALU_DEP_1)
	v_add_f32_e32 v66, v66, v103
	v_exp_f32_e32 v66, v66
	s_waitcnt_depctr 0xfff
	v_ldexp_f32 v66, v66, v93
	s_delay_alu instid0(VALU_DEP_1) | instskip(SKIP_1) | instid1(VALU_DEP_2)
	v_cndmask_b32_e32 v66, 0, v66, vcc_lo
	v_cmp_nlt_f32_e32 vcc_lo, 0x42b17218, v18
	v_cndmask_b32_e32 v18, 0x7f800000, v66, vcc_lo
	s_delay_alu instid0(VALU_DEP_1) | instskip(NEXT) | instid1(VALU_DEP_1)
	v_add_f32_e32 v18, 1.0, v18
	v_rcp_f32_e32 v18, v18
	s_waitcnt_depctr 0xfff
	v_fma_f32 v18, v18, -2.0, 1.0
.LBB86_165:
	s_and_not1_saveexec_b32 s4, s4
; %bb.166:
	v_mul_f32_e32 v18, v91, v91
	s_mov_b32 s5, 0xbbbac73d
	s_delay_alu instid0(VALU_DEP_1) | instid1(SALU_CYCLE_1)
	v_fmaak_f32 v66, s5, v18, 0x3ca908c9
	s_delay_alu instid0(VALU_DEP_1) | instskip(NEXT) | instid1(VALU_DEP_1)
	v_fmaak_f32 v66, v18, v66, 0xbd5c1c4e
	v_fmaak_f32 v66, v18, v66, 0x3e088382
	s_delay_alu instid0(VALU_DEP_1) | instskip(NEXT) | instid1(VALU_DEP_1)
	v_fmaak_f32 v66, v18, v66, 0xbeaaaa99
	v_mul_f32_e64 v66, |v91|, v66
	s_delay_alu instid0(VALU_DEP_1)
	v_fma_f32 v18, v18, v66, |v91|
; %bb.167:
	s_or_b32 exec_lo, exec_lo, s4
	s_delay_alu instid0(VALU_DEP_1) | instskip(NEXT) | instid1(VALU_DEP_1)
	v_bfi_b32 v18, 0x7fffffff, v18, v91
	v_mul_f32_e32 v66, s23, v18
	s_and_saveexec_b32 s4, s1
	s_cbranch_execz .LBB86_172
; %bb.168:
	v_cmp_ne_u32_e32 vcc_lo, 1, v97
	s_cbranch_vccnz .LBB86_170
; %bb.169:
	v_ashrrev_i32_e32 v18, 31, v17
	v_add_co_u32 v17, vcc_lo, v17, v41
	s_delay_alu instid0(VALU_DEP_2) | instskip(NEXT) | instid1(VALU_DEP_1)
	v_add_co_ci_u32_e32 v18, vcc_lo, 0, v18, vcc_lo
	v_lshlrev_b64 v[17:18], 1, v[17:18]
	s_delay_alu instid0(VALU_DEP_1) | instskip(NEXT) | instid1(VALU_DEP_2)
	v_add_co_u32 v17, vcc_lo, s40, v17
	v_add_co_ci_u32_e32 v18, vcc_lo, s41, v18, vcc_lo
	flat_load_u16 v17, v[17:18] offset:64
	s_waitcnt vmcnt(0) lgkmcnt(0)
	v_cvt_f32_f16_e32 v17, v17
	s_delay_alu instid0(VALU_DEP_1)
	v_mul_f32_e32 v17, v24, v17
	s_branch .LBB86_171
.LBB86_170:
	v_mov_b32_e32 v17, 0
.LBB86_171:
	s_delay_alu instid0(VALU_DEP_1) | instskip(NEXT) | instid1(VALU_DEP_1)
	v_dual_add_f32 v66, v66, v17 :: v_dual_max_f32 v11, v11, v11
	v_add_f32_e32 v17, 0x40051340, v66
	s_delay_alu instid0(VALU_DEP_1)
	v_max_f32_e32 v11, v11, v17
.LBB86_172:
	s_or_b32 exec_lo, exec_lo, s4
	ds_bpermute_b32 v17, v98, v11
	v_max_f32_e32 v11, v11, v11
	v_cmp_ngt_f32_e64 s4, 0x3f200000, |v90|
                                        ; implicit-def: $vgpr18
	s_waitcnt lgkmcnt(0)
	v_max_f32_e32 v17, v17, v17
	s_delay_alu instid0(VALU_DEP_1) | instskip(SKIP_3) | instid1(VALU_DEP_1)
	v_max_f32_e32 v11, v11, v17
	ds_bpermute_b32 v17, v99, v11
	s_waitcnt lgkmcnt(0)
	v_max_f32_e32 v17, v17, v17
	v_max_f32_e32 v11, v11, v17
	ds_bpermute_b32 v17, v100, v11
	s_waitcnt lgkmcnt(0)
	v_max_f32_e32 v17, v17, v17
	s_delay_alu instid0(VALU_DEP_1) | instskip(SKIP_3) | instid1(VALU_DEP_1)
	v_max_f32_e32 v11, v11, v17
	ds_bpermute_b32 v17, v101, v11
	s_waitcnt lgkmcnt(0)
	v_max_f32_e32 v17, v17, v17
	v_max_f32_e32 v11, v11, v17
	ds_bpermute_b32 v17, v102, v11
	s_and_saveexec_b32 s5, s4
	s_delay_alu instid0(SALU_CYCLE_1)
	s_xor_b32 s4, exec_lo, s5
	s_cbranch_execz .LBB86_174
; %bb.173:
	v_add_f32_e64 v18, |v90|, |v90|
	s_delay_alu instid0(VALU_DEP_1) | instskip(SKIP_1) | instid1(VALU_DEP_2)
	v_mul_f32_e32 v91, 0x3fb8aa3b, v18
	v_cmp_ngt_f32_e32 vcc_lo, 0xc2ce8ed0, v18
	v_rndne_f32_e32 v93, v91
	v_fma_f32 v103, 0x3fb8aa3b, v18, -v91
	s_delay_alu instid0(VALU_DEP_2) | instskip(NEXT) | instid1(VALU_DEP_2)
	v_sub_f32_e32 v91, v91, v93
	v_fmamk_f32 v103, v18, 0x32a5705f, v103
	v_cvt_i32_f32_e32 v93, v93
	s_delay_alu instid0(VALU_DEP_2) | instskip(NEXT) | instid1(VALU_DEP_1)
	v_add_f32_e32 v91, v91, v103
	v_exp_f32_e32 v91, v91
	s_waitcnt_depctr 0xfff
	v_ldexp_f32 v91, v91, v93
	s_delay_alu instid0(VALU_DEP_1) | instskip(SKIP_1) | instid1(VALU_DEP_2)
	v_cndmask_b32_e32 v91, 0, v91, vcc_lo
	v_cmp_nlt_f32_e32 vcc_lo, 0x42b17218, v18
	v_cndmask_b32_e32 v18, 0x7f800000, v91, vcc_lo
	s_delay_alu instid0(VALU_DEP_1) | instskip(NEXT) | instid1(VALU_DEP_1)
	v_add_f32_e32 v18, 1.0, v18
	v_rcp_f32_e32 v18, v18
	s_waitcnt_depctr 0xfff
	v_fma_f32 v18, v18, -2.0, 1.0
.LBB86_174:
	s_and_not1_saveexec_b32 s4, s4
; %bb.175:
	v_mul_f32_e32 v18, v90, v90
	s_mov_b32 s5, 0xbbbac73d
	s_delay_alu instid0(VALU_DEP_1) | instid1(SALU_CYCLE_1)
	v_fmaak_f32 v91, s5, v18, 0x3ca908c9
	s_delay_alu instid0(VALU_DEP_1) | instskip(NEXT) | instid1(VALU_DEP_1)
	v_fmaak_f32 v91, v18, v91, 0xbd5c1c4e
	v_fmaak_f32 v91, v18, v91, 0x3e088382
	s_delay_alu instid0(VALU_DEP_1) | instskip(NEXT) | instid1(VALU_DEP_1)
	v_fmaak_f32 v91, v18, v91, 0xbeaaaa99
	v_mul_f32_e64 v91, |v90|, v91
	s_delay_alu instid0(VALU_DEP_1)
	v_fma_f32 v18, v18, v91, |v90|
; %bb.176:
	s_or_b32 exec_lo, exec_lo, s4
	v_mul_hi_u32 v91, s36, v63
	s_delay_alu instid0(VALU_DEP_2) | instskip(NEXT) | instid1(VALU_DEP_1)
	v_bfi_b32 v90, 0x7fffffff, v18, v90
	v_dual_max_f32 v11, v11, v11 :: v_dual_mul_f32 v90, s23, v90
	s_delay_alu instid0(VALU_DEP_3) | instskip(NEXT) | instid1(VALU_DEP_1)
	v_add_nc_u32_e32 v91, v63, v91
	v_lshrrev_b32_e32 v91, s37, v91
	s_delay_alu instid0(VALU_DEP_1) | instskip(NEXT) | instid1(VALU_DEP_1)
	v_mul_lo_u32 v91, v91, s38
	v_sub_nc_u32_e32 v63, v63, v91
	s_waitcnt lgkmcnt(0)
	v_max_f32_e32 v91, v17, v17
	s_delay_alu instid0(VALU_DEP_2) | instskip(NEXT) | instid1(VALU_DEP_2)
	v_mad_u64_u32 v[17:18], null, v63, s15, s[16:17]
	v_max_f32_e32 v11, v11, v91
	s_and_saveexec_b32 s4, s0
	s_cbranch_execz .LBB86_181
; %bb.177:
	v_cmp_ne_u32_e32 vcc_lo, 1, v97
	s_cbranch_vccnz .LBB86_179
; %bb.178:
	s_delay_alu instid0(VALU_DEP_3) | instskip(NEXT) | instid1(VALU_DEP_1)
	v_add_nc_u32_e32 v103, v17, v41
	v_ashrrev_i32_e32 v104, 31, v103
	s_delay_alu instid0(VALU_DEP_1) | instskip(NEXT) | instid1(VALU_DEP_1)
	v_lshlrev_b64 v[103:104], 1, v[103:104]
	v_add_co_u32 v103, vcc_lo, s40, v103
	s_delay_alu instid0(VALU_DEP_2) | instskip(SKIP_3) | instid1(VALU_DEP_1)
	v_add_co_ci_u32_e32 v104, vcc_lo, s41, v104, vcc_lo
	flat_load_u16 v18, v[103:104]
	s_waitcnt vmcnt(0) lgkmcnt(0)
	v_cvt_f32_f16_e32 v18, v18
	v_mul_f32_e32 v18, v24, v18
	s_branch .LBB86_180
.LBB86_179:
	v_mov_b32_e32 v18, 0
.LBB86_180:
	s_delay_alu instid0(VALU_DEP_1) | instskip(SKIP_1) | instid1(VALU_DEP_2)
	v_add_f32_e32 v90, v90, v18
	v_max_f32_e32 v12, v12, v12
	v_add_f32_e32 v18, 0x40051340, v90
	s_delay_alu instid0(VALU_DEP_1)
	v_max_f32_e32 v12, v12, v18
.LBB86_181:
	s_or_b32 exec_lo, exec_lo, s4
	v_cmp_ngt_f32_e64 s4, 0x3f200000, |v89|
                                        ; implicit-def: $vgpr18
	s_delay_alu instid0(VALU_DEP_1) | instskip(NEXT) | instid1(SALU_CYCLE_1)
	s_and_saveexec_b32 s5, s4
	s_xor_b32 s4, exec_lo, s5
	s_cbranch_execz .LBB86_183
; %bb.182:
	v_add_f32_e64 v18, |v89|, |v89|
	s_delay_alu instid0(VALU_DEP_1) | instskip(SKIP_1) | instid1(VALU_DEP_2)
	v_mul_f32_e32 v63, 0x3fb8aa3b, v18
	v_cmp_ngt_f32_e32 vcc_lo, 0xc2ce8ed0, v18
	v_rndne_f32_e32 v91, v63
	v_fma_f32 v93, 0x3fb8aa3b, v18, -v63
	s_delay_alu instid0(VALU_DEP_2) | instskip(NEXT) | instid1(VALU_DEP_2)
	v_sub_f32_e32 v63, v63, v91
	v_fmamk_f32 v93, v18, 0x32a5705f, v93
	v_cvt_i32_f32_e32 v91, v91
	s_delay_alu instid0(VALU_DEP_2) | instskip(NEXT) | instid1(VALU_DEP_1)
	v_add_f32_e32 v63, v63, v93
	v_exp_f32_e32 v63, v63
	s_waitcnt_depctr 0xfff
	v_ldexp_f32 v63, v63, v91
	s_delay_alu instid0(VALU_DEP_1) | instskip(SKIP_1) | instid1(VALU_DEP_2)
	v_cndmask_b32_e32 v63, 0, v63, vcc_lo
	v_cmp_nlt_f32_e32 vcc_lo, 0x42b17218, v18
	v_cndmask_b32_e32 v18, 0x7f800000, v63, vcc_lo
	s_delay_alu instid0(VALU_DEP_1) | instskip(NEXT) | instid1(VALU_DEP_1)
	v_add_f32_e32 v18, 1.0, v18
	v_rcp_f32_e32 v18, v18
	s_waitcnt_depctr 0xfff
	v_fma_f32 v18, v18, -2.0, 1.0
.LBB86_183:
	s_and_not1_saveexec_b32 s4, s4
; %bb.184:
	v_mul_f32_e32 v18, v89, v89
	s_mov_b32 s5, 0xbbbac73d
	s_delay_alu instid0(VALU_DEP_1) | instid1(SALU_CYCLE_1)
	v_fmaak_f32 v63, s5, v18, 0x3ca908c9
	s_delay_alu instid0(VALU_DEP_1) | instskip(NEXT) | instid1(VALU_DEP_1)
	v_fmaak_f32 v63, v18, v63, 0xbd5c1c4e
	v_fmaak_f32 v63, v18, v63, 0x3e088382
	s_delay_alu instid0(VALU_DEP_1) | instskip(NEXT) | instid1(VALU_DEP_1)
	v_fmaak_f32 v63, v18, v63, 0xbeaaaa99
	v_mul_f32_e64 v63, |v89|, v63
	s_delay_alu instid0(VALU_DEP_1)
	v_fma_f32 v18, v18, v63, |v89|
; %bb.185:
	s_or_b32 exec_lo, exec_lo, s4
	s_delay_alu instid0(VALU_DEP_1) | instskip(NEXT) | instid1(VALU_DEP_1)
	v_bfi_b32 v18, 0x7fffffff, v18, v89
	v_mul_f32_e32 v63, s23, v18
	s_and_saveexec_b32 s4, s1
	s_cbranch_execz .LBB86_190
; %bb.186:
	v_cmp_ne_u32_e32 vcc_lo, 1, v97
	s_cbranch_vccnz .LBB86_188
; %bb.187:
	v_ashrrev_i32_e32 v18, 31, v17
	v_add_co_u32 v17, vcc_lo, v17, v41
	s_delay_alu instid0(VALU_DEP_2) | instskip(NEXT) | instid1(VALU_DEP_1)
	v_add_co_ci_u32_e32 v18, vcc_lo, 0, v18, vcc_lo
	v_lshlrev_b64 v[17:18], 1, v[17:18]
	s_delay_alu instid0(VALU_DEP_1) | instskip(NEXT) | instid1(VALU_DEP_2)
	v_add_co_u32 v17, vcc_lo, s40, v17
	v_add_co_ci_u32_e32 v18, vcc_lo, s41, v18, vcc_lo
	flat_load_u16 v17, v[17:18] offset:64
	s_waitcnt vmcnt(0) lgkmcnt(0)
	v_cvt_f32_f16_e32 v17, v17
	s_delay_alu instid0(VALU_DEP_1)
	v_mul_f32_e32 v17, v24, v17
	s_branch .LBB86_189
.LBB86_188:
	v_mov_b32_e32 v17, 0
.LBB86_189:
	s_delay_alu instid0(VALU_DEP_1) | instskip(NEXT) | instid1(VALU_DEP_1)
	v_dual_add_f32 v63, v63, v17 :: v_dual_max_f32 v12, v12, v12
	v_add_f32_e32 v17, 0x40051340, v63
	s_delay_alu instid0(VALU_DEP_1)
	v_max_f32_e32 v12, v12, v17
.LBB86_190:
	s_or_b32 exec_lo, exec_lo, s4
	ds_bpermute_b32 v17, v98, v12
	v_cmp_ngt_f32_e64 s4, 0x3f200000, |v88|
                                        ; implicit-def: $vgpr18
	s_waitcnt lgkmcnt(0)
	v_dual_max_f32 v12, v12, v12 :: v_dual_max_f32 v17, v17, v17
	s_delay_alu instid0(VALU_DEP_1) | instskip(SKIP_3) | instid1(VALU_DEP_1)
	v_max_f32_e32 v12, v12, v17
	ds_bpermute_b32 v17, v99, v12
	s_waitcnt lgkmcnt(0)
	v_max_f32_e32 v17, v17, v17
	v_max_f32_e32 v12, v12, v17
	ds_bpermute_b32 v17, v100, v12
	s_waitcnt lgkmcnt(0)
	v_max_f32_e32 v17, v17, v17
	s_delay_alu instid0(VALU_DEP_1) | instskip(SKIP_3) | instid1(VALU_DEP_1)
	v_max_f32_e32 v12, v12, v17
	ds_bpermute_b32 v17, v101, v12
	s_waitcnt lgkmcnt(0)
	v_max_f32_e32 v17, v17, v17
	v_max_f32_e32 v12, v12, v17
	ds_bpermute_b32 v17, v102, v12
	s_and_saveexec_b32 s5, s4
	s_delay_alu instid0(SALU_CYCLE_1)
	s_xor_b32 s4, exec_lo, s5
	s_cbranch_execz .LBB86_192
; %bb.191:
	v_add_f32_e64 v18, |v88|, |v88|
	s_delay_alu instid0(VALU_DEP_1) | instskip(SKIP_1) | instid1(VALU_DEP_2)
	v_mul_f32_e32 v89, 0x3fb8aa3b, v18
	v_cmp_ngt_f32_e32 vcc_lo, 0xc2ce8ed0, v18
	v_rndne_f32_e32 v91, v89
	v_fma_f32 v93, 0x3fb8aa3b, v18, -v89
	s_delay_alu instid0(VALU_DEP_2) | instskip(NEXT) | instid1(VALU_DEP_2)
	v_sub_f32_e32 v89, v89, v91
	v_fmamk_f32 v93, v18, 0x32a5705f, v93
	v_cvt_i32_f32_e32 v91, v91
	s_delay_alu instid0(VALU_DEP_2) | instskip(NEXT) | instid1(VALU_DEP_1)
	v_add_f32_e32 v89, v89, v93
	v_exp_f32_e32 v89, v89
	s_waitcnt_depctr 0xfff
	v_ldexp_f32 v89, v89, v91
	s_delay_alu instid0(VALU_DEP_1) | instskip(SKIP_1) | instid1(VALU_DEP_2)
	v_cndmask_b32_e32 v89, 0, v89, vcc_lo
	v_cmp_nlt_f32_e32 vcc_lo, 0x42b17218, v18
	v_cndmask_b32_e32 v18, 0x7f800000, v89, vcc_lo
	s_delay_alu instid0(VALU_DEP_1) | instskip(NEXT) | instid1(VALU_DEP_1)
	v_add_f32_e32 v18, 1.0, v18
	v_rcp_f32_e32 v18, v18
	s_waitcnt_depctr 0xfff
	v_fma_f32 v18, v18, -2.0, 1.0
.LBB86_192:
	s_and_not1_saveexec_b32 s4, s4
; %bb.193:
	v_mul_f32_e32 v18, v88, v88
	s_mov_b32 s5, 0xbbbac73d
	s_delay_alu instid0(VALU_DEP_1) | instid1(SALU_CYCLE_1)
	v_fmaak_f32 v89, s5, v18, 0x3ca908c9
	s_delay_alu instid0(VALU_DEP_1) | instskip(NEXT) | instid1(VALU_DEP_1)
	v_fmaak_f32 v89, v18, v89, 0xbd5c1c4e
	v_fmaak_f32 v89, v18, v89, 0x3e088382
	s_delay_alu instid0(VALU_DEP_1) | instskip(NEXT) | instid1(VALU_DEP_1)
	v_fmaak_f32 v89, v18, v89, 0xbeaaaa99
	v_mul_f32_e64 v89, |v88|, v89
	s_delay_alu instid0(VALU_DEP_1)
	v_fma_f32 v18, v18, v89, |v88|
; %bb.194:
	s_or_b32 exec_lo, exec_lo, s4
	v_mul_hi_u32 v89, s36, v62
	s_delay_alu instid0(VALU_DEP_2) | instskip(SKIP_1) | instid1(VALU_DEP_2)
	v_bfi_b32 v88, 0x7fffffff, v18, v88
	v_max_f32_e32 v12, v12, v12
	v_dual_mul_f32 v88, s23, v88 :: v_dual_add_nc_u32 v89, v62, v89
	s_delay_alu instid0(VALU_DEP_1) | instskip(NEXT) | instid1(VALU_DEP_1)
	v_lshrrev_b32_e32 v89, s37, v89
	v_mul_lo_u32 v89, v89, s38
	s_delay_alu instid0(VALU_DEP_1) | instskip(SKIP_2) | instid1(VALU_DEP_2)
	v_sub_nc_u32_e32 v62, v62, v89
	s_waitcnt lgkmcnt(0)
	v_max_f32_e32 v89, v17, v17
	v_mad_u64_u32 v[17:18], null, v62, s15, s[16:17]
	s_delay_alu instid0(VALU_DEP_2)
	v_max_f32_e32 v12, v12, v89
	s_and_saveexec_b32 s4, s0
	s_cbranch_execz .LBB86_199
; %bb.195:
	v_cmp_ne_u32_e32 vcc_lo, 1, v97
	s_cbranch_vccnz .LBB86_197
; %bb.196:
	s_delay_alu instid0(VALU_DEP_3) | instskip(NEXT) | instid1(VALU_DEP_1)
	v_add_nc_u32_e32 v103, v17, v41
	v_ashrrev_i32_e32 v104, 31, v103
	s_delay_alu instid0(VALU_DEP_1) | instskip(NEXT) | instid1(VALU_DEP_1)
	v_lshlrev_b64 v[103:104], 1, v[103:104]
	v_add_co_u32 v103, vcc_lo, s40, v103
	s_delay_alu instid0(VALU_DEP_2) | instskip(SKIP_3) | instid1(VALU_DEP_1)
	v_add_co_ci_u32_e32 v104, vcc_lo, s41, v104, vcc_lo
	flat_load_u16 v18, v[103:104]
	s_waitcnt vmcnt(0) lgkmcnt(0)
	v_cvt_f32_f16_e32 v18, v18
	v_mul_f32_e32 v18, v24, v18
	s_branch .LBB86_198
.LBB86_197:
	v_mov_b32_e32 v18, 0
.LBB86_198:
	s_delay_alu instid0(VALU_DEP_1) | instskip(NEXT) | instid1(VALU_DEP_1)
	v_dual_add_f32 v88, v88, v18 :: v_dual_max_f32 v13, v13, v13
	v_add_f32_e32 v18, 0x40051340, v88
	s_delay_alu instid0(VALU_DEP_1)
	v_max_f32_e32 v13, v13, v18
.LBB86_199:
	s_or_b32 exec_lo, exec_lo, s4
	v_cmp_ngt_f32_e64 s4, 0x3f200000, |v87|
                                        ; implicit-def: $vgpr18
	s_delay_alu instid0(VALU_DEP_1) | instskip(NEXT) | instid1(SALU_CYCLE_1)
	s_and_saveexec_b32 s5, s4
	s_xor_b32 s4, exec_lo, s5
	s_cbranch_execz .LBB86_201
; %bb.200:
	v_add_f32_e64 v18, |v87|, |v87|
	s_delay_alu instid0(VALU_DEP_1) | instskip(SKIP_1) | instid1(VALU_DEP_2)
	v_mul_f32_e32 v62, 0x3fb8aa3b, v18
	v_cmp_ngt_f32_e32 vcc_lo, 0xc2ce8ed0, v18
	v_rndne_f32_e32 v89, v62
	v_fma_f32 v91, 0x3fb8aa3b, v18, -v62
	s_delay_alu instid0(VALU_DEP_2) | instskip(NEXT) | instid1(VALU_DEP_2)
	v_sub_f32_e32 v62, v62, v89
	v_fmamk_f32 v91, v18, 0x32a5705f, v91
	v_cvt_i32_f32_e32 v89, v89
	s_delay_alu instid0(VALU_DEP_2) | instskip(NEXT) | instid1(VALU_DEP_1)
	v_add_f32_e32 v62, v62, v91
	v_exp_f32_e32 v62, v62
	s_waitcnt_depctr 0xfff
	v_ldexp_f32 v62, v62, v89
	s_delay_alu instid0(VALU_DEP_1) | instskip(SKIP_1) | instid1(VALU_DEP_2)
	v_cndmask_b32_e32 v62, 0, v62, vcc_lo
	v_cmp_nlt_f32_e32 vcc_lo, 0x42b17218, v18
	v_cndmask_b32_e32 v18, 0x7f800000, v62, vcc_lo
	s_delay_alu instid0(VALU_DEP_1) | instskip(NEXT) | instid1(VALU_DEP_1)
	v_add_f32_e32 v18, 1.0, v18
	v_rcp_f32_e32 v18, v18
	s_waitcnt_depctr 0xfff
	v_fma_f32 v18, v18, -2.0, 1.0
.LBB86_201:
	s_and_not1_saveexec_b32 s4, s4
; %bb.202:
	v_mul_f32_e32 v18, v87, v87
	s_mov_b32 s5, 0xbbbac73d
	s_delay_alu instid0(VALU_DEP_1) | instid1(SALU_CYCLE_1)
	v_fmaak_f32 v62, s5, v18, 0x3ca908c9
	s_delay_alu instid0(VALU_DEP_1) | instskip(NEXT) | instid1(VALU_DEP_1)
	v_fmaak_f32 v62, v18, v62, 0xbd5c1c4e
	v_fmaak_f32 v62, v18, v62, 0x3e088382
	s_delay_alu instid0(VALU_DEP_1) | instskip(NEXT) | instid1(VALU_DEP_1)
	v_fmaak_f32 v62, v18, v62, 0xbeaaaa99
	v_mul_f32_e64 v62, |v87|, v62
	s_delay_alu instid0(VALU_DEP_1)
	v_fma_f32 v18, v18, v62, |v87|
; %bb.203:
	s_or_b32 exec_lo, exec_lo, s4
	s_delay_alu instid0(VALU_DEP_1) | instskip(NEXT) | instid1(VALU_DEP_1)
	v_bfi_b32 v18, 0x7fffffff, v18, v87
	v_mul_f32_e32 v62, s23, v18
	s_and_saveexec_b32 s4, s1
	s_cbranch_execz .LBB86_208
; %bb.204:
	v_cmp_ne_u32_e32 vcc_lo, 1, v97
	s_cbranch_vccnz .LBB86_206
; %bb.205:
	v_ashrrev_i32_e32 v18, 31, v17
	v_add_co_u32 v17, vcc_lo, v17, v41
	s_delay_alu instid0(VALU_DEP_2) | instskip(NEXT) | instid1(VALU_DEP_1)
	v_add_co_ci_u32_e32 v18, vcc_lo, 0, v18, vcc_lo
	v_lshlrev_b64 v[17:18], 1, v[17:18]
	s_delay_alu instid0(VALU_DEP_1) | instskip(NEXT) | instid1(VALU_DEP_2)
	v_add_co_u32 v17, vcc_lo, s40, v17
	v_add_co_ci_u32_e32 v18, vcc_lo, s41, v18, vcc_lo
	flat_load_u16 v17, v[17:18] offset:64
	s_waitcnt vmcnt(0) lgkmcnt(0)
	v_cvt_f32_f16_e32 v17, v17
	s_delay_alu instid0(VALU_DEP_1)
	v_mul_f32_e32 v17, v24, v17
	s_branch .LBB86_207
.LBB86_206:
	v_mov_b32_e32 v17, 0
.LBB86_207:
	s_delay_alu instid0(VALU_DEP_1) | instskip(SKIP_1) | instid1(VALU_DEP_2)
	v_add_f32_e32 v62, v62, v17
	v_max_f32_e32 v13, v13, v13
	v_add_f32_e32 v17, 0x40051340, v62
	s_delay_alu instid0(VALU_DEP_1)
	v_max_f32_e32 v13, v13, v17
.LBB86_208:
	s_or_b32 exec_lo, exec_lo, s4
	ds_bpermute_b32 v17, v98, v13
	v_max_f32_e32 v13, v13, v13
	v_cmp_ngt_f32_e64 s4, 0x3f200000, |v86|
                                        ; implicit-def: $vgpr18
	s_waitcnt lgkmcnt(0)
	v_max_f32_e32 v17, v17, v17
	s_delay_alu instid0(VALU_DEP_1) | instskip(SKIP_3) | instid1(VALU_DEP_1)
	v_max_f32_e32 v13, v13, v17
	ds_bpermute_b32 v17, v99, v13
	s_waitcnt lgkmcnt(0)
	v_max_f32_e32 v17, v17, v17
	v_max_f32_e32 v13, v13, v17
	ds_bpermute_b32 v17, v100, v13
	s_waitcnt lgkmcnt(0)
	v_max_f32_e32 v17, v17, v17
	s_delay_alu instid0(VALU_DEP_1) | instskip(SKIP_3) | instid1(VALU_DEP_1)
	v_max_f32_e32 v13, v13, v17
	ds_bpermute_b32 v17, v101, v13
	s_waitcnt lgkmcnt(0)
	v_max_f32_e32 v17, v17, v17
	v_max_f32_e32 v13, v13, v17
	ds_bpermute_b32 v17, v102, v13
	s_and_saveexec_b32 s5, s4
	s_delay_alu instid0(SALU_CYCLE_1)
	s_xor_b32 s4, exec_lo, s5
	s_cbranch_execz .LBB86_210
; %bb.209:
	v_add_f32_e64 v18, |v86|, |v86|
	s_delay_alu instid0(VALU_DEP_1) | instskip(SKIP_1) | instid1(VALU_DEP_2)
	v_mul_f32_e32 v87, 0x3fb8aa3b, v18
	v_cmp_ngt_f32_e32 vcc_lo, 0xc2ce8ed0, v18
	v_rndne_f32_e32 v89, v87
	v_fma_f32 v91, 0x3fb8aa3b, v18, -v87
	s_delay_alu instid0(VALU_DEP_2) | instskip(NEXT) | instid1(VALU_DEP_2)
	v_sub_f32_e32 v87, v87, v89
	v_fmamk_f32 v91, v18, 0x32a5705f, v91
	v_cvt_i32_f32_e32 v89, v89
	s_delay_alu instid0(VALU_DEP_2) | instskip(NEXT) | instid1(VALU_DEP_1)
	v_add_f32_e32 v87, v87, v91
	v_exp_f32_e32 v87, v87
	s_waitcnt_depctr 0xfff
	v_ldexp_f32 v87, v87, v89
	s_delay_alu instid0(VALU_DEP_1) | instskip(SKIP_1) | instid1(VALU_DEP_2)
	v_cndmask_b32_e32 v87, 0, v87, vcc_lo
	v_cmp_nlt_f32_e32 vcc_lo, 0x42b17218, v18
	v_cndmask_b32_e32 v18, 0x7f800000, v87, vcc_lo
	s_delay_alu instid0(VALU_DEP_1) | instskip(NEXT) | instid1(VALU_DEP_1)
	v_add_f32_e32 v18, 1.0, v18
	v_rcp_f32_e32 v18, v18
	s_waitcnt_depctr 0xfff
	v_fma_f32 v18, v18, -2.0, 1.0
.LBB86_210:
	s_and_not1_saveexec_b32 s4, s4
; %bb.211:
	v_mul_f32_e32 v18, v86, v86
	s_mov_b32 s5, 0xbbbac73d
	s_delay_alu instid0(VALU_DEP_1) | instid1(SALU_CYCLE_1)
	v_fmaak_f32 v87, s5, v18, 0x3ca908c9
	s_delay_alu instid0(VALU_DEP_1) | instskip(NEXT) | instid1(VALU_DEP_1)
	v_fmaak_f32 v87, v18, v87, 0xbd5c1c4e
	v_fmaak_f32 v87, v18, v87, 0x3e088382
	s_delay_alu instid0(VALU_DEP_1) | instskip(NEXT) | instid1(VALU_DEP_1)
	v_fmaak_f32 v87, v18, v87, 0xbeaaaa99
	v_mul_f32_e64 v87, |v86|, v87
	s_delay_alu instid0(VALU_DEP_1)
	v_fma_f32 v18, v18, v87, |v86|
; %bb.212:
	s_or_b32 exec_lo, exec_lo, s4
	v_mul_hi_u32 v87, s36, v61
	s_delay_alu instid0(VALU_DEP_2) | instskip(NEXT) | instid1(VALU_DEP_1)
	v_bfi_b32 v86, 0x7fffffff, v18, v86
	v_dual_max_f32 v13, v13, v13 :: v_dual_mul_f32 v86, s23, v86
	s_delay_alu instid0(VALU_DEP_3) | instskip(NEXT) | instid1(VALU_DEP_1)
	v_add_nc_u32_e32 v87, v61, v87
	v_lshrrev_b32_e32 v87, s37, v87
	s_delay_alu instid0(VALU_DEP_1) | instskip(NEXT) | instid1(VALU_DEP_1)
	v_mul_lo_u32 v87, v87, s38
	v_sub_nc_u32_e32 v61, v61, v87
	s_waitcnt lgkmcnt(0)
	v_max_f32_e32 v87, v17, v17
	s_delay_alu instid0(VALU_DEP_2) | instskip(NEXT) | instid1(VALU_DEP_2)
	v_mad_u64_u32 v[17:18], null, v61, s15, s[16:17]
	v_max_f32_e32 v13, v13, v87
	s_and_saveexec_b32 s4, s0
	s_cbranch_execz .LBB86_217
; %bb.213:
	v_cmp_ne_u32_e32 vcc_lo, 1, v97
	s_cbranch_vccnz .LBB86_215
; %bb.214:
	s_delay_alu instid0(VALU_DEP_3) | instskip(NEXT) | instid1(VALU_DEP_1)
	v_add_nc_u32_e32 v103, v17, v41
	v_ashrrev_i32_e32 v104, 31, v103
	s_delay_alu instid0(VALU_DEP_1) | instskip(NEXT) | instid1(VALU_DEP_1)
	v_lshlrev_b64 v[103:104], 1, v[103:104]
	v_add_co_u32 v103, vcc_lo, s40, v103
	s_delay_alu instid0(VALU_DEP_2) | instskip(SKIP_3) | instid1(VALU_DEP_1)
	v_add_co_ci_u32_e32 v104, vcc_lo, s41, v104, vcc_lo
	flat_load_u16 v18, v[103:104]
	s_waitcnt vmcnt(0) lgkmcnt(0)
	v_cvt_f32_f16_e32 v18, v18
	v_mul_f32_e32 v18, v24, v18
	s_branch .LBB86_216
.LBB86_215:
	v_mov_b32_e32 v18, 0
.LBB86_216:
	s_delay_alu instid0(VALU_DEP_1) | instskip(SKIP_1) | instid1(VALU_DEP_2)
	v_add_f32_e32 v86, v86, v18
	v_max_f32_e32 v14, v14, v14
	v_add_f32_e32 v18, 0x40051340, v86
	s_delay_alu instid0(VALU_DEP_1)
	v_max_f32_e32 v14, v14, v18
.LBB86_217:
	s_or_b32 exec_lo, exec_lo, s4
	v_cmp_ngt_f32_e64 s4, 0x3f200000, |v85|
                                        ; implicit-def: $vgpr18
	s_delay_alu instid0(VALU_DEP_1) | instskip(NEXT) | instid1(SALU_CYCLE_1)
	s_and_saveexec_b32 s5, s4
	s_xor_b32 s4, exec_lo, s5
	s_cbranch_execz .LBB86_219
; %bb.218:
	v_add_f32_e64 v18, |v85|, |v85|
	s_delay_alu instid0(VALU_DEP_1) | instskip(SKIP_1) | instid1(VALU_DEP_2)
	v_mul_f32_e32 v61, 0x3fb8aa3b, v18
	v_cmp_ngt_f32_e32 vcc_lo, 0xc2ce8ed0, v18
	v_rndne_f32_e32 v87, v61
	v_fma_f32 v89, 0x3fb8aa3b, v18, -v61
	s_delay_alu instid0(VALU_DEP_2) | instskip(NEXT) | instid1(VALU_DEP_2)
	v_sub_f32_e32 v61, v61, v87
	v_fmamk_f32 v89, v18, 0x32a5705f, v89
	v_cvt_i32_f32_e32 v87, v87
	s_delay_alu instid0(VALU_DEP_2) | instskip(NEXT) | instid1(VALU_DEP_1)
	v_add_f32_e32 v61, v61, v89
	v_exp_f32_e32 v61, v61
	s_waitcnt_depctr 0xfff
	v_ldexp_f32 v61, v61, v87
	s_delay_alu instid0(VALU_DEP_1) | instskip(SKIP_1) | instid1(VALU_DEP_2)
	v_cndmask_b32_e32 v61, 0, v61, vcc_lo
	v_cmp_nlt_f32_e32 vcc_lo, 0x42b17218, v18
	v_cndmask_b32_e32 v18, 0x7f800000, v61, vcc_lo
	s_delay_alu instid0(VALU_DEP_1) | instskip(NEXT) | instid1(VALU_DEP_1)
	v_add_f32_e32 v18, 1.0, v18
	v_rcp_f32_e32 v18, v18
	s_waitcnt_depctr 0xfff
	v_fma_f32 v18, v18, -2.0, 1.0
.LBB86_219:
	s_and_not1_saveexec_b32 s4, s4
; %bb.220:
	v_mul_f32_e32 v18, v85, v85
	s_mov_b32 s5, 0xbbbac73d
	s_delay_alu instid0(VALU_DEP_1) | instid1(SALU_CYCLE_1)
	v_fmaak_f32 v61, s5, v18, 0x3ca908c9
	s_delay_alu instid0(VALU_DEP_1) | instskip(NEXT) | instid1(VALU_DEP_1)
	v_fmaak_f32 v61, v18, v61, 0xbd5c1c4e
	v_fmaak_f32 v61, v18, v61, 0x3e088382
	s_delay_alu instid0(VALU_DEP_1) | instskip(NEXT) | instid1(VALU_DEP_1)
	v_fmaak_f32 v61, v18, v61, 0xbeaaaa99
	v_mul_f32_e64 v61, |v85|, v61
	s_delay_alu instid0(VALU_DEP_1)
	v_fma_f32 v18, v18, v61, |v85|
; %bb.221:
	s_or_b32 exec_lo, exec_lo, s4
	s_delay_alu instid0(VALU_DEP_1) | instskip(NEXT) | instid1(VALU_DEP_1)
	v_bfi_b32 v18, 0x7fffffff, v18, v85
	v_mul_f32_e32 v61, s23, v18
	s_and_saveexec_b32 s4, s1
	s_cbranch_execz .LBB86_226
; %bb.222:
	v_cmp_ne_u32_e32 vcc_lo, 1, v97
	s_cbranch_vccnz .LBB86_224
; %bb.223:
	v_ashrrev_i32_e32 v18, 31, v17
	v_add_co_u32 v17, vcc_lo, v17, v41
	s_delay_alu instid0(VALU_DEP_2) | instskip(NEXT) | instid1(VALU_DEP_1)
	v_add_co_ci_u32_e32 v18, vcc_lo, 0, v18, vcc_lo
	v_lshlrev_b64 v[17:18], 1, v[17:18]
	s_delay_alu instid0(VALU_DEP_1) | instskip(NEXT) | instid1(VALU_DEP_2)
	v_add_co_u32 v17, vcc_lo, s40, v17
	v_add_co_ci_u32_e32 v18, vcc_lo, s41, v18, vcc_lo
	flat_load_u16 v17, v[17:18] offset:64
	s_waitcnt vmcnt(0) lgkmcnt(0)
	v_cvt_f32_f16_e32 v17, v17
	s_delay_alu instid0(VALU_DEP_1)
	v_mul_f32_e32 v17, v24, v17
	s_branch .LBB86_225
.LBB86_224:
	v_mov_b32_e32 v17, 0
.LBB86_225:
	s_delay_alu instid0(VALU_DEP_1) | instskip(NEXT) | instid1(VALU_DEP_1)
	v_dual_add_f32 v61, v61, v17 :: v_dual_max_f32 v14, v14, v14
	v_add_f32_e32 v17, 0x40051340, v61
	s_delay_alu instid0(VALU_DEP_1)
	v_max_f32_e32 v14, v14, v17
.LBB86_226:
	s_or_b32 exec_lo, exec_lo, s4
	ds_bpermute_b32 v17, v98, v14
	v_cmp_ngt_f32_e64 s4, 0x3f200000, |v84|
                                        ; implicit-def: $vgpr18
	s_waitcnt lgkmcnt(0)
	v_dual_max_f32 v14, v14, v14 :: v_dual_max_f32 v17, v17, v17
	s_delay_alu instid0(VALU_DEP_1) | instskip(SKIP_3) | instid1(VALU_DEP_1)
	v_max_f32_e32 v14, v14, v17
	ds_bpermute_b32 v17, v99, v14
	s_waitcnt lgkmcnt(0)
	v_max_f32_e32 v17, v17, v17
	v_max_f32_e32 v14, v14, v17
	ds_bpermute_b32 v17, v100, v14
	s_waitcnt lgkmcnt(0)
	v_max_f32_e32 v17, v17, v17
	s_delay_alu instid0(VALU_DEP_1) | instskip(SKIP_3) | instid1(VALU_DEP_1)
	v_max_f32_e32 v14, v14, v17
	ds_bpermute_b32 v17, v101, v14
	s_waitcnt lgkmcnt(0)
	v_max_f32_e32 v17, v17, v17
	v_max_f32_e32 v14, v14, v17
	ds_bpermute_b32 v17, v102, v14
	s_and_saveexec_b32 s5, s4
	s_delay_alu instid0(SALU_CYCLE_1)
	s_xor_b32 s4, exec_lo, s5
	s_cbranch_execz .LBB86_228
; %bb.227:
	v_add_f32_e64 v18, |v84|, |v84|
	s_delay_alu instid0(VALU_DEP_1) | instskip(SKIP_1) | instid1(VALU_DEP_2)
	v_mul_f32_e32 v85, 0x3fb8aa3b, v18
	v_cmp_ngt_f32_e32 vcc_lo, 0xc2ce8ed0, v18
	v_rndne_f32_e32 v87, v85
	v_fma_f32 v89, 0x3fb8aa3b, v18, -v85
	s_delay_alu instid0(VALU_DEP_2) | instskip(NEXT) | instid1(VALU_DEP_2)
	v_sub_f32_e32 v85, v85, v87
	v_fmamk_f32 v89, v18, 0x32a5705f, v89
	v_cvt_i32_f32_e32 v87, v87
	s_delay_alu instid0(VALU_DEP_2) | instskip(NEXT) | instid1(VALU_DEP_1)
	v_add_f32_e32 v85, v85, v89
	v_exp_f32_e32 v85, v85
	s_waitcnt_depctr 0xfff
	v_ldexp_f32 v85, v85, v87
	s_delay_alu instid0(VALU_DEP_1) | instskip(SKIP_1) | instid1(VALU_DEP_2)
	v_cndmask_b32_e32 v85, 0, v85, vcc_lo
	v_cmp_nlt_f32_e32 vcc_lo, 0x42b17218, v18
	v_cndmask_b32_e32 v18, 0x7f800000, v85, vcc_lo
	s_delay_alu instid0(VALU_DEP_1) | instskip(NEXT) | instid1(VALU_DEP_1)
	v_add_f32_e32 v18, 1.0, v18
	v_rcp_f32_e32 v18, v18
	s_waitcnt_depctr 0xfff
	v_fma_f32 v18, v18, -2.0, 1.0
.LBB86_228:
	s_and_not1_saveexec_b32 s4, s4
; %bb.229:
	v_mul_f32_e32 v18, v84, v84
	s_mov_b32 s5, 0xbbbac73d
	s_delay_alu instid0(VALU_DEP_1) | instid1(SALU_CYCLE_1)
	v_fmaak_f32 v85, s5, v18, 0x3ca908c9
	s_delay_alu instid0(VALU_DEP_1) | instskip(NEXT) | instid1(VALU_DEP_1)
	v_fmaak_f32 v85, v18, v85, 0xbd5c1c4e
	v_fmaak_f32 v85, v18, v85, 0x3e088382
	s_delay_alu instid0(VALU_DEP_1) | instskip(NEXT) | instid1(VALU_DEP_1)
	v_fmaak_f32 v85, v18, v85, 0xbeaaaa99
	v_mul_f32_e64 v85, |v84|, v85
	s_delay_alu instid0(VALU_DEP_1)
	v_fma_f32 v18, v18, v85, |v84|
; %bb.230:
	s_or_b32 exec_lo, exec_lo, s4
	v_mul_hi_u32 v85, s36, v60
	s_delay_alu instid0(VALU_DEP_2) | instskip(NEXT) | instid1(VALU_DEP_2)
	v_bfi_b32 v84, 0x7fffffff, v18, v84
	v_dual_max_f32 v14, v14, v14 :: v_dual_add_nc_u32 v85, v60, v85
	s_delay_alu instid0(VALU_DEP_1) | instskip(NEXT) | instid1(VALU_DEP_1)
	v_lshrrev_b32_e32 v85, s37, v85
	v_mul_lo_u32 v85, v85, s38
	s_delay_alu instid0(VALU_DEP_1) | instskip(SKIP_2) | instid1(VALU_DEP_2)
	v_sub_nc_u32_e32 v60, v60, v85
	s_waitcnt lgkmcnt(0)
	v_max_f32_e32 v85, v17, v17
	v_mad_u64_u32 v[17:18], null, v60, s15, s[16:17]
	v_mul_f32_e32 v60, s23, v84
	s_delay_alu instid0(VALU_DEP_3)
	v_max_f32_e32 v14, v14, v85
	s_and_saveexec_b32 s4, s0
	s_cbranch_execz .LBB86_235
; %bb.231:
	v_cmp_ne_u32_e32 vcc_lo, 1, v97
	s_cbranch_vccnz .LBB86_233
; %bb.232:
	s_delay_alu instid0(VALU_DEP_4) | instskip(NEXT) | instid1(VALU_DEP_1)
	v_add_nc_u32_e32 v84, v17, v41
	v_ashrrev_i32_e32 v85, 31, v84
	s_delay_alu instid0(VALU_DEP_1) | instskip(NEXT) | instid1(VALU_DEP_1)
	v_lshlrev_b64 v[84:85], 1, v[84:85]
	v_add_co_u32 v84, vcc_lo, s40, v84
	s_delay_alu instid0(VALU_DEP_2) | instskip(SKIP_3) | instid1(VALU_DEP_1)
	v_add_co_ci_u32_e32 v85, vcc_lo, s41, v85, vcc_lo
	flat_load_u16 v18, v[84:85]
	s_waitcnt vmcnt(0) lgkmcnt(0)
	v_cvt_f32_f16_e32 v18, v18
	v_mul_f32_e32 v18, v24, v18
	s_branch .LBB86_234
.LBB86_233:
	v_mov_b32_e32 v18, 0
.LBB86_234:
	s_delay_alu instid0(VALU_DEP_1) | instskip(NEXT) | instid1(VALU_DEP_1)
	v_dual_add_f32 v60, v60, v18 :: v_dual_max_f32 v15, v15, v15
	v_add_f32_e32 v18, 0x40051340, v60
	s_delay_alu instid0(VALU_DEP_1)
	v_max_f32_e32 v15, v15, v18
.LBB86_235:
	s_or_b32 exec_lo, exec_lo, s4
	v_cmp_ngt_f32_e64 s4, 0x3f200000, |v83|
                                        ; implicit-def: $vgpr18
	s_delay_alu instid0(VALU_DEP_1) | instskip(NEXT) | instid1(SALU_CYCLE_1)
	s_and_saveexec_b32 s5, s4
	s_xor_b32 s4, exec_lo, s5
	s_cbranch_execz .LBB86_237
; %bb.236:
	v_add_f32_e64 v18, |v83|, |v83|
	s_delay_alu instid0(VALU_DEP_1) | instskip(SKIP_1) | instid1(VALU_DEP_2)
	v_mul_f32_e32 v84, 0x3fb8aa3b, v18
	v_cmp_ngt_f32_e32 vcc_lo, 0xc2ce8ed0, v18
	v_rndne_f32_e32 v85, v84
	v_fma_f32 v87, 0x3fb8aa3b, v18, -v84
	s_delay_alu instid0(VALU_DEP_1) | instskip(SKIP_1) | instid1(VALU_DEP_2)
	v_dual_sub_f32 v84, v84, v85 :: v_dual_fmamk_f32 v87, v18, 0x32a5705f, v87
	v_cvt_i32_f32_e32 v85, v85
	v_add_f32_e32 v84, v84, v87
	s_delay_alu instid0(VALU_DEP_1) | instskip(SKIP_2) | instid1(VALU_DEP_1)
	v_exp_f32_e32 v84, v84
	s_waitcnt_depctr 0xfff
	v_ldexp_f32 v84, v84, v85
	v_cndmask_b32_e32 v84, 0, v84, vcc_lo
	v_cmp_nlt_f32_e32 vcc_lo, 0x42b17218, v18
	s_delay_alu instid0(VALU_DEP_2) | instskip(NEXT) | instid1(VALU_DEP_1)
	v_cndmask_b32_e32 v18, 0x7f800000, v84, vcc_lo
	v_add_f32_e32 v18, 1.0, v18
	s_delay_alu instid0(VALU_DEP_1)
	v_rcp_f32_e32 v18, v18
	s_waitcnt_depctr 0xfff
	v_fma_f32 v18, v18, -2.0, 1.0
.LBB86_237:
	s_and_not1_saveexec_b32 s4, s4
; %bb.238:
	v_mul_f32_e32 v18, v83, v83
	s_mov_b32 s5, 0xbbbac73d
	s_delay_alu instid0(VALU_DEP_1) | instid1(SALU_CYCLE_1)
	v_fmaak_f32 v84, s5, v18, 0x3ca908c9
	s_delay_alu instid0(VALU_DEP_1) | instskip(NEXT) | instid1(VALU_DEP_1)
	v_fmaak_f32 v84, v18, v84, 0xbd5c1c4e
	v_fmaak_f32 v84, v18, v84, 0x3e088382
	s_delay_alu instid0(VALU_DEP_1) | instskip(NEXT) | instid1(VALU_DEP_1)
	v_fmaak_f32 v84, v18, v84, 0xbeaaaa99
	v_mul_f32_e64 v84, |v83|, v84
	s_delay_alu instid0(VALU_DEP_1)
	v_fma_f32 v18, v18, v84, |v83|
; %bb.239:
	s_or_b32 exec_lo, exec_lo, s4
	s_delay_alu instid0(VALU_DEP_1) | instskip(NEXT) | instid1(VALU_DEP_1)
	v_bfi_b32 v18, 0x7fffffff, v18, v83
	v_mul_f32_e32 v83, s23, v18
	s_and_saveexec_b32 s4, s1
	s_cbranch_execz .LBB86_244
; %bb.240:
	v_cmp_ne_u32_e32 vcc_lo, 1, v97
	s_cbranch_vccnz .LBB86_242
; %bb.241:
	v_ashrrev_i32_e32 v18, 31, v17
	v_add_co_u32 v17, vcc_lo, v17, v41
	s_delay_alu instid0(VALU_DEP_2) | instskip(NEXT) | instid1(VALU_DEP_1)
	v_add_co_ci_u32_e32 v18, vcc_lo, 0, v18, vcc_lo
	v_lshlrev_b64 v[17:18], 1, v[17:18]
	s_delay_alu instid0(VALU_DEP_1) | instskip(NEXT) | instid1(VALU_DEP_2)
	v_add_co_u32 v17, vcc_lo, s40, v17
	v_add_co_ci_u32_e32 v18, vcc_lo, s41, v18, vcc_lo
	flat_load_u16 v17, v[17:18] offset:64
	s_waitcnt vmcnt(0) lgkmcnt(0)
	v_cvt_f32_f16_e32 v17, v17
	s_delay_alu instid0(VALU_DEP_1)
	v_mul_f32_e32 v17, v24, v17
	s_branch .LBB86_243
.LBB86_242:
	v_mov_b32_e32 v17, 0
.LBB86_243:
	s_delay_alu instid0(VALU_DEP_1) | instskip(SKIP_1) | instid1(VALU_DEP_2)
	v_add_f32_e32 v83, v83, v17
	v_max_f32_e32 v15, v15, v15
	v_add_f32_e32 v17, 0x40051340, v83
	s_delay_alu instid0(VALU_DEP_1)
	v_max_f32_e32 v15, v15, v17
.LBB86_244:
	s_or_b32 exec_lo, exec_lo, s4
	ds_bpermute_b32 v17, v98, v15
	v_max_f32_e32 v15, v15, v15
	v_cmp_ngt_f32_e64 s4, 0x3f200000, |v76|
                                        ; implicit-def: $vgpr18
	s_waitcnt lgkmcnt(0)
	v_max_f32_e32 v17, v17, v17
	s_delay_alu instid0(VALU_DEP_1) | instskip(SKIP_3) | instid1(VALU_DEP_1)
	v_max_f32_e32 v15, v15, v17
	ds_bpermute_b32 v17, v99, v15
	s_waitcnt lgkmcnt(0)
	v_max_f32_e32 v17, v17, v17
	v_max_f32_e32 v15, v15, v17
	ds_bpermute_b32 v17, v100, v15
	s_waitcnt lgkmcnt(0)
	v_max_f32_e32 v17, v17, v17
	s_delay_alu instid0(VALU_DEP_1) | instskip(SKIP_3) | instid1(VALU_DEP_1)
	v_max_f32_e32 v15, v15, v17
	ds_bpermute_b32 v17, v101, v15
	s_waitcnt lgkmcnt(0)
	v_max_f32_e32 v17, v17, v17
	v_max_f32_e32 v15, v15, v17
	ds_bpermute_b32 v17, v102, v15
	s_and_saveexec_b32 s5, s4
	s_delay_alu instid0(SALU_CYCLE_1)
	s_xor_b32 s4, exec_lo, s5
	s_cbranch_execz .LBB86_246
; %bb.245:
	v_add_f32_e64 v18, |v76|, |v76|
	s_delay_alu instid0(VALU_DEP_1) | instskip(SKIP_1) | instid1(VALU_DEP_2)
	v_mul_f32_e32 v84, 0x3fb8aa3b, v18
	v_cmp_ngt_f32_e32 vcc_lo, 0xc2ce8ed0, v18
	v_rndne_f32_e32 v85, v84
	v_fma_f32 v87, 0x3fb8aa3b, v18, -v84
	s_delay_alu instid0(VALU_DEP_1) | instskip(SKIP_1) | instid1(VALU_DEP_2)
	v_dual_sub_f32 v84, v84, v85 :: v_dual_fmamk_f32 v87, v18, 0x32a5705f, v87
	v_cvt_i32_f32_e32 v85, v85
	v_add_f32_e32 v84, v84, v87
	s_delay_alu instid0(VALU_DEP_1) | instskip(SKIP_2) | instid1(VALU_DEP_1)
	v_exp_f32_e32 v84, v84
	s_waitcnt_depctr 0xfff
	v_ldexp_f32 v84, v84, v85
	v_cndmask_b32_e32 v84, 0, v84, vcc_lo
	v_cmp_nlt_f32_e32 vcc_lo, 0x42b17218, v18
	s_delay_alu instid0(VALU_DEP_2) | instskip(NEXT) | instid1(VALU_DEP_1)
	v_cndmask_b32_e32 v18, 0x7f800000, v84, vcc_lo
	v_add_f32_e32 v18, 1.0, v18
	s_delay_alu instid0(VALU_DEP_1)
	v_rcp_f32_e32 v18, v18
	s_waitcnt_depctr 0xfff
	v_fma_f32 v18, v18, -2.0, 1.0
.LBB86_246:
	s_and_not1_saveexec_b32 s4, s4
; %bb.247:
	v_mul_f32_e32 v18, v76, v76
	s_mov_b32 s5, 0xbbbac73d
	s_delay_alu instid0(VALU_DEP_1) | instid1(SALU_CYCLE_1)
	v_fmaak_f32 v84, s5, v18, 0x3ca908c9
	s_delay_alu instid0(VALU_DEP_1) | instskip(NEXT) | instid1(VALU_DEP_1)
	v_fmaak_f32 v84, v18, v84, 0xbd5c1c4e
	v_fmaak_f32 v84, v18, v84, 0x3e088382
	s_delay_alu instid0(VALU_DEP_1) | instskip(NEXT) | instid1(VALU_DEP_1)
	v_fmaak_f32 v84, v18, v84, 0xbeaaaa99
	v_mul_f32_e64 v84, |v76|, v84
	s_delay_alu instid0(VALU_DEP_1)
	v_fma_f32 v18, v18, v84, |v76|
; %bb.248:
	s_or_b32 exec_lo, exec_lo, s4
	v_mul_hi_u32 v84, s36, v59
	s_delay_alu instid0(VALU_DEP_2) | instskip(SKIP_1) | instid1(VALU_DEP_3)
	v_bfi_b32 v76, 0x7fffffff, v18, v76
	v_max_f32_e32 v15, v15, v15
	v_add_nc_u32_e32 v84, v59, v84
	s_delay_alu instid0(VALU_DEP_1) | instskip(NEXT) | instid1(VALU_DEP_1)
	v_lshrrev_b32_e32 v84, s37, v84
	v_mul_lo_u32 v84, v84, s38
	s_delay_alu instid0(VALU_DEP_1) | instskip(SKIP_2) | instid1(VALU_DEP_2)
	v_sub_nc_u32_e32 v59, v59, v84
	s_waitcnt lgkmcnt(0)
	v_max_f32_e32 v84, v17, v17
	v_mad_u64_u32 v[17:18], null, v59, s15, s[16:17]
	s_delay_alu instid0(VALU_DEP_2)
	v_max_f32_e32 v15, v15, v84
	v_mul_f32_e32 v18, s23, v76
	s_and_saveexec_b32 s4, s0
	s_cbranch_execz .LBB86_253
; %bb.249:
	v_cmp_ne_u32_e32 vcc_lo, 1, v97
	s_cbranch_vccnz .LBB86_251
; %bb.250:
	s_delay_alu instid0(VALU_DEP_4) | instskip(NEXT) | instid1(VALU_DEP_1)
	v_add_nc_u32_e32 v84, v17, v41
	v_ashrrev_i32_e32 v85, 31, v84
	s_delay_alu instid0(VALU_DEP_1) | instskip(NEXT) | instid1(VALU_DEP_1)
	v_lshlrev_b64 v[84:85], 1, v[84:85]
	v_add_co_u32 v84, vcc_lo, s40, v84
	s_delay_alu instid0(VALU_DEP_2) | instskip(SKIP_3) | instid1(VALU_DEP_1)
	v_add_co_ci_u32_e32 v85, vcc_lo, s41, v85, vcc_lo
	flat_load_u16 v59, v[84:85]
	s_waitcnt vmcnt(0) lgkmcnt(0)
	v_cvt_f32_f16_e32 v59, v59
	v_mul_f32_e32 v59, v24, v59
	s_branch .LBB86_252
.LBB86_251:
	v_mov_b32_e32 v59, 0
.LBB86_252:
	s_delay_alu instid0(VALU_DEP_1) | instskip(NEXT) | instid1(VALU_DEP_1)
	v_add_f32_e32 v18, v18, v59
	v_dual_max_f32 v16, v16, v16 :: v_dual_add_f32 v59, 0x40051340, v18
	s_delay_alu instid0(VALU_DEP_1)
	v_max_f32_e32 v16, v16, v59
.LBB86_253:
	s_or_b32 exec_lo, exec_lo, s4
	v_cmp_ngt_f32_e64 s0, 0x3f200000, |v0|
                                        ; implicit-def: $vgpr59
	s_delay_alu instid0(VALU_DEP_1) | instskip(NEXT) | instid1(SALU_CYCLE_1)
	s_and_saveexec_b32 s4, s0
	s_xor_b32 s0, exec_lo, s4
	s_cbranch_execz .LBB86_255
; %bb.254:
	v_add_f32_e64 v59, |v0|, |v0|
	s_delay_alu instid0(VALU_DEP_1) | instskip(SKIP_1) | instid1(VALU_DEP_2)
	v_mul_f32_e32 v76, 0x3fb8aa3b, v59
	v_cmp_ngt_f32_e32 vcc_lo, 0xc2ce8ed0, v59
	v_rndne_f32_e32 v84, v76
	v_fma_f32 v85, 0x3fb8aa3b, v59, -v76
	s_delay_alu instid0(VALU_DEP_1) | instskip(SKIP_1) | instid1(VALU_DEP_2)
	v_dual_sub_f32 v76, v76, v84 :: v_dual_fmamk_f32 v85, v59, 0x32a5705f, v85
	v_cvt_i32_f32_e32 v84, v84
	v_add_f32_e32 v76, v76, v85
	s_delay_alu instid0(VALU_DEP_1) | instskip(SKIP_2) | instid1(VALU_DEP_1)
	v_exp_f32_e32 v76, v76
	s_waitcnt_depctr 0xfff
	v_ldexp_f32 v76, v76, v84
	v_cndmask_b32_e32 v76, 0, v76, vcc_lo
	v_cmp_nlt_f32_e32 vcc_lo, 0x42b17218, v59
	s_delay_alu instid0(VALU_DEP_2) | instskip(NEXT) | instid1(VALU_DEP_1)
	v_cndmask_b32_e32 v59, 0x7f800000, v76, vcc_lo
	v_add_f32_e32 v59, 1.0, v59
	s_delay_alu instid0(VALU_DEP_1)
	v_rcp_f32_e32 v59, v59
	s_waitcnt_depctr 0xfff
	v_fma_f32 v59, v59, -2.0, 1.0
.LBB86_255:
	s_and_not1_saveexec_b32 s0, s0
; %bb.256:
	v_mul_f32_e32 v59, v0, v0
	s_mov_b32 s4, 0xbbbac73d
	s_delay_alu instid0(VALU_DEP_1) | instid1(SALU_CYCLE_1)
	v_fmaak_f32 v76, s4, v59, 0x3ca908c9
	s_delay_alu instid0(VALU_DEP_1) | instskip(NEXT) | instid1(VALU_DEP_1)
	v_fmaak_f32 v76, v59, v76, 0xbd5c1c4e
	v_fmaak_f32 v76, v59, v76, 0x3e088382
	s_delay_alu instid0(VALU_DEP_1) | instskip(NEXT) | instid1(VALU_DEP_1)
	v_fmaak_f32 v76, v59, v76, 0xbeaaaa99
	v_mul_f32_e64 v76, |v0|, v76
	s_delay_alu instid0(VALU_DEP_1)
	v_fma_f32 v59, v59, v76, |v0|
; %bb.257:
	s_or_b32 exec_lo, exec_lo, s0
	s_delay_alu instid0(VALU_DEP_1) | instskip(NEXT) | instid1(VALU_DEP_1)
	v_bfi_b32 v0, 0x7fffffff, v59, v0
	v_mul_f32_e32 v0, s23, v0
	s_and_saveexec_b32 s0, s1
	s_cbranch_execz .LBB86_262
; %bb.258:
	v_cmp_ne_u32_e32 vcc_lo, 1, v97
	s_cbranch_vccnz .LBB86_260
; %bb.259:
	v_ashrrev_i32_e32 v59, 31, v17
	v_add_co_u32 v84, vcc_lo, v17, v41
	s_delay_alu instid0(VALU_DEP_2) | instskip(NEXT) | instid1(VALU_DEP_1)
	v_add_co_ci_u32_e32 v85, vcc_lo, 0, v59, vcc_lo
	v_lshlrev_b64 v[84:85], 1, v[84:85]
	s_delay_alu instid0(VALU_DEP_1) | instskip(NEXT) | instid1(VALU_DEP_2)
	v_add_co_u32 v84, vcc_lo, s40, v84
	v_add_co_ci_u32_e32 v85, vcc_lo, s41, v85, vcc_lo
	flat_load_u16 v17, v[84:85] offset:64
	s_waitcnt vmcnt(0) lgkmcnt(0)
	v_cvt_f32_f16_e32 v17, v17
	s_delay_alu instid0(VALU_DEP_1)
	v_mul_f32_e32 v17, v24, v17
	s_branch .LBB86_261
.LBB86_260:
	v_mov_b32_e32 v17, 0
.LBB86_261:
	s_delay_alu instid0(VALU_DEP_1) | instskip(SKIP_1) | instid1(VALU_DEP_2)
	v_add_f32_e32 v0, v0, v17
	v_max_f32_e32 v16, v16, v16
	v_add_f32_e32 v17, 0x40051340, v0
	s_delay_alu instid0(VALU_DEP_1)
	v_max_f32_e32 v16, v16, v17
.LBB86_262:
	s_or_b32 exec_lo, exec_lo, s0
	ds_bpermute_b32 v17, v98, v16
	v_max_f32_e32 v16, v16, v16
	v_dual_sub_f32 v84, v1, v9 :: v_dual_sub_f32 v97, v4, v12
	v_dual_sub_f32 v1, v92, v11 :: v_dual_sub_f32 v98, v5, v13
	s_waitcnt lgkmcnt(0)
	s_barrier
	buffer_gl0_inv
	v_cmp_ngt_f32_e32 vcc_lo, 0xc2ce8ed0, v1
	v_cmp_nlt_f32_e64 s0, 0x42b17218, v1
	v_sub_f32_e32 v72, v72, v10
	s_mov_b64 s[18:19], src_shared_base
	v_dual_sub_f32 v85, v2, v10 :: v_dual_add_nc_u32 v92, 0x9404, v75
	v_dual_mul_f32 v2, 0x3fb8aa3b, v1 :: v_dual_sub_f32 v87, v3, v11
	v_sub_f32_e32 v63, v63, v12
	v_max_f32_e32 v17, v17, v17
	s_delay_alu instid0(VALU_DEP_3) | instskip(NEXT) | instid1(VALU_DEP_2)
	v_fma_f32 v3, 0x3fb8aa3b, v1, -v2
	v_max_f32_e32 v16, v16, v17
	s_delay_alu instid0(VALU_DEP_2)
	v_fmac_f32_e32 v3, 0x32a5705f, v1
	v_sub_f32_e32 v1, v90, v12
	ds_bpermute_b32 v17, v99, v16
	v_dual_sub_f32 v99, v6, v14 :: v_dual_mul_f32 v4, 0x3fb8aa3b, v1
	v_cmp_ngt_f32_e64 s1, 0xc2ce8ed0, v1
	v_cmp_nlt_f32_e64 s4, 0x42b17218, v1
	v_cmp_ngt_f32_e64 s9, 0xc2ce8ed0, v98
	v_cmp_nlt_f32_e64 s10, 0x42b17218, v98
	v_fma_f32 v5, 0x3fb8aa3b, v1, -v4
	v_cmp_ngt_f32_e64 s11, 0xc2ce8ed0, v99
	v_cmp_nlt_f32_e64 s12, 0x42b17218, v99
	s_delay_alu instid0(VALU_DEP_3) | instskip(SKIP_1) | instid1(VALU_DEP_1)
	v_fmac_f32_e32 v5, 0x32a5705f, v1
	v_sub_f32_e32 v1, v88, v13
	v_mul_f32_e32 v6, 0x3fb8aa3b, v1
	v_cmp_ngt_f32_e64 s5, 0xc2ce8ed0, v1
	s_waitcnt lgkmcnt(0)
	v_max_f32_e32 v17, v17, v17
	v_cmp_nlt_f32_e64 s6, 0x42b17218, v1
	s_delay_alu instid0(VALU_DEP_2) | instskip(SKIP_3) | instid1(VALU_DEP_2)
	v_max_f32_e32 v16, v16, v17
	ds_bpermute_b32 v17, v100, v16
	v_sub_f32_e32 v100, v7, v15
	v_fma_f32 v7, 0x3fb8aa3b, v1, -v6
	v_cmp_ngt_f32_e64 s13, 0xc2ce8ed0, v100
	s_delay_alu instid0(VALU_DEP_2) | instskip(SKIP_2) | instid1(VALU_DEP_2)
	v_fmac_f32_e32 v7, 0x32a5705f, v1
	v_rndne_f32_e32 v1, v2
	v_cmp_nlt_f32_e64 s15, 0x42b17218, v100
	v_sub_f32_e32 v2, v2, v1
	v_cvt_i32_f32_e32 v1, v1
	s_delay_alu instid0(VALU_DEP_2) | instskip(SKIP_3) | instid1(VALU_DEP_3)
	v_add_f32_e32 v2, v2, v3
	v_rndne_f32_e32 v3, v4
	s_waitcnt lgkmcnt(0)
	v_max_f32_e32 v17, v17, v17
	v_exp_f32_e32 v2, v2
	s_delay_alu instid0(VALU_DEP_2) | instskip(NEXT) | instid1(VALU_DEP_2)
	v_sub_f32_e32 v4, v4, v3
	v_max_f32_e32 v16, v16, v17
	v_cvt_i32_f32_e32 v3, v3
	s_delay_alu instid0(VALU_DEP_3)
	v_add_f32_e32 v4, v4, v5
	v_rndne_f32_e32 v5, v6
	s_waitcnt_depctr 0xfff
	v_ldexp_f32 v1, v2, v1
	v_exp_f32_e32 v2, v4
	v_sub_f32_e32 v6, v6, v5
	v_cvt_i32_f32_e32 v4, v5
	s_delay_alu instid0(VALU_DEP_3) | instskip(SKIP_1) | instid1(VALU_DEP_4)
	v_cndmask_b32_e32 v1, 0, v1, vcc_lo
	v_cmp_gt_u32_e32 vcc_lo, s27, v41
	v_add_f32_e32 v6, v6, v7
	v_sub_f32_e32 v7, v86, v14
	ds_bpermute_b32 v17, v101, v16
	v_cndmask_b32_e64 v1, 0x7f800000, v1, s0
	v_ldexp_f32 v2, v2, v3
	v_exp_f32_e32 v3, v6
	v_cmp_ngt_f32_e64 s7, 0xc2ce8ed0, v7
	v_cmp_nlt_f32_e64 s8, 0x42b17218, v7
	v_cndmask_b32_e32 v6, 0, v1, vcc_lo
	v_cndmask_b32_e64 v2, 0, v2, s1
	s_delay_alu instid0(VALU_DEP_2) | instskip(NEXT) | instid1(VALU_DEP_2)
	v_cvt_f16_f32_e32 v1, v6
	v_cndmask_b32_e64 v2, 0x7f800000, v2, s4
	s_delay_alu instid0(TRANS32_DEP_1) | instskip(NEXT) | instid1(VALU_DEP_1)
	v_ldexp_f32 v3, v3, v4
	v_cndmask_b32_e64 v3, 0, v3, s5
	s_waitcnt lgkmcnt(0)
	v_max_f32_e32 v17, v17, v17
	s_delay_alu instid0(VALU_DEP_2) | instskip(NEXT) | instid1(VALU_DEP_2)
	v_cndmask_b32_e64 v3, 0x7f800000, v3, s6
	v_max_f32_e32 v16, v16, v17
	ds_bpermute_b32 v17, v102, v16
	s_waitcnt lgkmcnt(0)
	v_max_f32_e32 v17, v17, v17
	s_delay_alu instid0(VALU_DEP_1) | instskip(NEXT) | instid1(VALU_DEP_1)
	v_max_f32_e32 v16, v16, v17
	v_dual_sub_f32 v101, v8, v16 :: v_dual_mul_f32 v8, 0x3fb8aa3b, v7
	s_delay_alu instid0(VALU_DEP_1) | instskip(SKIP_1) | instid1(VALU_DEP_1)
	v_fma_f32 v17, 0x3fb8aa3b, v7, -v8
	v_rndne_f32_e32 v24, v8
	v_dual_fmac_f32 v17, 0x32a5705f, v7 :: v_dual_sub_f32 v8, v8, v24
	v_cvt_i32_f32_e32 v5, v24
	s_delay_alu instid0(VALU_DEP_2) | instskip(NEXT) | instid1(VALU_DEP_1)
	v_dual_cndmask_b32 v7, 0, v2 :: v_dual_add_f32 v8, v8, v17
	v_exp_f32_e32 v4, v8
	s_delay_alu instid0(VALU_DEP_1) | instskip(NEXT) | instid1(VALU_DEP_1)
	v_cvt_f16_f32_e32 v8, v7
	v_pack_b32_f16 v89, v1, v8
	v_dual_sub_f32 v1, v96, v9 :: v_dual_mul_f32 v96, 0x3fb8aa3b, v98
	s_waitcnt_depctr 0xfff
	v_ldexp_f32 v4, v4, v5
	v_cndmask_b32_e32 v5, 0, v3, vcc_lo
	v_cmp_ngt_f32_e64 s0, 0xc2ce8ed0, v1
	v_cmp_nlt_f32_e64 s1, 0x42b17218, v1
	v_sub_f32_e32 v0, v0, v16
	v_cndmask_b32_e64 v4, 0, v4, s7
	v_cvt_f16_f32_e32 v2, v5
	s_delay_alu instid0(VALU_DEP_3) | instskip(NEXT) | instid1(VALU_DEP_3)
	v_cmp_ngt_f32_e64 s7, 0xc2ce8ed0, v0
	v_cndmask_b32_e64 v4, 0x7f800000, v4, s8
	v_cmp_nlt_f32_e64 s8, 0x42b17218, v0
	s_delay_alu instid0(VALU_DEP_2) | instskip(NEXT) | instid1(VALU_DEP_1)
	v_cndmask_b32_e32 v4, 0, v4, vcc_lo
	v_cvt_f16_f32_e32 v3, v4
	s_delay_alu instid0(VALU_DEP_1) | instskip(SKIP_1) | instid1(VALU_DEP_1)
	v_pack_b32_f16 v90, v2, v3
	v_mul_f32_e32 v2, 0x3fb8aa3b, v1
	v_fma_f32 v3, 0x3fb8aa3b, v1, -v2
	s_delay_alu instid0(VALU_DEP_1) | instskip(SKIP_1) | instid1(VALU_DEP_1)
	v_fmac_f32_e32 v3, 0x32a5705f, v1
	v_rndne_f32_e32 v1, v2
	v_sub_f32_e32 v2, v2, v1
	v_cvt_i32_f32_e32 v1, v1
	s_delay_alu instid0(VALU_DEP_2) | instskip(SKIP_1) | instid1(VALU_DEP_2)
	v_add_f32_e32 v2, v2, v3
	v_sub_f32_e32 v3, v94, v10
	v_exp_f32_e32 v2, v2
	s_delay_alu instid0(VALU_DEP_1) | instskip(SKIP_2) | instid1(VALU_DEP_3)
	v_mul_f32_e32 v8, 0x3fb8aa3b, v3
	v_cmp_ngt_f32_e64 s4, 0xc2ce8ed0, v3
	v_cmp_nlt_f32_e64 s5, 0x42b17218, v3
	v_fma_f32 v17, 0x3fb8aa3b, v3, -v8
	v_rndne_f32_e32 v24, v8
	s_waitcnt_depctr 0xfff
	v_ldexp_f32 v1, v2, v1
	v_dual_fmac_f32 v17, 0x32a5705f, v3 :: v_dual_sub_f32 v8, v8, v24
	s_delay_alu instid0(VALU_DEP_2) | instskip(NEXT) | instid1(VALU_DEP_2)
	v_cndmask_b32_e64 v1, 0, v1, s0
	v_add_f32_e32 v8, v8, v17
	s_delay_alu instid0(VALU_DEP_2) | instskip(NEXT) | instid1(VALU_DEP_2)
	v_cndmask_b32_e64 v1, 0x7f800000, v1, s1
	v_exp_f32_e32 v2, v8
	v_cvt_i32_f32_e32 v8, v24
	s_delay_alu instid0(VALU_DEP_2) | instskip(NEXT) | instid1(VALU_DEP_1)
	v_cndmask_b32_e32 v17, 0, v1, vcc_lo
	v_cvt_f16_f32_e32 v1, v17
	s_waitcnt_depctr 0xfff
	v_ldexp_f32 v2, v2, v8
	s_delay_alu instid0(VALU_DEP_1) | instskip(NEXT) | instid1(VALU_DEP_1)
	v_cndmask_b32_e64 v2, 0, v2, s4
	v_cndmask_b32_e64 v2, 0x7f800000, v2, s5
	s_delay_alu instid0(VALU_DEP_1) | instskip(NEXT) | instid1(VALU_DEP_1)
	v_cndmask_b32_e32 v8, 0, v2, vcc_lo
	v_cvt_f16_f32_e32 v2, v8
	s_delay_alu instid0(VALU_DEP_1) | instskip(SKIP_1) | instid1(VALU_DEP_1)
	v_pack_b32_f16 v88, v1, v2
	v_sub_f32_e32 v1, v60, v15
	v_mul_f32_e32 v2, 0x3fb8aa3b, v1
	v_cmp_ngt_f32_e64 s0, 0xc2ce8ed0, v1
	v_cmp_nlt_f32_e64 s1, 0x42b17218, v1
	s_delay_alu instid0(VALU_DEP_3) | instskip(NEXT) | instid1(VALU_DEP_1)
	v_fma_f32 v3, 0x3fb8aa3b, v1, -v2
	v_fmac_f32_e32 v3, 0x32a5705f, v1
	v_rndne_f32_e32 v1, v2
	s_delay_alu instid0(VALU_DEP_1) | instskip(SKIP_1) | instid1(VALU_DEP_2)
	v_sub_f32_e32 v2, v2, v1
	v_cvt_i32_f32_e32 v1, v1
	v_add_f32_e32 v2, v2, v3
	v_sub_f32_e32 v3, v18, v16
	s_delay_alu instid0(VALU_DEP_2) | instskip(NEXT) | instid1(VALU_DEP_1)
	v_exp_f32_e32 v2, v2
	v_mul_f32_e32 v18, 0x3fb8aa3b, v3
	v_cmp_ngt_f32_e64 s4, 0xc2ce8ed0, v3
	v_cmp_nlt_f32_e64 s5, 0x42b17218, v3
	s_delay_alu instid0(VALU_DEP_3)
	v_fma_f32 v24, 0x3fb8aa3b, v3, -v18
	v_rndne_f32_e32 v59, v18
	s_waitcnt_depctr 0xfff
	v_ldexp_f32 v1, v2, v1
	v_fmac_f32_e32 v24, 0x32a5705f, v3
	v_sub_f32_e32 v18, v18, v59
	s_delay_alu instid0(VALU_DEP_3) | instskip(NEXT) | instid1(VALU_DEP_2)
	v_cndmask_b32_e64 v1, 0, v1, s0
	v_add_f32_e32 v18, v18, v24
	s_delay_alu instid0(VALU_DEP_2) | instskip(NEXT) | instid1(VALU_DEP_2)
	v_cndmask_b32_e64 v1, 0x7f800000, v1, s1
	v_exp_f32_e32 v2, v18
	v_cvt_i32_f32_e32 v18, v59
	v_lshlrev_b32_e32 v59, 10, v21
	s_delay_alu instid0(VALU_DEP_3) | instskip(NEXT) | instid1(VALU_DEP_2)
	v_cndmask_b32_e32 v24, 0, v1, vcc_lo
	v_add_nc_u32_e32 v86, 0x6400, v59
	s_delay_alu instid0(VALU_DEP_2) | instskip(SKIP_2) | instid1(VALU_DEP_1)
	v_cvt_f16_f32_e32 v1, v24
	s_waitcnt_depctr 0xfff
	v_ldexp_f32 v2, v2, v18
	v_cndmask_b32_e64 v2, 0, v2, s4
	s_delay_alu instid0(VALU_DEP_1) | instskip(NEXT) | instid1(VALU_DEP_1)
	v_cndmask_b32_e64 v2, 0x7f800000, v2, s5
	v_cndmask_b32_e32 v18, 0, v2, vcc_lo
	s_delay_alu instid0(VALU_DEP_1) | instskip(NEXT) | instid1(VALU_DEP_1)
	v_cvt_f16_f32_e32 v2, v18
	v_pack_b32_f16 v91, v1, v2
	v_lshl_add_u32 v1, v41, 4, v86
	ds_store_b128 v1, v[88:91]
	v_sub_f32_e32 v1, v62, v13
	s_delay_alu instid0(VALU_DEP_1) | instskip(SKIP_2) | instid1(VALU_DEP_3)
	v_mul_f32_e32 v2, 0x3fb8aa3b, v1
	v_cmp_ngt_f32_e32 vcc_lo, 0xc2ce8ed0, v1
	v_cmp_nlt_f32_e64 s0, 0x42b17218, v1
	v_fma_f32 v3, 0x3fb8aa3b, v1, -v2
	s_delay_alu instid0(VALU_DEP_1) | instskip(SKIP_1) | instid1(VALU_DEP_1)
	v_fmac_f32_e32 v3, 0x32a5705f, v1
	v_sub_f32_e32 v1, v61, v14
	v_mul_f32_e32 v60, 0x3fb8aa3b, v1
	v_cmp_ngt_f32_e64 s1, 0xc2ce8ed0, v1
	v_cmp_nlt_f32_e64 s4, 0x42b17218, v1
	s_delay_alu instid0(VALU_DEP_3) | instskip(NEXT) | instid1(VALU_DEP_1)
	v_fma_f32 v61, 0x3fb8aa3b, v1, -v60
	v_fmac_f32_e32 v61, 0x32a5705f, v1
	v_sub_f32_e32 v1, v83, v15
	s_delay_alu instid0(VALU_DEP_1) | instskip(SKIP_2) | instid1(VALU_DEP_3)
	v_mul_f32_e32 v62, 0x3fb8aa3b, v1
	v_cmp_ngt_f32_e64 s5, 0xc2ce8ed0, v1
	v_cmp_nlt_f32_e64 s6, 0x42b17218, v1
	v_fma_f32 v76, 0x3fb8aa3b, v1, -v62
	s_delay_alu instid0(VALU_DEP_1) | instskip(SKIP_1) | instid1(VALU_DEP_1)
	v_fmac_f32_e32 v76, 0x32a5705f, v1
	v_rndne_f32_e32 v1, v2
	v_sub_f32_e32 v2, v2, v1
	v_cvt_i32_f32_e32 v1, v1
	s_delay_alu instid0(VALU_DEP_2) | instskip(SKIP_1) | instid1(VALU_DEP_2)
	v_add_f32_e32 v2, v2, v3
	v_rndne_f32_e32 v3, v60
	v_exp_f32_e32 v2, v2
	s_delay_alu instid0(VALU_DEP_1) | instskip(SKIP_1) | instid1(VALU_DEP_2)
	v_sub_f32_e32 v60, v60, v3
	v_cvt_i32_f32_e32 v3, v3
	v_add_f32_e32 v60, v60, v61
	v_rndne_f32_e32 v61, v62
	s_waitcnt_depctr 0xfff
	v_ldexp_f32 v1, v2, v1
	v_exp_f32_e32 v2, v60
	v_sub_f32_e32 v62, v62, v61
	v_cvt_i32_f32_e32 v61, v61
	s_delay_alu instid0(VALU_DEP_2) | instskip(SKIP_3) | instid1(VALU_DEP_2)
	v_add_f32_e32 v62, v62, v76
	s_waitcnt_depctr 0xfff
	v_ldexp_f32 v2, v2, v3
	v_mul_f32_e32 v3, 0x3fb8aa3b, v0
	v_cndmask_b32_e64 v2, 0, v2, s1
	s_delay_alu instid0(VALU_DEP_2) | instskip(SKIP_1) | instid1(VALU_DEP_3)
	v_fma_f32 v60, 0x3fb8aa3b, v0, -v3
	v_rndne_f32_e32 v76, v3
	v_cndmask_b32_e64 v2, 0x7f800000, v2, s4
	s_delay_alu instid0(VALU_DEP_3) | instskip(NEXT) | instid1(VALU_DEP_3)
	v_fmac_f32_e32 v60, 0x32a5705f, v0
	v_dual_sub_f32 v3, v3, v76 :: v_dual_cndmask_b32 v0, 0, v1
	v_cmp_gt_u32_e32 vcc_lo, s27, v69
	v_cmp_ngt_f32_e64 s4, 0xc2ce8ed0, v63
	s_delay_alu instid0(VALU_DEP_3) | instskip(SKIP_2) | instid1(VALU_DEP_2)
	v_add_f32_e32 v3, v3, v60
	v_exp_f32_e32 v60, v62
	v_cndmask_b32_e64 v0, 0x7f800000, v0, s0
	v_exp_f32_e32 v3, v3
	s_delay_alu instid0(VALU_DEP_1)
	v_cndmask_b32_e32 v62, 0, v0, vcc_lo
	s_waitcnt_depctr 0xfff
	v_ldexp_f32 v60, v60, v61
	v_cvt_i32_f32_e32 v61, v76
	v_cndmask_b32_e32 v76, 0, v2, vcc_lo
	v_cvt_f16_f32_e32 v0, v62
	s_delay_alu instid0(VALU_DEP_4) | instskip(NEXT) | instid1(VALU_DEP_4)
	v_cndmask_b32_e64 v1, 0, v60, s5
	v_ldexp_f32 v3, v3, v61
	s_delay_alu instid0(VALU_DEP_4) | instskip(SKIP_1) | instid1(VALU_DEP_4)
	v_cvt_f16_f32_e32 v83, v76
	v_cmp_nlt_f32_e64 s5, 0x42b17218, v63
	v_cndmask_b32_e64 v1, 0x7f800000, v1, s6
	s_delay_alu instid0(VALU_DEP_4) | instskip(SKIP_2) | instid1(VALU_DEP_4)
	v_cndmask_b32_e64 v3, 0, v3, s7
	v_cmp_nlt_f32_e64 s6, 0x42b17218, v87
	v_cmp_ngt_f32_e64 s7, 0xc2ce8ed0, v97
	v_cndmask_b32_e32 v61, 0, v1, vcc_lo
	s_delay_alu instid0(VALU_DEP_4) | instskip(SKIP_2) | instid1(VALU_DEP_4)
	v_cndmask_b32_e64 v3, 0x7f800000, v3, s8
	v_lshl_add_u32 v69, v69, 4, v86
	v_cmp_nlt_f32_e64 s8, 0x42b17218, v97
	v_cvt_f16_f32_e32 v1, v61
	s_delay_alu instid0(VALU_DEP_4) | instskip(NEXT) | instid1(VALU_DEP_1)
	v_cndmask_b32_e32 v60, 0, v3, vcc_lo
	v_cvt_f16_f32_e32 v2, v60
	s_delay_alu instid0(VALU_DEP_1) | instskip(SKIP_2) | instid1(VALU_DEP_1)
	v_pack_b32_f16 v3, v1, v2
	v_pack_b32_f16 v2, v0, v83
	v_sub_f32_e32 v0, v66, v11
	v_mul_f32_e32 v1, 0x3fb8aa3b, v0
	v_cmp_ngt_f32_e64 s0, 0xc2ce8ed0, v0
	v_cmp_nlt_f32_e64 s1, 0x42b17218, v0
	s_delay_alu instid0(VALU_DEP_3) | instskip(SKIP_1) | instid1(VALU_DEP_1)
	v_fma_f32 v66, 0x3fb8aa3b, v0, -v1
	v_rndne_f32_e32 v83, v1
	v_dual_fmac_f32 v66, 0x32a5705f, v0 :: v_dual_sub_f32 v1, v1, v83
	v_cvt_i32_f32_e32 v83, v83
	s_delay_alu instid0(VALU_DEP_2) | instskip(NEXT) | instid1(VALU_DEP_1)
	v_dual_add_f32 v1, v1, v66 :: v_dual_mul_f32 v66, 0x3fb8aa3b, v63
	v_exp_f32_e32 v1, v1
	s_delay_alu instid0(VALU_DEP_1) | instskip(SKIP_1) | instid1(VALU_DEP_2)
	v_fma_f32 v88, 0x3fb8aa3b, v63, -v66
	v_rndne_f32_e32 v89, v66
	v_fmac_f32_e32 v88, 0x32a5705f, v63
	s_delay_alu instid0(VALU_DEP_2) | instskip(SKIP_3) | instid1(VALU_DEP_2)
	v_sub_f32_e32 v66, v66, v89
	s_waitcnt_depctr 0xfff
	v_ldexp_f32 v1, v1, v83
	v_add_f32_e32 v66, v66, v88
	v_cndmask_b32_e64 v1, 0, v1, s0
	s_delay_alu instid0(VALU_DEP_2) | instskip(SKIP_1) | instid1(VALU_DEP_2)
	v_exp_f32_e32 v0, v66
	v_cvt_i32_f32_e32 v66, v89
	v_cndmask_b32_e64 v1, 0x7f800000, v1, s1
	s_waitcnt_depctr 0xfff
	v_ldexp_f32 v0, v0, v66
	v_cndmask_b32_e32 v66, 0, v1, vcc_lo
	s_delay_alu instid0(VALU_DEP_2) | instskip(SKIP_1) | instid1(VALU_DEP_2)
	v_cndmask_b32_e64 v0, 0, v0, s4
	v_cmp_ngt_f32_e64 s4, 0xc2ce8ed0, v72
	v_cndmask_b32_e64 v0, 0x7f800000, v0, s5
	v_cmp_nlt_f32_e64 s5, 0x42b17218, v72
	s_delay_alu instid0(VALU_DEP_2) | instskip(SKIP_1) | instid1(VALU_DEP_2)
	v_cndmask_b32_e32 v63, 0, v0, vcc_lo
	v_cvt_f16_f32_e32 v0, v66
	v_cvt_f16_f32_e32 v1, v63
	s_delay_alu instid0(VALU_DEP_1) | instskip(SKIP_1) | instid1(VALU_DEP_1)
	v_pack_b32_f16 v1, v0, v1
	v_sub_f32_e32 v0, v95, v9
	v_mul_f32_e32 v83, 0x3fb8aa3b, v0
	v_cmp_ngt_f32_e64 s0, 0xc2ce8ed0, v0
	v_cmp_nlt_f32_e64 s1, 0x42b17218, v0
	s_delay_alu instid0(VALU_DEP_3) | instskip(SKIP_1) | instid1(VALU_DEP_1)
	v_fma_f32 v88, 0x3fb8aa3b, v0, -v83
	v_rndne_f32_e32 v89, v83
	v_dual_fmac_f32 v88, 0x32a5705f, v0 :: v_dual_sub_f32 v83, v83, v89
	v_cvt_i32_f32_e32 v89, v89
	s_delay_alu instid0(VALU_DEP_2) | instskip(SKIP_1) | instid1(VALU_DEP_2)
	v_add_f32_e32 v83, v83, v88
	v_mul_f32_e32 v88, 0x3fb8aa3b, v72
	v_exp_f32_e32 v83, v83
	s_delay_alu instid0(VALU_DEP_1) | instskip(SKIP_1) | instid1(VALU_DEP_2)
	v_fma_f32 v90, 0x3fb8aa3b, v72, -v88
	v_rndne_f32_e32 v91, v88
	v_fmac_f32_e32 v90, 0x32a5705f, v72
	s_delay_alu instid0(VALU_DEP_2)
	v_sub_f32_e32 v88, v88, v91
	s_waitcnt_depctr 0xfff
	v_ldexp_f32 v83, v83, v89
	v_lshl_add_u32 v89, v21, 1, v23
	v_dual_add_f32 v88, v88, v90 :: v_dual_mul_f32 v23, 0x3fb8aa3b, v85
	v_add_f32_e32 v5, v5, v62
	s_delay_alu instid0(VALU_DEP_4) | instskip(SKIP_1) | instid1(VALU_DEP_3)
	v_cndmask_b32_e64 v72, 0, v83, s0
	s_mul_i32 s0, s16, s17
	v_exp_f32_e32 v0, v88
	v_cvt_i32_f32_e32 v88, v91
	v_mov_b32_e32 v91, 0
	v_cndmask_b32_e64 v72, 0x7f800000, v72, s1
	s_mul_hi_i32 s1, s16, s17
	v_add_nc_u32_e32 v95, 16, v89
	s_lshl_b64 s[0:1], s[0:1], 2
	ds_store_b32 v75, v91 offset:37888
	v_dual_cndmask_b32 v83, 0, v72 :: v_dual_mul_f32 v86, 0x3fb8aa3b, v97
	v_ldexp_f32 v0, v0, v88
	s_delay_alu instid0(VALU_DEP_1) | instskip(SKIP_1) | instid1(VALU_DEP_1)
	v_cndmask_b32_e64 v0, 0, v0, s4
	s_add_u32 s4, s20, s0
	v_cndmask_b32_e64 v0, 0x7f800000, v0, s5
	s_addc_u32 s5, s21, s1
	s_delay_alu instid0(VALU_DEP_1) | instskip(SKIP_3) | instid1(VALU_DEP_4)
	v_cndmask_b32_e32 v72, 0, v0, vcc_lo
	v_cvt_f16_f32_e32 v0, v83
	v_cmp_gt_i32_e32 vcc_lo, s27, v89
	v_add_nc_u32_e32 v90, 0x9400, v75
	v_cvt_f16_f32_e32 v88, v72
	s_delay_alu instid0(VALU_DEP_1)
	v_pack_b32_f16 v0, v0, v88
	v_lshlrev_b32_e32 v88, 2, v22
	ds_store_b128 v69, v[0:3]
	v_mul_lo_u32 v2, s17, v89
	ds_store_2addr_b32 v92, v91, v91 offset1:1
	ds_store_b32 v75, v91 offset:37900
	v_lshl_or_b32 v93, v89, 8, v88
	v_fma_f32 v69, 0x3fb8aa3b, v85, -v23
	v_lshl_or_b32 v94, v95, 8, v88
	v_ashrrev_i32_e32 v3, 31, v2
	s_delay_alu instid0(VALU_DEP_3) | instskip(NEXT) | instid1(VALU_DEP_2)
	v_fmac_f32_e32 v69, 0x32a5705f, v85
	v_lshlrev_b64 v[0:1], 2, v[2:3]
	v_lshl_add_u32 v2, s17, 4, v2
	s_delay_alu instid0(VALU_DEP_2) | instskip(NEXT) | instid1(VALU_DEP_1)
	v_add_co_u32 v3, s0, s4, v0
	v_add_co_ci_u32_e64 v21, s0, s5, v1, s0
	s_delay_alu instid0(VALU_DEP_2) | instskip(NEXT) | instid1(VALU_DEP_1)
	v_add_co_u32 v3, s1, v3, v88
	v_add_co_ci_u32_e64 v21, s0, 0, v21, s1
	s_delay_alu instid0(VALU_DEP_1) | instskip(NEXT) | instid1(VALU_DEP_3)
	v_cndmask_b32_e32 v22, s19, v21, vcc_lo
	v_cndmask_b32_e32 v21, v90, v3, vcc_lo
	v_ashrrev_i32_e32 v3, 31, v2
	v_cmp_gt_i32_e32 vcc_lo, s27, v95
	flat_load_b128 v[102:105], v[21:22]
	v_lshlrev_b64 v[2:3], 2, v[2:3]
	s_delay_alu instid0(VALU_DEP_1) | instskip(NEXT) | instid1(VALU_DEP_1)
	v_add_co_u32 v21, s0, s4, v2
	v_add_co_ci_u32_e64 v22, s0, s5, v3, s0
	v_cmp_nlt_f32_e64 s4, 0x42b17218, v85
	s_delay_alu instid0(VALU_DEP_3) | instskip(NEXT) | instid1(VALU_DEP_1)
	v_add_co_u32 v21, s1, v21, v88
	v_add_co_ci_u32_e64 v22, s0, 0, v22, s1
	v_cmp_nlt_f32_e64 s0, 0x42b17218, v84
	s_delay_alu instid0(VALU_DEP_3) | instskip(SKIP_1) | instid1(VALU_DEP_4)
	v_cndmask_b32_e32 v21, v90, v21, vcc_lo
	v_cmp_ngt_f32_e64 s1, 0xc2ce8ed0, v85
	v_cndmask_b32_e32 v22, s19, v22, vcc_lo
	v_cmp_ngt_f32_e32 vcc_lo, 0xc2ce8ed0, v84
	v_cmp_ngt_f32_e64 s5, 0xc2ce8ed0, v87
	s_waitcnt vmcnt(0) lgkmcnt(0)
	ds_store_b128 v93, v[102:105] offset:16384
	ds_store_b32 v75, v91 offset:37888
	ds_store_2addr_b32 v92, v91, v91 offset1:1
	ds_store_b32 v75, v91 offset:37900
	flat_load_b128 v[102:105], v[21:22]
	v_mul_f32_e32 v21, 0x3fb8aa3b, v84
	s_delay_alu instid0(VALU_DEP_1) | instskip(NEXT) | instid1(VALU_DEP_1)
	v_fma_f32 v22, 0x3fb8aa3b, v84, -v21
	v_fmac_f32_e32 v22, 0x32a5705f, v84
	v_mul_f32_e32 v84, 0x3fb8aa3b, v87
	s_delay_alu instid0(VALU_DEP_1) | instskip(NEXT) | instid1(VALU_DEP_1)
	v_fma_f32 v85, 0x3fb8aa3b, v87, -v84
	v_fmac_f32_e32 v85, 0x32a5705f, v87
	v_fma_f32 v87, 0x3fb8aa3b, v97, -v86
	s_delay_alu instid0(VALU_DEP_1) | instskip(SKIP_1) | instid1(VALU_DEP_1)
	v_fmac_f32_e32 v87, 0x32a5705f, v97
	v_fma_f32 v97, 0x3fb8aa3b, v98, -v96
	v_fmac_f32_e32 v97, 0x32a5705f, v98
	v_mul_f32_e32 v98, 0x3fb8aa3b, v99
	s_waitcnt vmcnt(0) lgkmcnt(0)
	ds_store_b128 v94, v[102:105] offset:16384
	v_fma_f32 v102, 0x3fb8aa3b, v99, -v98
	s_waitcnt lgkmcnt(0)
	s_barrier
	buffer_gl0_inv
	v_fmac_f32_e32 v102, 0x32a5705f, v99
	v_mul_f32_e32 v99, 0x3fb8aa3b, v100
	s_delay_alu instid0(VALU_DEP_1) | instskip(NEXT) | instid1(VALU_DEP_1)
	v_fma_f32 v103, 0x3fb8aa3b, v100, -v99
	v_fmac_f32_e32 v103, 0x32a5705f, v100
	v_rndne_f32_e32 v100, v21
	s_delay_alu instid0(VALU_DEP_1) | instskip(SKIP_1) | instid1(VALU_DEP_2)
	v_sub_f32_e32 v21, v21, v100
	v_cvt_i32_f32_e32 v100, v100
	v_add_f32_e32 v21, v21, v22
	v_rndne_f32_e32 v22, v23
	s_delay_alu instid0(VALU_DEP_2) | instskip(NEXT) | instid1(VALU_DEP_1)
	v_exp_f32_e32 v21, v21
	v_sub_f32_e32 v23, v23, v22
	v_cvt_i32_f32_e32 v22, v22
	s_delay_alu instid0(VALU_DEP_2)
	v_add_f32_e32 v23, v23, v69
	v_rndne_f32_e32 v69, v84
	s_waitcnt_depctr 0xfff
	v_ldexp_f32 v21, v21, v100
	v_exp_f32_e32 v23, v23
	v_sub_f32_e32 v84, v84, v69
	v_cvt_i32_f32_e32 v69, v69
	s_delay_alu instid0(VALU_DEP_3) | instskip(SKIP_1) | instid1(VALU_DEP_4)
	v_cndmask_b32_e32 v21, 0, v21, vcc_lo
	v_cmp_ngt_f32_e32 vcc_lo, 0xc2ce8ed0, v101
	v_add_f32_e32 v84, v84, v85
	v_rndne_f32_e32 v85, v86
	s_delay_alu instid0(VALU_DEP_4) | instskip(NEXT) | instid1(TRANS32_DEP_1)
	v_cndmask_b32_e64 v21, 0x7f800000, v21, s0
	v_ldexp_f32 v22, v23, v22
	s_delay_alu instid0(VALU_DEP_4) | instskip(NEXT) | instid1(VALU_DEP_3)
	v_exp_f32_e32 v23, v84
	v_sub_f32_e32 v86, v86, v85
	v_cvt_i32_f32_e32 v84, v85
	v_cmp_nlt_f32_e64 s0, 0x42b17218, v101
	v_cndmask_b32_e64 v22, 0, v22, s1
	s_delay_alu instid0(VALU_DEP_4) | instskip(SKIP_1) | instid1(VALU_DEP_3)
	v_add_f32_e32 v86, v86, v87
	v_rndne_f32_e32 v87, v96
	v_cndmask_b32_e64 v22, 0x7f800000, v22, s4
	s_delay_alu instid0(TRANS32_DEP_1) | instskip(NEXT) | instid1(VALU_DEP_4)
	v_ldexp_f32 v23, v23, v69
	v_exp_f32_e32 v69, v86
	s_delay_alu instid0(VALU_DEP_3) | instskip(SKIP_1) | instid1(VALU_DEP_3)
	v_sub_f32_e32 v96, v96, v87
	v_cvt_i32_f32_e32 v85, v87
	v_cndmask_b32_e64 v23, 0, v23, s5
	s_delay_alu instid0(VALU_DEP_3) | instskip(SKIP_1) | instid1(VALU_DEP_3)
	v_add_f32_e32 v96, v96, v97
	v_rndne_f32_e32 v97, v98
	v_cndmask_b32_e64 v23, 0x7f800000, v23, s6
	s_delay_alu instid0(TRANS32_DEP_1) | instskip(NEXT) | instid1(VALU_DEP_4)
	v_ldexp_f32 v69, v69, v84
	v_exp_f32_e32 v84, v96
	s_delay_alu instid0(VALU_DEP_3) | instskip(SKIP_1) | instid1(VALU_DEP_3)
	v_sub_f32_e32 v98, v98, v97
	v_cvt_i32_f32_e32 v86, v97
	v_cndmask_b32_e64 v69, 0, v69, s7
	s_delay_alu instid0(VALU_DEP_3) | instskip(SKIP_1) | instid1(VALU_DEP_3)
	v_add_f32_e32 v98, v98, v102
	v_rndne_f32_e32 v102, v99
	v_cndmask_b32_e64 v69, 0x7f800000, v69, s8
	s_delay_alu instid0(TRANS32_DEP_1) | instskip(NEXT) | instid1(VALU_DEP_4)
	v_ldexp_f32 v84, v84, v85
	v_exp_f32_e32 v85, v98
	s_delay_alu instid0(VALU_DEP_3) | instskip(SKIP_1) | instid1(VALU_DEP_2)
	v_sub_f32_e32 v99, v99, v102
	v_cvt_i32_f32_e32 v87, v102
	v_add_f32_e32 v99, v99, v103
	s_waitcnt_depctr 0xfff
	v_ldexp_f32 v85, v85, v86
	v_exp_f32_e32 v86, v99
	s_waitcnt_depctr 0xfff
	v_ldexp_f32 v86, v86, v87
	v_cvt_f16_f32_e32 v87, v21
	s_delay_alu instid0(VALU_DEP_1) | instskip(SKIP_2) | instid1(VALU_DEP_1)
	v_pk_mul_f16 v57, v87, v57 op_sel_hi:[0,1]
	v_pk_mul_f16 v58, v87, v58 op_sel_hi:[0,1]
	v_cvt_f16_f32_e32 v87, v22
	v_pk_mul_f16 v55, v87, v55 op_sel_hi:[0,1]
	v_pk_mul_f16 v56, v87, v56 op_sel_hi:[0,1]
	v_cvt_f16_f32_e32 v87, v23
	s_delay_alu instid0(VALU_DEP_1) | instskip(SKIP_2) | instid1(VALU_DEP_1)
	v_pk_mul_f16 v53, v87, v53 op_sel_hi:[0,1]
	v_pk_mul_f16 v54, v87, v54 op_sel_hi:[0,1]
	v_cvt_f16_f32_e32 v87, v69
	v_pk_mul_f16 v96, v87, v51 op_sel_hi:[0,1]
	v_cndmask_b32_e64 v51, 0, v84, s9
	v_pk_mul_f16 v52, v87, v52 op_sel_hi:[0,1]
	s_delay_alu instid0(VALU_DEP_2) | instskip(NEXT) | instid1(VALU_DEP_1)
	v_cndmask_b32_e64 v84, 0x7f800000, v51, s10
	v_cvt_f16_f32_e32 v51, v84
	v_fmac_f32_e32 v5, v70, v84
	s_delay_alu instid0(VALU_DEP_2) | instskip(SKIP_2) | instid1(VALU_DEP_4)
	v_pk_mul_f16 v98, v51, v49 op_sel_hi:[0,1]
	v_cndmask_b32_e64 v49, 0, v85, s11
	v_pk_mul_f16 v97, v51, v50 op_sel_hi:[0,1]
	v_mov_b32_e32 v70, v5
	s_delay_alu instid0(VALU_DEP_3) | instskip(NEXT) | instid1(VALU_DEP_1)
	v_cndmask_b32_e64 v85, 0x7f800000, v49, s12
	v_cvt_f16_f32_e32 v49, v85
	s_delay_alu instid0(VALU_DEP_1) | instskip(SKIP_2) | instid1(VALU_DEP_2)
	v_pk_mul_f16 v99, v49, v47 op_sel_hi:[0,1]
	v_mul_f32_e32 v47, 0x3fb8aa3b, v101
	v_pk_mul_f16 v100, v49, v48 op_sel_hi:[0,1]
	v_fma_f32 v48, 0x3fb8aa3b, v101, -v47
	v_rndne_f32_e32 v49, v47
	s_delay_alu instid0(VALU_DEP_2) | instskip(NEXT) | instid1(VALU_DEP_2)
	v_fmac_f32_e32 v48, 0x32a5705f, v101
	v_sub_f32_e32 v47, v47, v49
	s_delay_alu instid0(VALU_DEP_1) | instskip(SKIP_1) | instid1(VALU_DEP_1)
	v_add_f32_e32 v47, v47, v48
	v_cndmask_b32_e64 v48, 0, v86, s13
	v_cndmask_b32_e64 v86, 0x7f800000, v48, s15
	s_delay_alu instid0(VALU_DEP_1) | instskip(NEXT) | instid1(VALU_DEP_1)
	v_cvt_f16_f32_e32 v48, v86
	v_pk_mul_f16 v102, v48, v45 op_sel_hi:[0,1]
	v_exp_f32_e32 v45, v47
	v_pk_mul_f16 v103, v48, v46 op_sel_hi:[0,1]
	v_cvt_i32_f32_e32 v46, v49
	s_waitcnt_depctr 0xfff
	v_ldexp_f32 v45, v45, v46
	s_delay_alu instid0(VALU_DEP_1) | instskip(NEXT) | instid1(VALU_DEP_1)
	v_cndmask_b32_e32 v45, 0, v45, vcc_lo
	v_cndmask_b32_e64 v87, 0x7f800000, v45, s0
	s_or_b32 s0, s16, 32
	s_delay_alu instid0(SALU_CYCLE_1) | instskip(SKIP_1) | instid1(VALU_DEP_1)
	s_mul_hi_i32 s1, s0, s17
	s_mul_i32 s0, s0, s17
	v_cvt_f16_f32_e32 v45, v87
	s_lshl_b64 s[0:1], s[0:1], 2
	s_delay_alu instid0(SALU_CYCLE_1) | instskip(SKIP_1) | instid1(VALU_DEP_1)
	s_add_u32 s4, s20, s0
	s_addc_u32 s1, s21, s1
	v_pk_mul_f16 v104, v45, v43 op_sel_hi:[0,1]
	v_add_nc_u32_e32 v43, 0x4000, v20
	v_pk_mul_f16 v101, v45, v44 op_sel_hi:[0,1]
	ds_load_2addr_b64 v[44:47], v43 offset1:32
	ds_load_b128 v[48:51], v59 offset:25600
	v_add_co_u32 v0, vcc_lo, s4, v0
	v_add_co_ci_u32_e32 v1, vcc_lo, s1, v1, vcc_lo
	s_sub_i32 s5, s27, 32
	s_delay_alu instid0(VALU_DEP_2) | instskip(SKIP_1) | instid1(VALU_DEP_3)
	v_add_co_u32 v0, s0, v0, v88
	v_cmp_gt_i32_e32 vcc_lo, s5, v89
	v_add_co_ci_u32_e64 v1, s0, 0, v1, s0
	s_delay_alu instid0(VALU_DEP_3) | instskip(NEXT) | instid1(VALU_DEP_2)
	v_cndmask_b32_e32 v0, v90, v0, vcc_lo
	v_cndmask_b32_e32 v1, s19, v1, vcc_lo
	s_waitcnt lgkmcnt(0)
	v_pk_fma_f16 v57, v44, v48, v57 op_sel_hi:[1,0,1]
	v_pk_fma_f16 v55, v44, v48, v55 op_sel:[0,1,0]
	v_pk_fma_f16 v53, v44, v49, v53 op_sel_hi:[1,0,1]
	v_pk_fma_f16 v96, v44, v49, v96 op_sel:[0,1,0]
	;; [unrolled: 2-line block ×8, first 2 shown]
	ds_load_b128 v[48:51], v59 offset:25616
	s_waitcnt lgkmcnt(0)
	v_pk_fma_f16 v57, v46, v48, v57 op_sel_hi:[1,0,1]
	v_pk_fma_f16 v55, v46, v48, v55 op_sel:[0,1,0]
	v_pk_fma_f16 v53, v46, v49, v53 op_sel_hi:[1,0,1]
	v_pk_fma_f16 v96, v46, v49, v96 op_sel:[0,1,0]
	;; [unrolled: 2-line block ×8, first 2 shown]
	ds_load_b128 v[44:47], v59 offset:25632
	ds_load_2addr_b64 v[48:51], v43 offset0:64 offset1:96
	s_waitcnt lgkmcnt(0)
	v_pk_fma_f16 v57, v48, v44, v57 op_sel_hi:[1,0,1]
	v_pk_fma_f16 v55, v48, v44, v55 op_sel:[0,1,0]
	v_pk_fma_f16 v53, v48, v45, v53 op_sel_hi:[1,0,1]
	v_pk_fma_f16 v96, v48, v45, v96 op_sel:[0,1,0]
	;; [unrolled: 2-line block ×8, first 2 shown]
	ds_load_b128 v[44:47], v59 offset:25648
	s_waitcnt lgkmcnt(0)
	v_pk_fma_f16 v57, v50, v44, v57 op_sel_hi:[1,0,1]
	v_pk_fma_f16 v55, v50, v44, v55 op_sel:[0,1,0]
	v_pk_fma_f16 v53, v50, v45, v53 op_sel_hi:[1,0,1]
	v_pk_fma_f16 v96, v50, v45, v96 op_sel:[0,1,0]
	;; [unrolled: 2-line block ×8, first 2 shown]
	ds_load_2addr_b64 v[44:47], v43 offset0:128 offset1:160
	ds_load_b128 v[48:51], v59 offset:25664
	s_waitcnt lgkmcnt(0)
	v_pk_fma_f16 v57, v44, v48, v57 op_sel_hi:[1,0,1]
	v_pk_fma_f16 v55, v44, v48, v55 op_sel:[0,1,0]
	v_pk_fma_f16 v53, v44, v49, v53 op_sel_hi:[1,0,1]
	v_pk_fma_f16 v96, v44, v49, v96 op_sel:[0,1,0]
	;; [unrolled: 2-line block ×8, first 2 shown]
	ds_load_b128 v[48:51], v59 offset:25680
	s_waitcnt lgkmcnt(0)
	v_pk_fma_f16 v57, v46, v48, v57 op_sel_hi:[1,0,1]
	v_pk_fma_f16 v55, v46, v48, v55 op_sel:[0,1,0]
	v_pk_fma_f16 v53, v46, v49, v53 op_sel_hi:[1,0,1]
	v_pk_fma_f16 v96, v46, v49, v96 op_sel:[0,1,0]
	;; [unrolled: 2-line block ×8, first 2 shown]
	ds_load_2addr_b64 v[44:47], v43 offset0:192 offset1:224
	ds_load_b128 v[48:51], v59 offset:25696
	s_waitcnt lgkmcnt(0)
	v_pk_fma_f16 v57, v44, v48, v57 op_sel_hi:[1,0,1]
	v_pk_fma_f16 v55, v44, v48, v55 op_sel:[0,1,0]
	v_pk_fma_f16 v53, v44, v49, v53 op_sel_hi:[1,0,1]
	v_pk_fma_f16 v96, v44, v49, v96 op_sel:[0,1,0]
	;; [unrolled: 2-line block ×8, first 2 shown]
	ds_load_b128 v[48:51], v59 offset:25712
	s_waitcnt lgkmcnt(0)
	v_pk_fma_f16 v103, v46, v51, v44 op_sel:[0,1,0]
	v_add_nc_u32_e32 v44, 0x4800, v20
	v_pk_fma_f16 v57, v46, v48, v57 op_sel_hi:[1,0,1]
	v_pk_fma_f16 v55, v46, v48, v55 op_sel:[0,1,0]
	v_pk_fma_f16 v53, v46, v49, v53 op_sel_hi:[1,0,1]
	v_pk_fma_f16 v96, v46, v49, v96 op_sel:[0,1,0]
	;; [unrolled: 2-line block ×3, first 2 shown]
	v_pk_fma_f16 v102, v46, v51, v102 op_sel_hi:[1,0,1]
	v_pk_fma_f16 v58, v47, v48, v58 op_sel_hi:[1,0,1]
	v_pk_fma_f16 v56, v47, v48, v56 op_sel:[0,1,0]
	v_pk_fma_f16 v54, v47, v49, v54 op_sel_hi:[1,0,1]
	v_pk_fma_f16 v104, v47, v49, v52 op_sel:[0,1,0]
	;; [unrolled: 2-line block ×4, first 2 shown]
	ds_load_2addr_b64 v[45:48], v44 offset1:32
	ds_load_b128 v[49:52], v59 offset:25728
	s_waitcnt lgkmcnt(0)
	v_pk_fma_f16 v57, v45, v49, v57 op_sel_hi:[1,0,1]
	v_pk_fma_f16 v55, v45, v49, v55 op_sel:[0,1,0]
	v_pk_fma_f16 v53, v45, v50, v53 op_sel_hi:[1,0,1]
	v_pk_fma_f16 v96, v45, v50, v96 op_sel:[0,1,0]
	v_pk_fma_f16 v97, v45, v51, v97 op_sel_hi:[1,0,1]
	v_pk_fma_f16 v99, v45, v51, v99 op_sel:[0,1,0]
	v_pk_fma_f16 v102, v45, v52, v102 op_sel_hi:[1,0,1]
	v_pk_fma_f16 v45, v45, v52, v103 op_sel:[0,1,0]
	v_pk_fma_f16 v58, v46, v49, v58 op_sel_hi:[1,0,1]
	v_pk_fma_f16 v56, v46, v49, v56 op_sel:[0,1,0]
	v_pk_fma_f16 v54, v46, v50, v54 op_sel_hi:[1,0,1]
	v_pk_fma_f16 v103, v46, v50, v104 op_sel:[0,1,0]
	v_pk_fma_f16 v98, v46, v51, v98 op_sel_hi:[1,0,1]
	v_pk_fma_f16 v100, v46, v51, v100 op_sel:[0,1,0]
	v_pk_fma_f16 v101, v46, v52, v101 op_sel_hi:[1,0,1]
	v_pk_fma_f16 v46, v46, v52, v105 op_sel:[0,1,0]
	ds_load_b128 v[49:52], v59 offset:25744
	s_waitcnt lgkmcnt(0)
	v_pk_fma_f16 v57, v47, v49, v57 op_sel_hi:[1,0,1]
	v_pk_fma_f16 v55, v47, v49, v55 op_sel:[0,1,0]
	v_pk_fma_f16 v53, v47, v50, v53 op_sel_hi:[1,0,1]
	v_pk_fma_f16 v96, v47, v50, v96 op_sel:[0,1,0]
	v_pk_fma_f16 v97, v47, v51, v97 op_sel_hi:[1,0,1]
	v_pk_fma_f16 v99, v47, v51, v99 op_sel:[0,1,0]
	v_pk_fma_f16 v102, v47, v52, v102 op_sel_hi:[1,0,1]
	v_pk_fma_f16 v104, v47, v52, v45 op_sel:[0,1,0]
	v_pk_fma_f16 v58, v48, v49, v58 op_sel_hi:[1,0,1]
	v_pk_fma_f16 v56, v48, v49, v56 op_sel:[0,1,0]
	v_pk_fma_f16 v54, v48, v50, v54 op_sel_hi:[1,0,1]
	v_pk_fma_f16 v103, v48, v50, v103 op_sel:[0,1,0]
	v_pk_fma_f16 v98, v48, v51, v98 op_sel_hi:[1,0,1]
	v_pk_fma_f16 v100, v48, v51, v100 op_sel:[0,1,0]
	v_pk_fma_f16 v101, v48, v52, v101 op_sel_hi:[1,0,1]
	v_pk_fma_f16 v105, v48, v52, v46 op_sel:[0,1,0]
	ds_load_2addr_b64 v[45:48], v44 offset0:64 offset1:96
	ds_load_b128 v[49:52], v59 offset:25760
	s_waitcnt lgkmcnt(0)
	v_pk_fma_f16 v57, v45, v49, v57 op_sel_hi:[1,0,1]
	v_pk_fma_f16 v55, v45, v49, v55 op_sel:[0,1,0]
	v_pk_fma_f16 v53, v45, v50, v53 op_sel_hi:[1,0,1]
	v_pk_fma_f16 v96, v45, v50, v96 op_sel:[0,1,0]
	v_pk_fma_f16 v97, v45, v51, v97 op_sel_hi:[1,0,1]
	v_pk_fma_f16 v99, v45, v51, v99 op_sel:[0,1,0]
	v_pk_fma_f16 v102, v45, v52, v102 op_sel_hi:[1,0,1]
	v_pk_fma_f16 v45, v45, v52, v104 op_sel:[0,1,0]
	v_pk_fma_f16 v58, v46, v49, v58 op_sel_hi:[1,0,1]
	v_pk_fma_f16 v56, v46, v49, v56 op_sel:[0,1,0]
	v_pk_fma_f16 v54, v46, v50, v54 op_sel_hi:[1,0,1]
	v_pk_fma_f16 v103, v46, v50, v103 op_sel:[0,1,0]
	v_pk_fma_f16 v98, v46, v51, v98 op_sel_hi:[1,0,1]
	v_pk_fma_f16 v100, v46, v51, v100 op_sel:[0,1,0]
	v_pk_fma_f16 v101, v46, v52, v101 op_sel_hi:[1,0,1]
	v_pk_fma_f16 v46, v46, v52, v105 op_sel:[0,1,0]
	ds_load_b128 v[49:52], v59 offset:25776
	s_waitcnt lgkmcnt(0)
	v_pk_fma_f16 v57, v47, v49, v57 op_sel_hi:[1,0,1]
	v_pk_fma_f16 v55, v47, v49, v55 op_sel:[0,1,0]
	v_pk_fma_f16 v53, v47, v50, v53 op_sel_hi:[1,0,1]
	v_pk_fma_f16 v96, v47, v50, v96 op_sel:[0,1,0]
	v_pk_fma_f16 v97, v47, v51, v97 op_sel_hi:[1,0,1]
	v_pk_fma_f16 v99, v47, v51, v99 op_sel:[0,1,0]
	v_pk_fma_f16 v102, v47, v52, v102 op_sel_hi:[1,0,1]
	v_pk_fma_f16 v104, v47, v52, v45 op_sel:[0,1,0]
	v_pk_fma_f16 v58, v48, v49, v58 op_sel_hi:[1,0,1]
	v_pk_fma_f16 v56, v48, v49, v56 op_sel:[0,1,0]
	v_pk_fma_f16 v54, v48, v50, v54 op_sel_hi:[1,0,1]
	v_pk_fma_f16 v103, v48, v50, v103 op_sel:[0,1,0]
	v_pk_fma_f16 v98, v48, v51, v98 op_sel_hi:[1,0,1]
	v_pk_fma_f16 v100, v48, v51, v100 op_sel:[0,1,0]
	v_pk_fma_f16 v101, v48, v52, v101 op_sel_hi:[1,0,1]
	v_pk_fma_f16 v105, v48, v52, v46 op_sel:[0,1,0]
	ds_load_2addr_b64 v[45:48], v44 offset0:128 offset1:160
	;; [unrolled: 37-line block ×3, first 2 shown]
	ds_load_b128 v[49:52], v59 offset:25824
	s_waitcnt lgkmcnt(0)
	v_pk_fma_f16 v57, v45, v49, v57 op_sel_hi:[1,0,1]
	v_pk_fma_f16 v55, v45, v49, v55 op_sel:[0,1,0]
	v_pk_fma_f16 v53, v45, v50, v53 op_sel_hi:[1,0,1]
	v_pk_fma_f16 v96, v45, v50, v96 op_sel:[0,1,0]
	;; [unrolled: 2-line block ×8, first 2 shown]
	ds_load_b128 v[49:52], v59 offset:25840
	s_waitcnt lgkmcnt(0)
	v_pk_fma_f16 v105, v47, v52, v45 op_sel:[0,1,0]
	v_add_nc_u32_e32 v45, 0x5000, v20
	v_pk_fma_f16 v57, v47, v49, v57 op_sel_hi:[1,0,1]
	v_pk_fma_f16 v55, v47, v49, v55 op_sel:[0,1,0]
	v_pk_fma_f16 v104, v47, v50, v53 op_sel_hi:[1,0,1]
	v_pk_fma_f16 v96, v47, v50, v96 op_sel:[0,1,0]
	;; [unrolled: 2-line block ×3, first 2 shown]
	v_pk_fma_f16 v102, v47, v52, v102 op_sel_hi:[1,0,1]
	v_pk_fma_f16 v58, v48, v49, v58 op_sel_hi:[1,0,1]
	v_pk_fma_f16 v56, v48, v49, v56 op_sel:[0,1,0]
	v_pk_fma_f16 v54, v48, v50, v54 op_sel_hi:[1,0,1]
	v_pk_fma_f16 v103, v48, v50, v103 op_sel:[0,1,0]
	;; [unrolled: 2-line block ×4, first 2 shown]
	ds_load_2addr_b64 v[46:49], v45 offset1:32
	ds_load_b128 v[50:53], v59 offset:25856
	v_add_nc_u32_e32 v20, 0x5800, v20
	s_waitcnt lgkmcnt(0)
	v_pk_fma_f16 v57, v46, v50, v57 op_sel_hi:[1,0,1]
	v_pk_fma_f16 v55, v46, v50, v55 op_sel:[0,1,0]
	v_pk_fma_f16 v104, v46, v51, v104 op_sel_hi:[1,0,1]
	v_pk_fma_f16 v96, v46, v51, v96 op_sel:[0,1,0]
	v_pk_fma_f16 v97, v46, v52, v97 op_sel_hi:[1,0,1]
	v_pk_fma_f16 v99, v46, v52, v99 op_sel:[0,1,0]
	v_pk_fma_f16 v102, v46, v53, v102 op_sel_hi:[1,0,1]
	v_pk_fma_f16 v46, v46, v53, v105 op_sel:[0,1,0]
	v_pk_fma_f16 v58, v47, v50, v58 op_sel_hi:[1,0,1]
	v_pk_fma_f16 v56, v47, v50, v56 op_sel:[0,1,0]
	v_pk_fma_f16 v54, v47, v51, v54 op_sel_hi:[1,0,1]
	v_pk_fma_f16 v103, v47, v51, v103 op_sel:[0,1,0]
	v_pk_fma_f16 v98, v47, v52, v98 op_sel_hi:[1,0,1]
	v_pk_fma_f16 v100, v47, v52, v100 op_sel:[0,1,0]
	v_pk_fma_f16 v101, v47, v53, v101 op_sel_hi:[1,0,1]
	v_pk_fma_f16 v47, v47, v53, v106 op_sel:[0,1,0]
	ds_load_b128 v[50:53], v59 offset:25872
	s_waitcnt lgkmcnt(0)
	v_pk_fma_f16 v57, v48, v50, v57 op_sel_hi:[1,0,1]
	v_pk_fma_f16 v55, v48, v50, v55 op_sel:[0,1,0]
	v_pk_fma_f16 v104, v48, v51, v104 op_sel_hi:[1,0,1]
	v_pk_fma_f16 v96, v48, v51, v96 op_sel:[0,1,0]
	v_pk_fma_f16 v97, v48, v52, v97 op_sel_hi:[1,0,1]
	v_pk_fma_f16 v99, v48, v52, v99 op_sel:[0,1,0]
	v_pk_fma_f16 v102, v48, v53, v102 op_sel_hi:[1,0,1]
	v_pk_fma_f16 v105, v48, v53, v46 op_sel:[0,1,0]
	v_pk_fma_f16 v58, v49, v50, v58 op_sel_hi:[1,0,1]
	v_pk_fma_f16 v56, v49, v50, v56 op_sel:[0,1,0]
	v_pk_fma_f16 v54, v49, v51, v54 op_sel_hi:[1,0,1]
	v_pk_fma_f16 v103, v49, v51, v103 op_sel:[0,1,0]
	v_pk_fma_f16 v98, v49, v52, v98 op_sel_hi:[1,0,1]
	v_pk_fma_f16 v100, v49, v52, v100 op_sel:[0,1,0]
	v_pk_fma_f16 v101, v49, v53, v101 op_sel_hi:[1,0,1]
	v_pk_fma_f16 v106, v49, v53, v47 op_sel:[0,1,0]
	ds_load_2addr_b64 v[46:49], v45 offset0:64 offset1:96
	ds_load_b128 v[50:53], v59 offset:25888
	s_waitcnt lgkmcnt(0)
	v_pk_fma_f16 v57, v46, v50, v57 op_sel_hi:[1,0,1]
	v_pk_fma_f16 v55, v46, v50, v55 op_sel:[0,1,0]
	v_pk_fma_f16 v104, v46, v51, v104 op_sel_hi:[1,0,1]
	v_pk_fma_f16 v96, v46, v51, v96 op_sel:[0,1,0]
	v_pk_fma_f16 v97, v46, v52, v97 op_sel_hi:[1,0,1]
	v_pk_fma_f16 v99, v46, v52, v99 op_sel:[0,1,0]
	v_pk_fma_f16 v102, v46, v53, v102 op_sel_hi:[1,0,1]
	v_pk_fma_f16 v46, v46, v53, v105 op_sel:[0,1,0]
	v_pk_fma_f16 v58, v47, v50, v58 op_sel_hi:[1,0,1]
	v_pk_fma_f16 v56, v47, v50, v56 op_sel:[0,1,0]
	v_pk_fma_f16 v54, v47, v51, v54 op_sel_hi:[1,0,1]
	v_pk_fma_f16 v103, v47, v51, v103 op_sel:[0,1,0]
	v_pk_fma_f16 v98, v47, v52, v98 op_sel_hi:[1,0,1]
	v_pk_fma_f16 v100, v47, v52, v100 op_sel:[0,1,0]
	v_pk_fma_f16 v101, v47, v53, v101 op_sel_hi:[1,0,1]
	v_pk_fma_f16 v47, v47, v53, v106 op_sel:[0,1,0]
	ds_load_b128 v[50:53], v59 offset:25904
	s_waitcnt lgkmcnt(0)
	v_pk_fma_f16 v57, v48, v50, v57 op_sel_hi:[1,0,1]
	v_pk_fma_f16 v55, v48, v50, v55 op_sel:[0,1,0]
	v_pk_fma_f16 v104, v48, v51, v104 op_sel_hi:[1,0,1]
	v_pk_fma_f16 v96, v48, v51, v96 op_sel:[0,1,0]
	v_pk_fma_f16 v97, v48, v52, v97 op_sel_hi:[1,0,1]
	v_pk_fma_f16 v99, v48, v52, v99 op_sel:[0,1,0]
	v_pk_fma_f16 v102, v48, v53, v102 op_sel_hi:[1,0,1]
	v_pk_fma_f16 v105, v48, v53, v46 op_sel:[0,1,0]
	v_pk_fma_f16 v58, v49, v50, v58 op_sel_hi:[1,0,1]
	v_pk_fma_f16 v56, v49, v50, v56 op_sel:[0,1,0]
	v_pk_fma_f16 v54, v49, v51, v54 op_sel_hi:[1,0,1]
	v_pk_fma_f16 v103, v49, v51, v103 op_sel:[0,1,0]
	v_pk_fma_f16 v98, v49, v52, v98 op_sel_hi:[1,0,1]
	v_pk_fma_f16 v100, v49, v52, v100 op_sel:[0,1,0]
	v_pk_fma_f16 v101, v49, v53, v101 op_sel_hi:[1,0,1]
	v_pk_fma_f16 v106, v49, v53, v47 op_sel:[0,1,0]
	ds_load_2addr_b64 v[46:49], v45 offset0:128 offset1:160
	ds_load_b128 v[50:53], v59 offset:25920
	s_waitcnt lgkmcnt(0)
	v_pk_fma_f16 v57, v46, v50, v57 op_sel_hi:[1,0,1]
	v_pk_fma_f16 v55, v46, v50, v55 op_sel:[0,1,0]
	v_pk_fma_f16 v104, v46, v51, v104 op_sel_hi:[1,0,1]
	v_pk_fma_f16 v96, v46, v51, v96 op_sel:[0,1,0]
	v_pk_fma_f16 v97, v46, v52, v97 op_sel_hi:[1,0,1]
	v_pk_fma_f16 v99, v46, v52, v99 op_sel:[0,1,0]
	v_pk_fma_f16 v102, v46, v53, v102 op_sel_hi:[1,0,1]
	v_pk_fma_f16 v46, v46, v53, v105 op_sel:[0,1,0]
	v_pk_fma_f16 v58, v47, v50, v58 op_sel_hi:[1,0,1]
	v_pk_fma_f16 v56, v47, v50, v56 op_sel:[0,1,0]
	v_pk_fma_f16 v54, v47, v51, v54 op_sel_hi:[1,0,1]
	v_pk_fma_f16 v103, v47, v51, v103 op_sel:[0,1,0]
	v_pk_fma_f16 v98, v47, v52, v98 op_sel_hi:[1,0,1]
	v_pk_fma_f16 v100, v47, v52, v100 op_sel:[0,1,0]
	v_pk_fma_f16 v101, v47, v53, v101 op_sel_hi:[1,0,1]
	v_pk_fma_f16 v47, v47, v53, v106 op_sel:[0,1,0]
	ds_load_b128 v[50:53], v59 offset:25936
	s_waitcnt lgkmcnt(0)
	v_pk_fma_f16 v57, v48, v50, v57 op_sel_hi:[1,0,1]
	v_pk_fma_f16 v55, v48, v50, v55 op_sel:[0,1,0]
	v_pk_fma_f16 v104, v48, v51, v104 op_sel_hi:[1,0,1]
	v_pk_fma_f16 v96, v48, v51, v96 op_sel:[0,1,0]
	v_pk_fma_f16 v97, v48, v52, v97 op_sel_hi:[1,0,1]
	v_pk_fma_f16 v99, v48, v52, v99 op_sel:[0,1,0]
	v_pk_fma_f16 v102, v48, v53, v102 op_sel_hi:[1,0,1]
	v_pk_fma_f16 v105, v48, v53, v46 op_sel:[0,1,0]
	v_pk_fma_f16 v58, v49, v50, v58 op_sel_hi:[1,0,1]
	v_pk_fma_f16 v56, v49, v50, v56 op_sel:[0,1,0]
	v_pk_fma_f16 v54, v49, v51, v54 op_sel_hi:[1,0,1]
	v_pk_fma_f16 v103, v49, v51, v103 op_sel:[0,1,0]
	v_pk_fma_f16 v98, v49, v52, v98 op_sel_hi:[1,0,1]
	v_pk_fma_f16 v100, v49, v52, v100 op_sel:[0,1,0]
	v_pk_fma_f16 v101, v49, v53, v101 op_sel_hi:[1,0,1]
	v_pk_fma_f16 v106, v49, v53, v47 op_sel:[0,1,0]
	ds_load_2addr_b64 v[46:49], v45 offset0:192 offset1:224
	ds_load_b128 v[50:53], v59 offset:25952
	s_waitcnt lgkmcnt(0)
	v_pk_fma_f16 v57, v46, v50, v57 op_sel_hi:[1,0,1]
	v_pk_fma_f16 v55, v46, v50, v55 op_sel:[0,1,0]
	v_pk_fma_f16 v104, v46, v51, v104 op_sel_hi:[1,0,1]
	v_pk_fma_f16 v96, v46, v51, v96 op_sel:[0,1,0]
	;; [unrolled: 2-line block ×8, first 2 shown]
	ds_load_b128 v[50:53], v59 offset:25968
	s_waitcnt lgkmcnt(0)
	v_pk_fma_f16 v57, v48, v50, v57 op_sel_hi:[1,0,1]
	v_pk_fma_f16 v55, v48, v50, v55 op_sel:[0,1,0]
	v_pk_fma_f16 v104, v48, v51, v104 op_sel_hi:[1,0,1]
	v_pk_fma_f16 v96, v48, v51, v96 op_sel:[0,1,0]
	;; [unrolled: 2-line block ×8, first 2 shown]
	ds_load_2addr_b64 v[46:49], v20 offset1:32
	ds_load_b128 v[50:53], v59 offset:25984
	s_waitcnt lgkmcnt(0)
	v_pk_fma_f16 v57, v46, v50, v57 op_sel_hi:[1,0,1]
	v_pk_fma_f16 v55, v46, v50, v55 op_sel:[0,1,0]
	v_pk_fma_f16 v104, v46, v51, v104 op_sel_hi:[1,0,1]
	v_pk_fma_f16 v96, v46, v51, v96 op_sel:[0,1,0]
	v_pk_fma_f16 v97, v46, v52, v97 op_sel_hi:[1,0,1]
	v_pk_fma_f16 v99, v46, v52, v99 op_sel:[0,1,0]
	v_pk_fma_f16 v102, v46, v53, v102 op_sel_hi:[1,0,1]
	v_pk_fma_f16 v46, v46, v53, v105 op_sel:[0,1,0]
	v_pk_fma_f16 v58, v47, v50, v58 op_sel_hi:[1,0,1]
	v_pk_fma_f16 v56, v47, v50, v56 op_sel:[0,1,0]
	v_pk_fma_f16 v54, v47, v51, v54 op_sel_hi:[1,0,1]
	v_pk_fma_f16 v103, v47, v51, v103 op_sel:[0,1,0]
	v_pk_fma_f16 v98, v47, v52, v98 op_sel_hi:[1,0,1]
	v_pk_fma_f16 v100, v47, v52, v100 op_sel:[0,1,0]
	v_pk_fma_f16 v101, v47, v53, v101 op_sel_hi:[1,0,1]
	v_pk_fma_f16 v47, v47, v53, v106 op_sel:[0,1,0]
	ds_load_b128 v[50:53], v59 offset:26000
	s_waitcnt lgkmcnt(0)
	v_pk_fma_f16 v57, v48, v50, v57 op_sel_hi:[1,0,1]
	v_pk_fma_f16 v55, v48, v50, v55 op_sel:[0,1,0]
	v_pk_fma_f16 v104, v48, v51, v104 op_sel_hi:[1,0,1]
	v_pk_fma_f16 v96, v48, v51, v96 op_sel:[0,1,0]
	v_pk_fma_f16 v97, v48, v52, v97 op_sel_hi:[1,0,1]
	v_pk_fma_f16 v99, v48, v52, v99 op_sel:[0,1,0]
	v_pk_fma_f16 v102, v48, v53, v102 op_sel_hi:[1,0,1]
	v_pk_fma_f16 v105, v48, v53, v46 op_sel:[0,1,0]
	v_pk_fma_f16 v58, v49, v50, v58 op_sel_hi:[1,0,1]
	v_pk_fma_f16 v56, v49, v50, v56 op_sel:[0,1,0]
	v_pk_fma_f16 v54, v49, v51, v54 op_sel_hi:[1,0,1]
	v_pk_fma_f16 v103, v49, v51, v103 op_sel:[0,1,0]
	v_pk_fma_f16 v98, v49, v52, v98 op_sel_hi:[1,0,1]
	v_pk_fma_f16 v100, v49, v52, v100 op_sel:[0,1,0]
	v_pk_fma_f16 v101, v49, v53, v101 op_sel_hi:[1,0,1]
	v_pk_fma_f16 v106, v49, v53, v47 op_sel:[0,1,0]
	ds_load_2addr_b64 v[46:49], v20 offset0:64 offset1:96
	ds_load_b128 v[50:53], v59 offset:26016
	s_waitcnt lgkmcnt(0)
	v_pk_fma_f16 v57, v46, v50, v57 op_sel_hi:[1,0,1]
	v_pk_fma_f16 v55, v46, v50, v55 op_sel:[0,1,0]
	v_pk_fma_f16 v104, v46, v51, v104 op_sel_hi:[1,0,1]
	v_pk_fma_f16 v96, v46, v51, v96 op_sel:[0,1,0]
	v_pk_fma_f16 v97, v46, v52, v97 op_sel_hi:[1,0,1]
	v_pk_fma_f16 v99, v46, v52, v99 op_sel:[0,1,0]
	v_pk_fma_f16 v102, v46, v53, v102 op_sel_hi:[1,0,1]
	v_pk_fma_f16 v46, v46, v53, v105 op_sel:[0,1,0]
	v_pk_fma_f16 v58, v47, v50, v58 op_sel_hi:[1,0,1]
	v_pk_fma_f16 v56, v47, v50, v56 op_sel:[0,1,0]
	v_pk_fma_f16 v54, v47, v51, v54 op_sel_hi:[1,0,1]
	v_pk_fma_f16 v103, v47, v51, v103 op_sel:[0,1,0]
	v_pk_fma_f16 v98, v47, v52, v98 op_sel_hi:[1,0,1]
	v_pk_fma_f16 v100, v47, v52, v100 op_sel:[0,1,0]
	v_pk_fma_f16 v101, v47, v53, v101 op_sel_hi:[1,0,1]
	v_pk_fma_f16 v47, v47, v53, v106 op_sel:[0,1,0]
	ds_load_b128 v[50:53], v59 offset:26032
	s_waitcnt lgkmcnt(0)
	v_pk_fma_f16 v57, v48, v50, v57 op_sel_hi:[1,0,1]
	v_pk_fma_f16 v55, v48, v50, v55 op_sel:[0,1,0]
	v_pk_fma_f16 v104, v48, v51, v104 op_sel_hi:[1,0,1]
	v_pk_fma_f16 v96, v48, v51, v96 op_sel:[0,1,0]
	v_pk_fma_f16 v97, v48, v52, v97 op_sel_hi:[1,0,1]
	v_pk_fma_f16 v99, v48, v52, v99 op_sel:[0,1,0]
	v_pk_fma_f16 v102, v48, v53, v102 op_sel_hi:[1,0,1]
	v_pk_fma_f16 v105, v48, v53, v46 op_sel:[0,1,0]
	v_pk_fma_f16 v58, v49, v50, v58 op_sel_hi:[1,0,1]
	v_pk_fma_f16 v56, v49, v50, v56 op_sel:[0,1,0]
	v_pk_fma_f16 v54, v49, v51, v54 op_sel_hi:[1,0,1]
	v_pk_fma_f16 v103, v49, v51, v103 op_sel:[0,1,0]
	v_pk_fma_f16 v98, v49, v52, v98 op_sel_hi:[1,0,1]
	v_pk_fma_f16 v100, v49, v52, v100 op_sel:[0,1,0]
	v_pk_fma_f16 v101, v49, v53, v101 op_sel_hi:[1,0,1]
	v_pk_fma_f16 v106, v49, v53, v47 op_sel:[0,1,0]
	ds_load_2addr_b64 v[46:49], v20 offset0:128 offset1:160
	;; [unrolled: 37-line block ×3, first 2 shown]
	ds_load_b128 v[50:53], v59 offset:26080
	s_waitcnt lgkmcnt(0)
	v_pk_fma_f16 v57, v46, v50, v57 op_sel_hi:[1,0,1]
	v_pk_fma_f16 v55, v46, v50, v55 op_sel:[0,1,0]
	v_pk_fma_f16 v104, v46, v51, v104 op_sel_hi:[1,0,1]
	v_pk_fma_f16 v96, v46, v51, v96 op_sel:[0,1,0]
	;; [unrolled: 2-line block ×8, first 2 shown]
	ds_load_b128 v[50:53], v59 offset:26096
	s_waitcnt lgkmcnt(0)
	s_barrier
	buffer_gl0_inv
	ds_store_b32 v75, v91 offset:37888
	ds_store_2addr_b32 v92, v91, v91 offset1:1
	ds_store_b32 v75, v91 offset:37900
	v_pk_fma_f16 v57, v48, v50, v57 op_sel_hi:[1,0,1]
	v_pk_fma_f16 v55, v48, v50, v55 op_sel:[0,1,0]
	v_pk_fma_f16 v104, v48, v51, v104 op_sel_hi:[1,0,1]
	v_pk_fma_f16 v96, v48, v51, v96 op_sel:[0,1,0]
	;; [unrolled: 2-line block ×8, first 2 shown]
	flat_load_b128 v[46:49], v[0:1]
	v_add_co_u32 v0, vcc_lo, s4, v2
	v_add_co_ci_u32_e32 v1, vcc_lo, s1, v3, vcc_lo
	v_cmp_gt_i32_e32 vcc_lo, s5, v95
	s_delay_alu instid0(VALU_DEP_3) | instskip(NEXT) | instid1(VALU_DEP_1)
	v_add_co_u32 v0, s0, v0, v88
	v_add_co_ci_u32_e64 v1, s0, 0, v1, s0
	s_waitcnt vmcnt(0) lgkmcnt(0)
	ds_store_b128 v93, v[46:49] offset:16384
	ds_store_2addr_b32 v92, v91, v91 offset1:1
	ds_store_b32 v75, v91 offset:37888
	ds_store_b32 v75, v91 offset:37900
	v_cndmask_b32_e32 v0, v90, v0, vcc_lo
	v_cndmask_b32_e32 v1, s19, v1, vcc_lo
	flat_load_b128 v[0:3], v[0:1]
	s_waitcnt vmcnt(0) lgkmcnt(0)
	ds_store_b128 v94, v[0:3] offset:16384
	s_waitcnt lgkmcnt(0)
	s_barrier
	buffer_gl0_inv
	ds_load_2addr_b64 v[0:3], v43 offset1:32
	ds_load_b128 v[46:49], v59 offset:26112
	s_waitcnt lgkmcnt(0)
	v_pk_fma_f16 v57, v0, v46, v57 op_sel_hi:[1,0,1]
	v_pk_fma_f16 v55, v0, v46, v55 op_sel:[0,1,0]
	v_pk_fma_f16 v75, v0, v47, v104 op_sel_hi:[1,0,1]
	v_pk_fma_f16 v88, v0, v47, v96 op_sel:[0,1,0]
	;; [unrolled: 2-line block ×8, first 2 shown]
	ds_load_b128 v[46:49], v59 offset:26128
	s_waitcnt lgkmcnt(0)
	v_pk_fma_f16 v53, v2, v46, v57 op_sel_hi:[1,0,1]
	v_pk_fma_f16 v55, v2, v46, v55 op_sel:[0,1,0]
	v_pk_fma_f16 v57, v2, v47, v75 op_sel_hi:[1,0,1]
	v_pk_fma_f16 v75, v2, v47, v88 op_sel:[0,1,0]
	;; [unrolled: 2-line block ×8, first 2 shown]
	ds_load_b128 v[0:3], v59 offset:26144
	ds_load_2addr_b64 v[46:49], v43 offset0:64 offset1:96
	s_waitcnt lgkmcnt(0)
	v_pk_fma_f16 v53, v46, v0, v53 op_sel_hi:[1,0,1]
	v_pk_fma_f16 v55, v46, v0, v55 op_sel:[0,1,0]
	v_pk_fma_f16 v57, v46, v1, v57 op_sel_hi:[1,0,1]
	v_pk_fma_f16 v75, v46, v1, v75 op_sel:[0,1,0]
	;; [unrolled: 2-line block ×8, first 2 shown]
	ds_load_b128 v[0:3], v59 offset:26160
	s_waitcnt lgkmcnt(0)
	v_pk_fma_f16 v53, v48, v0, v53 op_sel_hi:[1,0,1]
	v_pk_fma_f16 v55, v48, v0, v55 op_sel:[0,1,0]
	v_pk_fma_f16 v57, v48, v1, v57 op_sel_hi:[1,0,1]
	v_pk_fma_f16 v75, v48, v1, v75 op_sel:[0,1,0]
	;; [unrolled: 2-line block ×8, first 2 shown]
	ds_load_2addr_b64 v[0:3], v43 offset0:128 offset1:160
	ds_load_b128 v[46:49], v59 offset:26176
	s_waitcnt lgkmcnt(0)
	v_pk_fma_f16 v53, v0, v46, v53 op_sel_hi:[1,0,1]
	v_pk_fma_f16 v55, v0, v46, v55 op_sel:[0,1,0]
	v_pk_fma_f16 v57, v0, v47, v57 op_sel_hi:[1,0,1]
	v_pk_fma_f16 v75, v0, v47, v75 op_sel:[0,1,0]
	;; [unrolled: 2-line block ×8, first 2 shown]
	ds_load_b128 v[46:49], v59 offset:26192
	s_waitcnt lgkmcnt(0)
	v_pk_fma_f16 v53, v2, v46, v53 op_sel_hi:[1,0,1]
	v_pk_fma_f16 v55, v2, v46, v55 op_sel:[0,1,0]
	v_pk_fma_f16 v57, v2, v47, v57 op_sel_hi:[1,0,1]
	v_pk_fma_f16 v75, v2, v47, v75 op_sel:[0,1,0]
	;; [unrolled: 2-line block ×8, first 2 shown]
	ds_load_2addr_b64 v[0:3], v43 offset0:192 offset1:224
	ds_load_b128 v[46:49], v59 offset:26208
	s_waitcnt lgkmcnt(0)
	v_pk_fma_f16 v43, v0, v46, v53 op_sel_hi:[1,0,1]
	v_pk_fma_f16 v53, v0, v46, v55 op_sel:[0,1,0]
	v_pk_fma_f16 v55, v0, v47, v57 op_sel_hi:[1,0,1]
	v_pk_fma_f16 v57, v0, v47, v75 op_sel:[0,1,0]
	;; [unrolled: 2-line block ×8, first 2 shown]
	ds_load_b128 v[46:49], v59 offset:26224
	s_waitcnt lgkmcnt(0)
	v_pk_fma_f16 v43, v2, v46, v43 op_sel_hi:[1,0,1]
	v_pk_fma_f16 v53, v2, v46, v53 op_sel:[0,1,0]
	v_pk_fma_f16 v55, v2, v47, v55 op_sel_hi:[1,0,1]
	v_pk_fma_f16 v57, v2, v47, v57 op_sel:[0,1,0]
	v_pk_fma_f16 v75, v2, v48, v75 op_sel_hi:[1,0,1]
	v_pk_fma_f16 v88, v2, v48, v88 op_sel:[0,1,0]
	v_pk_fma_f16 v89, v2, v49, v89 op_sel_hi:[1,0,1]
	v_pk_fma_f16 v91, v2, v49, v0 op_sel:[0,1,0]
	v_pk_fma_f16 v58, v3, v46, v58 op_sel_hi:[1,0,1]
	v_pk_fma_f16 v50, v3, v46, v50 op_sel:[0,1,0]
	v_pk_fma_f16 v54, v3, v47, v54 op_sel_hi:[1,0,1]
	v_pk_fma_f16 v51, v3, v47, v51 op_sel:[0,1,0]
	v_pk_fma_f16 v56, v3, v48, v56 op_sel_hi:[1,0,1]
	v_pk_fma_f16 v52, v3, v48, v52 op_sel:[0,1,0]
	v_pk_fma_f16 v90, v3, v49, v90 op_sel_hi:[1,0,1]
	v_pk_fma_f16 v92, v3, v49, v1 op_sel:[0,1,0]
	ds_load_2addr_b64 v[0:3], v44 offset1:32
	ds_load_b128 v[46:49], v59 offset:26240
	s_waitcnt lgkmcnt(0)
	v_pk_fma_f16 v43, v0, v46, v43 op_sel_hi:[1,0,1]
	v_pk_fma_f16 v53, v0, v46, v53 op_sel:[0,1,0]
	v_pk_fma_f16 v55, v0, v47, v55 op_sel_hi:[1,0,1]
	v_pk_fma_f16 v57, v0, v47, v57 op_sel:[0,1,0]
	v_pk_fma_f16 v75, v0, v48, v75 op_sel_hi:[1,0,1]
	v_pk_fma_f16 v88, v0, v48, v88 op_sel:[0,1,0]
	v_pk_fma_f16 v89, v0, v49, v89 op_sel_hi:[1,0,1]
	v_pk_fma_f16 v0, v0, v49, v91 op_sel:[0,1,0]
	v_pk_fma_f16 v58, v1, v46, v58 op_sel_hi:[1,0,1]
	v_pk_fma_f16 v50, v1, v46, v50 op_sel:[0,1,0]
	v_pk_fma_f16 v54, v1, v47, v54 op_sel_hi:[1,0,1]
	v_pk_fma_f16 v51, v1, v47, v51 op_sel:[0,1,0]
	v_pk_fma_f16 v56, v1, v48, v56 op_sel_hi:[1,0,1]
	v_pk_fma_f16 v52, v1, v48, v52 op_sel:[0,1,0]
	v_pk_fma_f16 v90, v1, v49, v90 op_sel_hi:[1,0,1]
	v_pk_fma_f16 v1, v1, v49, v92 op_sel:[0,1,0]
	ds_load_b128 v[46:49], v59 offset:26256
	s_waitcnt lgkmcnt(0)
	v_pk_fma_f16 v43, v2, v46, v43 op_sel_hi:[1,0,1]
	v_pk_fma_f16 v53, v2, v46, v53 op_sel:[0,1,0]
	v_pk_fma_f16 v55, v2, v47, v55 op_sel_hi:[1,0,1]
	v_pk_fma_f16 v57, v2, v47, v57 op_sel:[0,1,0]
	v_pk_fma_f16 v75, v2, v48, v75 op_sel_hi:[1,0,1]
	v_pk_fma_f16 v88, v2, v48, v88 op_sel:[0,1,0]
	v_pk_fma_f16 v89, v2, v49, v89 op_sel_hi:[1,0,1]
	v_pk_fma_f16 v91, v2, v49, v0 op_sel:[0,1,0]
	v_pk_fma_f16 v58, v3, v46, v58 op_sel_hi:[1,0,1]
	v_pk_fma_f16 v50, v3, v46, v50 op_sel:[0,1,0]
	v_pk_fma_f16 v54, v3, v47, v54 op_sel_hi:[1,0,1]
	v_pk_fma_f16 v51, v3, v47, v51 op_sel:[0,1,0]
	v_pk_fma_f16 v56, v3, v48, v56 op_sel_hi:[1,0,1]
	v_pk_fma_f16 v52, v3, v48, v52 op_sel:[0,1,0]
	v_pk_fma_f16 v90, v3, v49, v90 op_sel_hi:[1,0,1]
	v_pk_fma_f16 v92, v3, v49, v1 op_sel:[0,1,0]
	ds_load_2addr_b64 v[0:3], v44 offset0:64 offset1:96
	ds_load_b128 v[46:49], v59 offset:26272
	s_waitcnt lgkmcnt(0)
	v_pk_fma_f16 v43, v0, v46, v43 op_sel_hi:[1,0,1]
	v_pk_fma_f16 v53, v0, v46, v53 op_sel:[0,1,0]
	v_pk_fma_f16 v55, v0, v47, v55 op_sel_hi:[1,0,1]
	v_pk_fma_f16 v57, v0, v47, v57 op_sel:[0,1,0]
	v_pk_fma_f16 v75, v0, v48, v75 op_sel_hi:[1,0,1]
	v_pk_fma_f16 v88, v0, v48, v88 op_sel:[0,1,0]
	v_pk_fma_f16 v89, v0, v49, v89 op_sel_hi:[1,0,1]
	v_pk_fma_f16 v0, v0, v49, v91 op_sel:[0,1,0]
	v_pk_fma_f16 v58, v1, v46, v58 op_sel_hi:[1,0,1]
	v_pk_fma_f16 v50, v1, v46, v50 op_sel:[0,1,0]
	v_pk_fma_f16 v54, v1, v47, v54 op_sel_hi:[1,0,1]
	v_pk_fma_f16 v51, v1, v47, v51 op_sel:[0,1,0]
	v_pk_fma_f16 v56, v1, v48, v56 op_sel_hi:[1,0,1]
	v_pk_fma_f16 v52, v1, v48, v52 op_sel:[0,1,0]
	v_pk_fma_f16 v90, v1, v49, v90 op_sel_hi:[1,0,1]
	v_pk_fma_f16 v1, v1, v49, v92 op_sel:[0,1,0]
	ds_load_b128 v[46:49], v59 offset:26288
	s_waitcnt lgkmcnt(0)
	v_pk_fma_f16 v43, v2, v46, v43 op_sel_hi:[1,0,1]
	v_pk_fma_f16 v53, v2, v46, v53 op_sel:[0,1,0]
	v_pk_fma_f16 v55, v2, v47, v55 op_sel_hi:[1,0,1]
	v_pk_fma_f16 v57, v2, v47, v57 op_sel:[0,1,0]
	v_pk_fma_f16 v75, v2, v48, v75 op_sel_hi:[1,0,1]
	v_pk_fma_f16 v88, v2, v48, v88 op_sel:[0,1,0]
	v_pk_fma_f16 v89, v2, v49, v89 op_sel_hi:[1,0,1]
	v_pk_fma_f16 v91, v2, v49, v0 op_sel:[0,1,0]
	v_pk_fma_f16 v58, v3, v46, v58 op_sel_hi:[1,0,1]
	v_pk_fma_f16 v50, v3, v46, v50 op_sel:[0,1,0]
	v_pk_fma_f16 v54, v3, v47, v54 op_sel_hi:[1,0,1]
	v_pk_fma_f16 v51, v3, v47, v51 op_sel:[0,1,0]
	v_pk_fma_f16 v56, v3, v48, v56 op_sel_hi:[1,0,1]
	v_pk_fma_f16 v52, v3, v48, v52 op_sel:[0,1,0]
	v_pk_fma_f16 v90, v3, v49, v90 op_sel_hi:[1,0,1]
	v_pk_fma_f16 v92, v3, v49, v1 op_sel:[0,1,0]
	ds_load_2addr_b64 v[0:3], v44 offset0:128 offset1:160
	;; [unrolled: 37-line block ×3, first 2 shown]
	ds_load_b128 v[46:49], v59 offset:26336
	s_waitcnt lgkmcnt(0)
	v_pk_fma_f16 v43, v0, v46, v43 op_sel_hi:[1,0,1]
	v_pk_fma_f16 v44, v0, v46, v53 op_sel:[0,1,0]
	v_pk_fma_f16 v53, v0, v47, v55 op_sel_hi:[1,0,1]
	v_pk_fma_f16 v55, v0, v47, v57 op_sel:[0,1,0]
	v_pk_fma_f16 v57, v0, v48, v75 op_sel_hi:[1,0,1]
	v_pk_fma_f16 v75, v0, v48, v88 op_sel:[0,1,0]
	v_pk_fma_f16 v88, v0, v49, v89 op_sel_hi:[1,0,1]
	v_pk_fma_f16 v0, v0, v49, v91 op_sel:[0,1,0]
	v_pk_fma_f16 v58, v1, v46, v58 op_sel_hi:[1,0,1]
	v_pk_fma_f16 v50, v1, v46, v50 op_sel:[0,1,0]
	v_pk_fma_f16 v54, v1, v47, v54 op_sel_hi:[1,0,1]
	v_pk_fma_f16 v51, v1, v47, v51 op_sel:[0,1,0]
	v_pk_fma_f16 v56, v1, v48, v56 op_sel_hi:[1,0,1]
	v_pk_fma_f16 v52, v1, v48, v52 op_sel:[0,1,0]
	v_pk_fma_f16 v89, v1, v49, v90 op_sel_hi:[1,0,1]
	v_pk_fma_f16 v1, v1, v49, v92 op_sel:[0,1,0]
	ds_load_b128 v[46:49], v59 offset:26352
	s_waitcnt lgkmcnt(0)
	v_pk_fma_f16 v43, v2, v46, v43 op_sel_hi:[1,0,1]
	v_pk_fma_f16 v44, v2, v46, v44 op_sel:[0,1,0]
	v_pk_fma_f16 v53, v2, v47, v53 op_sel_hi:[1,0,1]
	v_pk_fma_f16 v55, v2, v47, v55 op_sel:[0,1,0]
	;; [unrolled: 2-line block ×8, first 2 shown]
	ds_load_2addr_b64 v[0:3], v45 offset1:32
	ds_load_b128 v[46:49], v59 offset:26368
	s_waitcnt lgkmcnt(0)
	v_pk_fma_f16 v43, v0, v46, v43 op_sel_hi:[1,0,1]
	v_pk_fma_f16 v44, v0, v46, v44 op_sel:[0,1,0]
	v_pk_fma_f16 v53, v0, v47, v53 op_sel_hi:[1,0,1]
	v_pk_fma_f16 v55, v0, v47, v55 op_sel:[0,1,0]
	v_pk_fma_f16 v57, v0, v48, v57 op_sel_hi:[1,0,1]
	v_pk_fma_f16 v75, v0, v48, v75 op_sel:[0,1,0]
	v_pk_fma_f16 v88, v0, v49, v88 op_sel_hi:[1,0,1]
	v_pk_fma_f16 v0, v0, v49, v90 op_sel:[0,1,0]
	v_pk_fma_f16 v58, v1, v46, v58 op_sel_hi:[1,0,1]
	v_pk_fma_f16 v50, v1, v46, v50 op_sel:[0,1,0]
	v_pk_fma_f16 v54, v1, v47, v54 op_sel_hi:[1,0,1]
	v_pk_fma_f16 v51, v1, v47, v51 op_sel:[0,1,0]
	v_pk_fma_f16 v56, v1, v48, v56 op_sel_hi:[1,0,1]
	v_pk_fma_f16 v52, v1, v48, v52 op_sel:[0,1,0]
	v_pk_fma_f16 v89, v1, v49, v89 op_sel_hi:[1,0,1]
	v_pk_fma_f16 v1, v1, v49, v91 op_sel:[0,1,0]
	ds_load_b128 v[46:49], v59 offset:26384
	s_waitcnt lgkmcnt(0)
	v_pk_fma_f16 v43, v2, v46, v43 op_sel_hi:[1,0,1]
	v_pk_fma_f16 v44, v2, v46, v44 op_sel:[0,1,0]
	v_pk_fma_f16 v53, v2, v47, v53 op_sel_hi:[1,0,1]
	v_pk_fma_f16 v55, v2, v47, v55 op_sel:[0,1,0]
	v_pk_fma_f16 v57, v2, v48, v57 op_sel_hi:[1,0,1]
	v_pk_fma_f16 v75, v2, v48, v75 op_sel:[0,1,0]
	v_pk_fma_f16 v88, v2, v49, v88 op_sel_hi:[1,0,1]
	v_pk_fma_f16 v90, v2, v49, v0 op_sel:[0,1,0]
	v_pk_fma_f16 v58, v3, v46, v58 op_sel_hi:[1,0,1]
	v_pk_fma_f16 v50, v3, v46, v50 op_sel:[0,1,0]
	v_pk_fma_f16 v54, v3, v47, v54 op_sel_hi:[1,0,1]
	v_pk_fma_f16 v51, v3, v47, v51 op_sel:[0,1,0]
	v_pk_fma_f16 v56, v3, v48, v56 op_sel_hi:[1,0,1]
	v_pk_fma_f16 v52, v3, v48, v52 op_sel:[0,1,0]
	v_pk_fma_f16 v89, v3, v49, v89 op_sel_hi:[1,0,1]
	v_pk_fma_f16 v91, v3, v49, v1 op_sel:[0,1,0]
	ds_load_2addr_b64 v[0:3], v45 offset0:64 offset1:96
	ds_load_b128 v[46:49], v59 offset:26400
	s_waitcnt lgkmcnt(0)
	v_pk_fma_f16 v43, v0, v46, v43 op_sel_hi:[1,0,1]
	v_pk_fma_f16 v44, v0, v46, v44 op_sel:[0,1,0]
	v_pk_fma_f16 v53, v0, v47, v53 op_sel_hi:[1,0,1]
	v_pk_fma_f16 v55, v0, v47, v55 op_sel:[0,1,0]
	v_pk_fma_f16 v57, v0, v48, v57 op_sel_hi:[1,0,1]
	v_pk_fma_f16 v75, v0, v48, v75 op_sel:[0,1,0]
	v_pk_fma_f16 v88, v0, v49, v88 op_sel_hi:[1,0,1]
	v_pk_fma_f16 v0, v0, v49, v90 op_sel:[0,1,0]
	v_pk_fma_f16 v58, v1, v46, v58 op_sel_hi:[1,0,1]
	v_pk_fma_f16 v50, v1, v46, v50 op_sel:[0,1,0]
	v_pk_fma_f16 v54, v1, v47, v54 op_sel_hi:[1,0,1]
	v_pk_fma_f16 v51, v1, v47, v51 op_sel:[0,1,0]
	v_pk_fma_f16 v56, v1, v48, v56 op_sel_hi:[1,0,1]
	v_pk_fma_f16 v52, v1, v48, v52 op_sel:[0,1,0]
	v_pk_fma_f16 v89, v1, v49, v89 op_sel_hi:[1,0,1]
	v_pk_fma_f16 v1, v1, v49, v91 op_sel:[0,1,0]
	ds_load_b128 v[46:49], v59 offset:26416
	s_waitcnt lgkmcnt(0)
	v_pk_fma_f16 v43, v2, v46, v43 op_sel_hi:[1,0,1]
	v_pk_fma_f16 v44, v2, v46, v44 op_sel:[0,1,0]
	v_pk_fma_f16 v53, v2, v47, v53 op_sel_hi:[1,0,1]
	v_pk_fma_f16 v55, v2, v47, v55 op_sel:[0,1,0]
	v_pk_fma_f16 v57, v2, v48, v57 op_sel_hi:[1,0,1]
	v_pk_fma_f16 v75, v2, v48, v75 op_sel:[0,1,0]
	v_pk_fma_f16 v88, v2, v49, v88 op_sel_hi:[1,0,1]
	v_pk_fma_f16 v90, v2, v49, v0 op_sel:[0,1,0]
	v_pk_fma_f16 v58, v3, v46, v58 op_sel_hi:[1,0,1]
	v_pk_fma_f16 v50, v3, v46, v50 op_sel:[0,1,0]
	v_pk_fma_f16 v54, v3, v47, v54 op_sel_hi:[1,0,1]
	v_pk_fma_f16 v51, v3, v47, v51 op_sel:[0,1,0]
	v_pk_fma_f16 v56, v3, v48, v56 op_sel_hi:[1,0,1]
	v_pk_fma_f16 v52, v3, v48, v52 op_sel:[0,1,0]
	v_pk_fma_f16 v89, v3, v49, v89 op_sel_hi:[1,0,1]
	v_pk_fma_f16 v91, v3, v49, v1 op_sel:[0,1,0]
	ds_load_2addr_b64 v[0:3], v45 offset0:128 offset1:160
	;; [unrolled: 37-line block ×3, first 2 shown]
	ds_load_b128 v[43:46], v59 offset:26464
	s_waitcnt lgkmcnt(0)
	v_pk_fma_f16 v56, v0, v43, v90 op_sel_hi:[1,0,1]
	v_pk_fma_f16 v89, v0, v43, v91 op_sel:[0,1,0]
	v_pk_fma_f16 v53, v0, v44, v53 op_sel_hi:[1,0,1]
	v_pk_fma_f16 v55, v0, v44, v55 op_sel:[0,1,0]
	v_pk_fma_f16 v57, v0, v45, v57 op_sel_hi:[1,0,1]
	v_pk_fma_f16 v75, v0, v45, v75 op_sel:[0,1,0]
	v_pk_fma_f16 v88, v0, v46, v88 op_sel_hi:[1,0,1]
	v_pk_fma_f16 v0, v0, v46, v92 op_sel:[0,1,0]
	v_pk_fma_f16 v58, v1, v43, v58 op_sel_hi:[1,0,1]
	v_pk_fma_f16 v50, v1, v43, v50 op_sel:[0,1,0]
	v_pk_fma_f16 v54, v1, v44, v54 op_sel_hi:[1,0,1]
	v_pk_fma_f16 v47, v1, v44, v47 op_sel:[0,1,0]
	v_pk_fma_f16 v51, v1, v45, v51 op_sel_hi:[1,0,1]
	v_pk_fma_f16 v48, v1, v45, v48 op_sel:[0,1,0]
	v_pk_fma_f16 v52, v1, v46, v52 op_sel_hi:[1,0,1]
	v_pk_fma_f16 v1, v1, v46, v49 op_sel:[0,1,0]
	ds_load_b128 v[43:46], v59 offset:26480
	s_waitcnt lgkmcnt(0)
	v_pk_fma_f16 v49, v2, v43, v56 op_sel_hi:[1,0,1]
	v_pk_fma_f16 v56, v2, v43, v89 op_sel:[0,1,0]
	v_pk_fma_f16 v53, v2, v44, v53 op_sel_hi:[1,0,1]
	v_pk_fma_f16 v55, v2, v44, v55 op_sel:[0,1,0]
	;; [unrolled: 2-line block ×8, first 2 shown]
	ds_load_2addr_b64 v[0:3], v20 offset1:32
	ds_load_b128 v[43:46], v59 offset:26496
	s_waitcnt lgkmcnt(0)
	v_pk_fma_f16 v49, v0, v43, v49 op_sel_hi:[1,0,1]
	v_pk_fma_f16 v56, v0, v43, v56 op_sel:[0,1,0]
	v_pk_fma_f16 v53, v0, v44, v53 op_sel_hi:[1,0,1]
	v_pk_fma_f16 v55, v0, v44, v55 op_sel:[0,1,0]
	v_pk_fma_f16 v57, v0, v45, v57 op_sel_hi:[1,0,1]
	v_pk_fma_f16 v75, v0, v45, v75 op_sel:[0,1,0]
	v_pk_fma_f16 v88, v0, v46, v88 op_sel_hi:[1,0,1]
	v_pk_fma_f16 v0, v0, v46, v89 op_sel:[0,1,0]
	v_pk_fma_f16 v58, v1, v43, v58 op_sel_hi:[1,0,1]
	v_pk_fma_f16 v50, v1, v43, v50 op_sel:[0,1,0]
	v_pk_fma_f16 v54, v1, v44, v54 op_sel_hi:[1,0,1]
	v_pk_fma_f16 v47, v1, v44, v47 op_sel:[0,1,0]
	v_pk_fma_f16 v51, v1, v45, v51 op_sel_hi:[1,0,1]
	v_pk_fma_f16 v48, v1, v45, v48 op_sel:[0,1,0]
	v_pk_fma_f16 v52, v1, v46, v52 op_sel_hi:[1,0,1]
	v_pk_fma_f16 v1, v1, v46, v90 op_sel:[0,1,0]
	ds_load_b128 v[43:46], v59 offset:26512
	s_waitcnt lgkmcnt(0)
	v_pk_fma_f16 v49, v2, v43, v49 op_sel_hi:[1,0,1]
	v_pk_fma_f16 v56, v2, v43, v56 op_sel:[0,1,0]
	v_pk_fma_f16 v53, v2, v44, v53 op_sel_hi:[1,0,1]
	v_pk_fma_f16 v55, v2, v44, v55 op_sel:[0,1,0]
	v_pk_fma_f16 v57, v2, v45, v57 op_sel_hi:[1,0,1]
	v_pk_fma_f16 v75, v2, v45, v75 op_sel:[0,1,0]
	v_pk_fma_f16 v88, v2, v46, v88 op_sel_hi:[1,0,1]
	v_pk_fma_f16 v89, v2, v46, v0 op_sel:[0,1,0]
	v_pk_fma_f16 v58, v3, v43, v58 op_sel_hi:[1,0,1]
	v_pk_fma_f16 v50, v3, v43, v50 op_sel:[0,1,0]
	v_pk_fma_f16 v54, v3, v44, v54 op_sel_hi:[1,0,1]
	v_pk_fma_f16 v47, v3, v44, v47 op_sel:[0,1,0]
	v_pk_fma_f16 v51, v3, v45, v51 op_sel_hi:[1,0,1]
	v_pk_fma_f16 v48, v3, v45, v48 op_sel:[0,1,0]
	v_pk_fma_f16 v52, v3, v46, v52 op_sel_hi:[1,0,1]
	v_pk_fma_f16 v90, v3, v46, v1 op_sel:[0,1,0]
	ds_load_2addr_b64 v[0:3], v20 offset0:64 offset1:96
	ds_load_b128 v[43:46], v59 offset:26528
	s_waitcnt lgkmcnt(0)
	v_pk_fma_f16 v49, v0, v43, v49 op_sel_hi:[1,0,1]
	v_pk_fma_f16 v56, v0, v43, v56 op_sel:[0,1,0]
	v_pk_fma_f16 v53, v0, v44, v53 op_sel_hi:[1,0,1]
	v_pk_fma_f16 v55, v0, v44, v55 op_sel:[0,1,0]
	v_pk_fma_f16 v57, v0, v45, v57 op_sel_hi:[1,0,1]
	v_pk_fma_f16 v75, v0, v45, v75 op_sel:[0,1,0]
	v_pk_fma_f16 v88, v0, v46, v88 op_sel_hi:[1,0,1]
	v_pk_fma_f16 v0, v0, v46, v89 op_sel:[0,1,0]
	v_pk_fma_f16 v58, v1, v43, v58 op_sel_hi:[1,0,1]
	v_pk_fma_f16 v50, v1, v43, v50 op_sel:[0,1,0]
	v_pk_fma_f16 v54, v1, v44, v54 op_sel_hi:[1,0,1]
	v_pk_fma_f16 v47, v1, v44, v47 op_sel:[0,1,0]
	v_pk_fma_f16 v51, v1, v45, v51 op_sel_hi:[1,0,1]
	v_pk_fma_f16 v48, v1, v45, v48 op_sel:[0,1,0]
	v_pk_fma_f16 v52, v1, v46, v52 op_sel_hi:[1,0,1]
	v_pk_fma_f16 v1, v1, v46, v90 op_sel:[0,1,0]
	ds_load_b128 v[43:46], v59 offset:26544
	s_waitcnt lgkmcnt(0)
	v_pk_fma_f16 v49, v2, v43, v49 op_sel_hi:[1,0,1]
	v_pk_fma_f16 v56, v2, v43, v56 op_sel:[0,1,0]
	v_pk_fma_f16 v53, v2, v44, v53 op_sel_hi:[1,0,1]
	v_pk_fma_f16 v55, v2, v44, v55 op_sel:[0,1,0]
	v_pk_fma_f16 v57, v2, v45, v57 op_sel_hi:[1,0,1]
	v_pk_fma_f16 v75, v2, v45, v75 op_sel:[0,1,0]
	v_pk_fma_f16 v88, v2, v46, v88 op_sel_hi:[1,0,1]
	v_pk_fma_f16 v89, v2, v46, v0 op_sel:[0,1,0]
	v_pk_fma_f16 v58, v3, v43, v58 op_sel_hi:[1,0,1]
	v_pk_fma_f16 v50, v3, v43, v50 op_sel:[0,1,0]
	v_pk_fma_f16 v54, v3, v44, v54 op_sel_hi:[1,0,1]
	v_pk_fma_f16 v47, v3, v44, v47 op_sel:[0,1,0]
	v_pk_fma_f16 v51, v3, v45, v51 op_sel_hi:[1,0,1]
	v_pk_fma_f16 v48, v3, v45, v48 op_sel:[0,1,0]
	v_pk_fma_f16 v52, v3, v46, v52 op_sel_hi:[1,0,1]
	v_pk_fma_f16 v90, v3, v46, v1 op_sel:[0,1,0]
	ds_load_2addr_b64 v[0:3], v20 offset0:128 offset1:160
	ds_load_b128 v[43:46], v59 offset:26560
	s_waitcnt lgkmcnt(0)
	v_pk_fma_f16 v49, v0, v43, v49 op_sel_hi:[1,0,1]
	v_pk_fma_f16 v56, v0, v43, v56 op_sel:[0,1,0]
	v_pk_fma_f16 v53, v0, v44, v53 op_sel_hi:[1,0,1]
	v_pk_fma_f16 v55, v0, v44, v55 op_sel:[0,1,0]
	v_pk_fma_f16 v57, v0, v45, v57 op_sel_hi:[1,0,1]
	v_pk_fma_f16 v75, v0, v45, v75 op_sel:[0,1,0]
	v_pk_fma_f16 v88, v0, v46, v88 op_sel_hi:[1,0,1]
	v_pk_fma_f16 v0, v0, v46, v89 op_sel:[0,1,0]
	v_pk_fma_f16 v58, v1, v43, v58 op_sel_hi:[1,0,1]
	v_pk_fma_f16 v50, v1, v43, v50 op_sel:[0,1,0]
	v_pk_fma_f16 v54, v1, v44, v54 op_sel_hi:[1,0,1]
	v_pk_fma_f16 v47, v1, v44, v47 op_sel:[0,1,0]
	v_pk_fma_f16 v51, v1, v45, v51 op_sel_hi:[1,0,1]
	v_pk_fma_f16 v48, v1, v45, v48 op_sel:[0,1,0]
	v_pk_fma_f16 v52, v1, v46, v52 op_sel_hi:[1,0,1]
	v_pk_fma_f16 v1, v1, v46, v90 op_sel:[0,1,0]
	ds_load_b128 v[43:46], v59 offset:26576
	s_waitcnt lgkmcnt(0)
	v_pk_fma_f16 v49, v2, v43, v49 op_sel_hi:[1,0,1]
	v_pk_fma_f16 v56, v2, v43, v56 op_sel:[0,1,0]
	v_pk_fma_f16 v53, v2, v44, v53 op_sel_hi:[1,0,1]
	v_pk_fma_f16 v55, v2, v44, v55 op_sel:[0,1,0]
	v_pk_fma_f16 v57, v2, v45, v57 op_sel_hi:[1,0,1]
	v_pk_fma_f16 v75, v2, v45, v75 op_sel:[0,1,0]
	v_pk_fma_f16 v88, v2, v46, v88 op_sel_hi:[1,0,1]
	v_pk_fma_f16 v89, v2, v46, v0 op_sel:[0,1,0]
	v_pk_fma_f16 v58, v3, v43, v58 op_sel_hi:[1,0,1]
	v_pk_fma_f16 v50, v3, v43, v50 op_sel:[0,1,0]
	v_pk_fma_f16 v54, v3, v44, v54 op_sel_hi:[1,0,1]
	v_pk_fma_f16 v47, v3, v44, v47 op_sel:[0,1,0]
	v_pk_fma_f16 v51, v3, v45, v51 op_sel_hi:[1,0,1]
	v_pk_fma_f16 v48, v3, v45, v48 op_sel:[0,1,0]
	v_pk_fma_f16 v52, v3, v46, v52 op_sel_hi:[1,0,1]
	v_pk_fma_f16 v90, v3, v46, v1 op_sel:[0,1,0]
	ds_load_2addr_b64 v[0:3], v20 offset0:192 offset1:224
	ds_load_b128 v[43:46], v59 offset:26592
	s_waitcnt lgkmcnt(0)
	v_pk_fma_f16 v20, v0, v43, v49 op_sel_hi:[1,0,1]
	v_pk_fma_f16 v49, v0, v43, v56 op_sel:[0,1,0]
	v_pk_fma_f16 v53, v0, v44, v53 op_sel_hi:[1,0,1]
	v_pk_fma_f16 v56, v0, v44, v55 op_sel:[0,1,0]
	;; [unrolled: 2-line block ×8, first 2 shown]
	ds_load_b128 v[88:91], v59 offset:26608
	s_waitcnt lgkmcnt(0)
	s_barrier
	buffer_gl0_inv
	v_pk_fma_f16 v57, v2, v88, v20 op_sel_hi:[1,0,1]
	v_pk_fma_f16 v55, v2, v88, v49 op_sel:[0,1,0]
	v_pk_fma_f16 v53, v2, v89, v53 op_sel_hi:[1,0,1]
	v_pk_fma_f16 v51, v2, v89, v56 op_sel:[0,1,0]
	;; [unrolled: 2-line block ×8, first 2 shown]
	v_dual_add_f32 v1, v8, v72 :: v_dual_add_f32 v2, v6, v66
	v_dual_add_f32 v3, v7, v63 :: v_dual_add_f32 v6, v4, v76
	;; [unrolled: 1-line block ×3, first 2 shown]
	v_add_f32_e32 v0, v17, v83
	s_delay_alu instid0(VALU_DEP_4) | instskip(NEXT) | instid1(VALU_DEP_4)
	v_dual_fmac_f32 v1, v65, v22 :: v_dual_fmac_f32 v2, v67, v23
	v_fmac_f32_e32 v3, v68, v69
	s_delay_alu instid0(VALU_DEP_4) | instskip(SKIP_2) | instid1(VALU_DEP_3)
	v_dual_fmac_f32 v6, v71, v85 :: v_dual_fmac_f32 v7, v74, v86
	v_fmac_f32_e32 v4, v73, v87
	v_fmac_f32_e32 v0, v64, v21
	v_dual_mov_b32 v68, v3 :: v_dual_mov_b32 v71, v6
	s_delay_alu instid0(VALU_DEP_4)
	v_dual_mov_b32 v74, v7 :: v_dual_mov_b32 v67, v2
	v_mov_b32_e32 v65, v1
	v_mov_b32_e32 v73, v4
	v_dual_mov_b32 v1, v9 :: v_dual_mov_b32 v64, v0
	v_dual_mov_b32 v2, v10 :: v_dual_mov_b32 v3, v11
	v_dual_mov_b32 v4, v12 :: v_dual_mov_b32 v5, v13
	v_dual_mov_b32 v6, v14 :: v_dual_mov_b32 v7, v15
	v_dual_mov_b32 v8, v16 :: v_dual_mov_b32 v9, v19
.LBB86_263:
	v_cmp_lt_i32_e32 vcc_lo, v82, v77
	s_cmp_eq_u64 s[24:25], 0
	s_cselect_b32 s0, -1, 0
	s_cmp_lg_u32 s14, 0
	v_cndmask_b32_e32 v0, v9, v82, vcc_lo
	v_cmp_lt_i32_e32 vcc_lo, v81, v77
	s_cselect_b32 s1, -1, 0
	s_delay_alu instid0(SALU_CYCLE_1) | instskip(SKIP_2) | instid1(VALU_DEP_2)
	s_or_b32 s0, s1, s0
	v_cndmask_b32_e32 v17, v9, v81, vcc_lo
	v_cmp_lt_i32_e32 vcc_lo, v80, v77
	v_lshlrev_b32_e32 v17, 2, v17
	v_lshlrev_b32_e32 v0, 2, v0
	ds_bpermute_b32 v11, v0, v65
	s_waitcnt lgkmcnt(0)
	v_add_f32_e32 v11, v65, v11
	ds_bpermute_b32 v10, v0, v64
	ds_bpermute_b32 v14, v0, v70
	;; [unrolled: 1-line block ×8, first 2 shown]
	s_waitcnt lgkmcnt(7)
	v_add_f32_e32 v10, v64, v10
	s_waitcnt lgkmcnt(6)
	v_add_f32_e32 v14, v70, v14
	s_waitcnt lgkmcnt(4)
	v_dual_add_f32 v12, v67, v12 :: v_dual_add_f32 v13, v68, v13
	s_waitcnt lgkmcnt(3)
	v_add_f32_e32 v15, v71, v15
	ds_bpermute_b32 v18, v17, v10
	s_waitcnt lgkmcnt(1)
	v_dual_add_f32 v0, v73, v0 :: v_dual_add_f32 v11, v11, v19
	ds_bpermute_b32 v22, v17, v14
	v_cndmask_b32_e32 v59, v9, v80, vcc_lo
	ds_bpermute_b32 v20, v17, v12
	ds_bpermute_b32 v21, v17, v13
	;; [unrolled: 1-line block ×3, first 2 shown]
	v_cmp_lt_i32_e32 vcc_lo, v79, v77
	s_waitcnt lgkmcnt(4)
	v_add_f32_e32 v10, v10, v18
	v_dual_add_f32 v16, v74, v16 :: v_dual_lshlrev_b32 v59, 2, v59
	s_waitcnt lgkmcnt(3)
	v_add_f32_e32 v14, v14, v22
	s_waitcnt lgkmcnt(1)
	v_dual_add_f32 v12, v12, v20 :: v_dual_add_f32 v13, v13, v21
	ds_bpermute_b32 v24, v17, v16
	ds_bpermute_b32 v17, v17, v0
	s_waitcnt lgkmcnt(2)
	v_add_f32_e32 v15, v15, v23
	ds_bpermute_b32 v21, v59, v14
	ds_bpermute_b32 v18, v59, v11
	;; [unrolled: 1-line block ×5, first 2 shown]
	s_waitcnt lgkmcnt(6)
	v_add_f32_e32 v16, v16, v24
	s_waitcnt lgkmcnt(5)
	v_add_f32_e32 v0, v0, v17
	ds_bpermute_b32 v17, v59, v10
	s_waitcnt lgkmcnt(4)
	v_dual_add_f32 v14, v14, v21 :: v_dual_add_f32 v11, v11, v18
	ds_bpermute_b32 v23, v59, v16
	ds_bpermute_b32 v24, v59, v0
	s_waitcnt lgkmcnt(3)
	v_add_f32_e32 v15, v15, v22
	v_cndmask_b32_e32 v59, v9, v79, vcc_lo
	v_cmp_lt_i32_e32 vcc_lo, v78, v77
	v_dual_add_f32 v12, v12, v19 :: v_dual_add_f32 v13, v13, v20
	s_delay_alu instid0(VALU_DEP_3)
	v_lshlrev_b32_e32 v59, 2, v59
	v_cndmask_b32_e32 v9, v9, v78, vcc_lo
	s_and_b32 vcc_lo, exec_lo, s0
	ds_bpermute_b32 v21, v59, v14
	ds_bpermute_b32 v18, v59, v11
	;; [unrolled: 1-line block ×4, first 2 shown]
	s_waitcnt lgkmcnt(6)
	v_add_f32_e32 v10, v10, v17
	ds_bpermute_b32 v22, v59, v15
	s_waitcnt lgkmcnt(6)
	v_dual_add_f32 v16, v16, v23 :: v_dual_lshlrev_b32 v9, 2, v9
	s_waitcnt lgkmcnt(5)
	v_add_f32_e32 v0, v0, v24
	ds_bpermute_b32 v17, v59, v10
	ds_bpermute_b32 v23, v59, v16
	;; [unrolled: 1-line block ×3, first 2 shown]
	s_waitcnt lgkmcnt(6)
	v_dual_add_f32 v14, v14, v21 :: v_dual_add_f32 v11, v11, v18
	s_waitcnt lgkmcnt(4)
	v_dual_add_f32 v12, v12, v19 :: v_dual_add_f32 v13, v13, v20
	s_waitcnt lgkmcnt(3)
	v_add_f32_e32 v15, v15, v22
	ds_bpermute_b32 v21, v9, v14
	ds_bpermute_b32 v18, v9, v11
	;; [unrolled: 1-line block ×3, first 2 shown]
	s_waitcnt lgkmcnt(5)
	v_add_f32_e32 v10, v10, v17
	ds_bpermute_b32 v20, v9, v13
	ds_bpermute_b32 v22, v9, v15
	s_waitcnt lgkmcnt(5)
	v_add_f32_e32 v0, v0, v24
	ds_bpermute_b32 v17, v9, v10
	v_add_f32_e32 v16, v16, v23
	ds_bpermute_b32 v24, v9, v0
	ds_bpermute_b32 v23, v9, v16
	s_waitcnt lgkmcnt(2)
	v_dual_add_f32 v9, v10, v17 :: v_dual_add_f32 v10, v11, v18
	v_dual_add_f32 v11, v12, v19 :: v_dual_add_f32 v12, v13, v20
	;; [unrolled: 1-line block ×3, first 2 shown]
	s_waitcnt lgkmcnt(0)
	v_add_f32_e32 v15, v16, v23
	v_add_f32_e32 v16, v0, v24
	s_cbranch_vccnz .LBB86_265
; %bb.264:
	s_lshl_b64 s[0:1], s[34:35], 2
	v_dual_mov_b32 v0, 0 :: v_dual_max_f32 v17, v1, v1
	s_add_u32 s0, s24, s0
	s_addc_u32 s1, s25, s1
	v_dual_max_f32 v18, v2, v2 :: v_dual_max_f32 v19, v3, v3
	global_load_b32 v0, v0, s[0:1]
	v_dual_max_f32 v20, v4, v4 :: v_dual_max_f32 v23, v6, v6
	s_waitcnt vmcnt(0)
	v_dual_max_f32 v22, v5, v5 :: v_dual_max_f32 v21, v0, v0
	v_max_f32_e32 v24, v7, v7
	s_delay_alu instid0(VALU_DEP_2) | instskip(SKIP_2) | instid1(VALU_DEP_2)
	v_dual_max_f32 v66, v8, v8 :: v_dual_max_f32 v61, v19, v21
	v_max_f32_e32 v59, v17, v21
	v_max_f32_e32 v60, v18, v21
	v_dual_max_f32 v64, v23, v21 :: v_dual_sub_f32 v17, v0, v59
	v_sub_f32_e32 v1, v1, v59
	s_delay_alu instid0(VALU_DEP_3) | instskip(SKIP_2) | instid1(VALU_DEP_3)
	v_dual_max_f32 v63, v22, v21 :: v_dual_sub_f32 v18, v0, v60
	v_max_f32_e32 v62, v20, v21
	v_dual_max_f32 v65, v24, v21 :: v_dual_sub_f32 v2, v2, v60
	v_dual_max_f32 v66, v66, v21 :: v_dual_sub_f32 v21, v0, v63
	v_sub_f32_e32 v5, v5, v63
	s_delay_alu instid0(VALU_DEP_4) | instskip(SKIP_4) | instid1(VALU_DEP_4)
	v_dual_sub_f32 v3, v3, v61 :: v_dual_sub_f32 v4, v4, v62
	v_dual_sub_f32 v22, v0, v64 :: v_dual_mul_f32 v67, 0x3fb8aa3b, v17
	v_dual_mul_f32 v24, 0x3fb8aa3b, v1 :: v_dual_mul_f32 v69, 0x3fb8aa3b, v18
	v_dual_sub_f32 v19, v0, v61 :: v_dual_sub_f32 v6, v6, v64
	v_sub_f32_e32 v8, v8, v66
	v_dual_mul_f32 v72, 0x3fb8aa3b, v4 :: v_dual_mul_f32 v77, 0x3fb8aa3b, v22
	s_delay_alu instid0(VALU_DEP_4) | instskip(SKIP_3) | instid1(VALU_DEP_3)
	v_fma_f32 v88, 0x3fb8aa3b, v18, -v69
	v_rndne_f32_e32 v89, v69
	v_dual_sub_f32 v20, v0, v62 :: v_dual_sub_f32 v7, v7, v65
	v_dual_mul_f32 v71, 0x3fb8aa3b, v19 :: v_dual_mul_f32 v80, 0x3fb8aa3b, v8
	v_sub_f32_e32 v69, v69, v89
	v_fma_f32 v82, 0x3fb8aa3b, v1, -v24
	v_rndne_f32_e32 v83, v24
	v_fma_f32 v84, 0x3fb8aa3b, v17, -v67
	v_rndne_f32_e32 v85, v67
	v_rndne_f32_e32 v105, v77
	v_dual_fmac_f32 v88, 0x32a5705f, v18 :: v_dual_sub_f32 v23, v0, v65
	v_mul_f32_e32 v68, 0x3fb8aa3b, v2
	s_delay_alu instid0(VALU_DEP_4)
	v_dual_mul_f32 v78, 0x3fb8aa3b, v7 :: v_dual_sub_f32 v67, v67, v85
	v_rndne_f32_e32 v93, v71
	v_fma_f32 v104, 0x3fb8aa3b, v22, -v77
	v_dual_sub_f32 v24, v24, v83 :: v_dual_sub_f32 v77, v77, v105
	v_dual_fmac_f32 v84, 0x32a5705f, v17 :: v_dual_add_f32 v69, v69, v88
	v_fmac_f32_e32 v82, 0x32a5705f, v1
	v_dual_sub_f32 v0, v0, v66 :: v_dual_mul_f32 v73, 0x3fb8aa3b, v20
	v_dual_mul_f32 v70, 0x3fb8aa3b, v3 :: v_dual_mul_f32 v75, 0x3fb8aa3b, v21
	v_fma_f32 v86, 0x3fb8aa3b, v2, -v68
	v_rndne_f32_e32 v87, v68
	v_fma_f32 v92, 0x3fb8aa3b, v19, -v71
	v_sub_f32_e32 v71, v71, v93
	v_dual_add_f32 v67, v67, v84 :: v_dual_add_f32 v24, v24, v82
	v_rndne_f32_e32 v97, v73
	v_rndne_f32_e32 v101, v75
	v_fmac_f32_e32 v86, 0x32a5705f, v2
	v_sub_f32_e32 v68, v68, v87
	v_exp_f32_e32 v24, v24
	v_fma_f32 v96, 0x3fb8aa3b, v20, -v73
	v_fma_f32 v100, 0x3fb8aa3b, v21, -v75
	v_sub_f32_e32 v75, v75, v101
	v_cvt_i32_f32_e32 v83, v83
	v_dual_sub_f32 v73, v73, v97 :: v_dual_add_f32 v68, v68, v86
	v_exp_f32_e32 v67, v67
	v_cvt_i32_f32_e32 v85, v85
	v_cmp_ngt_f32_e32 vcc_lo, 0xc2ce8ed0, v1
	s_delay_alu instid0(TRANS32_DEP_2)
	v_ldexp_f32 v24, v24, v83
	v_exp_f32_e32 v68, v68
	v_fma_f32 v94, 0x3fb8aa3b, v4, -v72
	v_cvt_i32_f32_e32 v87, v87
	v_exp_f32_e32 v69, v69
	v_cndmask_b32_e32 v24, 0, v24, vcc_lo
	v_cmp_ngt_f32_e32 vcc_lo, 0xc2ce8ed0, v17
	v_ldexp_f32 v67, v67, v85
	v_dual_mul_f32 v74, 0x3fb8aa3b, v5 :: v_dual_mul_f32 v79, 0x3fb8aa3b, v23
	v_dual_mul_f32 v76, 0x3fb8aa3b, v6 :: v_dual_mul_f32 v81, 0x3fb8aa3b, v0
	v_fma_f32 v90, 0x3fb8aa3b, v3, -v70
	v_rndne_f32_e32 v91, v70
	v_cvt_i32_f32_e32 v89, v89
	v_dual_fmac_f32 v94, 0x32a5705f, v4 :: v_dual_cndmask_b32 v67, 0, v67
	v_ldexp_f32 v68, v68, v87
	v_cmp_ngt_f32_e32 vcc_lo, 0xc2ce8ed0, v2
	v_rndne_f32_e32 v109, v79
	v_rndne_f32_e32 v113, v81
	v_fmac_f32_e32 v90, 0x32a5705f, v3
	v_sub_f32_e32 v70, v70, v91
	v_ldexp_f32 v69, v69, v89
	v_cndmask_b32_e32 v68, 0, v68, vcc_lo
	v_cmp_ngt_f32_e32 vcc_lo, 0xc2ce8ed0, v18
	v_rndne_f32_e32 v95, v72
	v_fma_f32 v108, 0x3fb8aa3b, v23, -v79
	v_fma_f32 v112, 0x3fb8aa3b, v0, -v81
	v_dual_fmac_f32 v96, 0x32a5705f, v20 :: v_dual_cndmask_b32 v69, 0, v69
	v_dual_fmac_f32 v92, 0x32a5705f, v19 :: v_dual_sub_f32 v79, v79, v109
	v_sub_f32_e32 v81, v81, v113
	s_delay_alu instid0(VALU_DEP_3) | instskip(NEXT) | instid1(VALU_DEP_3)
	v_dual_add_f32 v73, v73, v96 :: v_dual_add_f32 v70, v70, v90
	v_dual_sub_f32 v72, v72, v95 :: v_dual_add_f32 v71, v71, v92
	v_cvt_i32_f32_e32 v91, v91
	v_cvt_i32_f32_e32 v93, v93
	s_delay_alu instid0(VALU_DEP_4)
	v_exp_f32_e32 v70, v70
	v_fmac_f32_e32 v108, 0x32a5705f, v23
	v_exp_f32_e32 v71, v71
	v_add_f32_e32 v72, v72, v94
	v_cmp_ngt_f32_e32 vcc_lo, 0xc2ce8ed0, v3
	v_fma_f32 v98, 0x3fb8aa3b, v5, -v74
	v_rndne_f32_e32 v99, v74
	v_dual_fmac_f32 v100, 0x32a5705f, v21 :: v_dual_add_f32 v79, v79, v108
	v_exp_f32_e32 v72, v72
	s_delay_alu instid0(TRANS32_DEP_3) | instskip(SKIP_1) | instid1(TRANS32_DEP_2)
	v_ldexp_f32 v70, v70, v91
	v_cvt_i32_f32_e32 v95, v95
	v_ldexp_f32 v71, v71, v93
	v_dual_fmac_f32 v98, 0x32a5705f, v5 :: v_dual_add_f32 v75, v75, v100
	s_delay_alu instid0(VALU_DEP_4)
	v_cndmask_b32_e32 v70, 0, v70, vcc_lo
	v_cmp_ngt_f32_e32 vcc_lo, 0xc2ce8ed0, v19
	v_fmac_f32_e32 v104, 0x32a5705f, v22
	v_exp_f32_e32 v73, v73
	v_exp_f32_e32 v79, v79
	v_fma_f32 v102, 0x3fb8aa3b, v6, -v76
	v_cndmask_b32_e32 v71, 0, v71, vcc_lo
	v_dual_sub_f32 v74, v74, v99 :: v_dual_add_f32 v77, v77, v104
	v_rndne_f32_e32 v103, v76
	v_cvt_i32_f32_e32 v97, v97
	v_cvt_i32_f32_e32 v109, v109
	s_delay_alu instid0(VALU_DEP_4)
	v_add_f32_e32 v74, v74, v98
	v_ldexp_f32 v72, v72, v95
	v_cmp_ngt_f32_e32 vcc_lo, 0xc2ce8ed0, v4
	v_ldexp_f32 v73, v73, v97
	v_ldexp_f32 v79, v79, v109
	v_fmac_f32_e32 v112, 0x32a5705f, v0
	v_fmac_f32_e32 v102, 0x32a5705f, v6
	v_exp_f32_e32 v74, v74
	v_cndmask_b32_e32 v72, 0, v72, vcc_lo
	v_cmp_ngt_f32_e32 vcc_lo, 0xc2ce8ed0, v20
	v_sub_f32_e32 v76, v76, v103
	v_cvt_i32_f32_e32 v99, v99
	v_add_f32_e32 v81, v81, v112
	v_exp_f32_e32 v75, v75
	s_delay_alu instid0(VALU_DEP_3) | instskip(SKIP_1) | instid1(TRANS32_DEP_2)
	v_dual_cndmask_b32 v73, 0, v73 :: v_dual_add_f32 v76, v76, v102
	v_cvt_i32_f32_e32 v101, v101
	v_ldexp_f32 v74, v74, v99
	v_cmp_ngt_f32_e32 vcc_lo, 0xc2ce8ed0, v5
	v_fma_f32 v110, 0x3fb8aa3b, v8, -v80
	v_exp_f32_e32 v76, v76
	v_cvt_i32_f32_e32 v103, v103
	v_exp_f32_e32 v77, v77
	v_exp_f32_e32 v81, v81
	v_ldexp_f32 v75, v75, v101
	v_cndmask_b32_e32 v74, 0, v74, vcc_lo
	v_cmp_ngt_f32_e32 vcc_lo, 0xc2ce8ed0, v21
	v_fma_f32 v106, 0x3fb8aa3b, v7, -v78
	v_rndne_f32_e32 v107, v78
	v_cvt_i32_f32_e32 v105, v105
	v_dual_fmac_f32 v110, 0x32a5705f, v8 :: v_dual_cndmask_b32 v75, 0, v75
	v_cvt_i32_f32_e32 v113, v113
	v_ldexp_f32 v76, v76, v103
	v_cmp_ngt_f32_e32 vcc_lo, 0xc2ce8ed0, v6
	v_ldexp_f32 v77, v77, v105
	v_rndne_f32_e32 v111, v80
	v_ldexp_f32 v81, v81, v113
	v_sub_f32_e32 v78, v78, v107
	v_cndmask_b32_e32 v76, 0, v76, vcc_lo
	v_cmp_ngt_f32_e32 vcc_lo, 0xc2ce8ed0, v22
	v_fmac_f32_e32 v106, 0x32a5705f, v7
	v_sub_f32_e32 v80, v80, v111
	v_cvt_i32_f32_e32 v107, v107
	v_cvt_i32_f32_e32 v111, v111
	s_delay_alu instid0(VALU_DEP_4) | instskip(NEXT) | instid1(VALU_DEP_4)
	v_dual_cndmask_b32 v77, 0, v77 :: v_dual_add_f32 v78, v78, v106
	v_add_f32_e32 v80, v80, v110
	v_cmp_ngt_f32_e32 vcc_lo, 0xc2ce8ed0, v7
	s_delay_alu instid0(VALU_DEP_3) | instskip(NEXT) | instid1(VALU_DEP_2)
	v_exp_f32_e32 v78, v78
	v_exp_f32_e32 v80, v80
	s_waitcnt_depctr 0xfff
	v_ldexp_f32 v78, v78, v107
	v_ldexp_f32 v80, v80, v111
	s_delay_alu instid0(VALU_DEP_2)
	v_cndmask_b32_e32 v78, 0, v78, vcc_lo
	v_cmp_ngt_f32_e32 vcc_lo, 0xc2ce8ed0, v23
	v_cndmask_b32_e32 v79, 0, v79, vcc_lo
	v_cmp_ngt_f32_e32 vcc_lo, 0xc2ce8ed0, v8
	;; [unrolled: 2-line block ×3, first 2 shown]
	v_cndmask_b32_e32 v81, 0, v81, vcc_lo
	v_cmp_nlt_f32_e32 vcc_lo, 0x42b17218, v1
	v_cndmask_b32_e32 v1, 0x7f800000, v24, vcc_lo
	v_cmp_nlt_f32_e32 vcc_lo, 0x42b17218, v17
	;; [unrolled: 2-line block ×3, first 2 shown]
	s_delay_alu instid0(VALU_DEP_2) | instskip(SKIP_3) | instid1(VALU_DEP_2)
	v_dual_fmac_f32 v17, v9, v1 :: v_dual_cndmask_b32 v2, 0x7f800000, v68
	v_cmp_nlt_f32_e32 vcc_lo, 0x42b17218, v18
	v_cndmask_b32_e32 v18, 0x7f800000, v69, vcc_lo
	v_cmp_nlt_f32_e32 vcc_lo, 0x42b17218, v3
	v_fmac_f32_e32 v18, v10, v2
	v_cndmask_b32_e32 v3, 0x7f800000, v70, vcc_lo
	v_cmp_nlt_f32_e32 vcc_lo, 0x42b17218, v19
	v_cndmask_b32_e32 v19, 0x7f800000, v71, vcc_lo
	v_cmp_nlt_f32_e32 vcc_lo, 0x42b17218, v4
	;; [unrolled: 2-line block ×4, first 2 shown]
	s_delay_alu instid0(VALU_DEP_2)
	v_dual_fmac_f32 v20, v12, v4 :: v_dual_cndmask_b32 v5, 0x7f800000, v74
	v_cmp_nlt_f32_e32 vcc_lo, 0x42b17218, v21
	v_fmac_f32_e32 v19, v11, v3
	v_cndmask_b32_e32 v21, 0x7f800000, v75, vcc_lo
	v_cmp_nlt_f32_e32 vcc_lo, 0x42b17218, v6
	v_cndmask_b32_e32 v6, 0x7f800000, v76, vcc_lo
	v_cmp_nlt_f32_e32 vcc_lo, 0x42b17218, v22
	;; [unrolled: 2-line block ×3, first 2 shown]
	s_delay_alu instid0(VALU_DEP_2) | instskip(SKIP_4) | instid1(VALU_DEP_2)
	v_fmac_f32_e32 v22, v14, v6
	v_cndmask_b32_e32 v7, 0x7f800000, v78, vcc_lo
	v_cmp_nlt_f32_e32 vcc_lo, 0x42b17218, v23
	v_cndmask_b32_e32 v23, 0x7f800000, v79, vcc_lo
	v_cmp_nlt_f32_e32 vcc_lo, 0x42b17218, v8
	v_dual_fmac_f32 v23, v15, v7 :: v_dual_cndmask_b32 v8, 0x7f800000, v80
	v_cmp_nlt_f32_e32 vcc_lo, 0x42b17218, v0
	v_cvt_f16_f32_e32 v0, v1
	v_cvt_f16_f32_e32 v1, v2
	;; [unrolled: 1-line block ×4, first 2 shown]
	v_cndmask_b32_e32 v24, 0x7f800000, v81, vcc_lo
	v_pk_mul_f16 v57, v0, v57 op_sel_hi:[0,1]
	v_pk_mul_f16 v55, v1, v55 op_sel_hi:[0,1]
	;; [unrolled: 1-line block ×4, first 2 shown]
	v_dual_fmac_f32 v24, v16, v8 :: v_dual_fmac_f32 v21, v13, v5
	v_dual_mov_b32 v9, v17 :: v_dual_mov_b32 v10, v18
	v_cvt_f16_f32_e32 v4, v5
	v_cvt_f16_f32_e32 v5, v6
	;; [unrolled: 1-line block ×4, first 2 shown]
	v_pk_mul_f16 v54, v2, v54 op_sel_hi:[0,1]
	v_pk_mul_f16 v51, v3, v51 op_sel_hi:[0,1]
	;; [unrolled: 1-line block ×11, first 2 shown]
	v_mov_b32_e32 v1, v59
	v_pk_mul_f16 v58, v0, v58 op_sel_hi:[0,1]
	v_dual_mov_b32 v11, v19 :: v_dual_mov_b32 v12, v20
	v_dual_mov_b32 v13, v21 :: v_dual_mov_b32 v14, v22
	;; [unrolled: 1-line block ×6, first 2 shown]
	v_mov_b32_e32 v8, v66
	s_mov_b32 s0, exec_lo
	v_cmpx_gt_i32_e64 s38, v26
	s_cbranch_execnz .LBB86_266
	s_branch .LBB86_305
.LBB86_265:
	v_dual_mov_b32 v17, v9 :: v_dual_mov_b32 v18, v10
	v_dual_mov_b32 v19, v11 :: v_dual_mov_b32 v20, v12
	;; [unrolled: 1-line block ×4, first 2 shown]
	s_mov_b32 s0, exec_lo
	v_cmpx_gt_i32_e64 s38, v26
	s_cbranch_execz .LBB86_305
.LBB86_266:
	s_load_b32 s1, s[2:3], 0xd4
	v_mov_b32_e32 v0, 1.0
	s_waitcnt lgkmcnt(0)
	s_cmp_lg_u32 s1, 1
	s_cselect_b32 s4, -1, 0
	s_cmp_eq_u32 s1, 1
	s_cselect_b32 s3, -1, 0
	s_and_b32 vcc_lo, exec_lo, s4
	s_cbranch_vccnz .LBB86_268
; %bb.267:
	v_div_scale_f32 v0, null, v17, v17, 1.0
	s_delay_alu instid0(VALU_DEP_1) | instskip(SKIP_2) | instid1(VALU_DEP_1)
	v_rcp_f32_e32 v26, v0
	s_waitcnt_depctr 0xfff
	v_fma_f32 v59, -v0, v26, 1.0
	v_fmac_f32_e32 v26, v59, v26
	v_div_scale_f32 v59, vcc_lo, 1.0, v17, 1.0
	s_delay_alu instid0(VALU_DEP_1) | instskip(NEXT) | instid1(VALU_DEP_1)
	v_mul_f32_e32 v60, v59, v26
	v_fma_f32 v61, -v0, v60, v59
	s_delay_alu instid0(VALU_DEP_1) | instskip(NEXT) | instid1(VALU_DEP_1)
	v_fmac_f32_e32 v60, v61, v26
	v_fma_f32 v0, -v0, v60, v59
	s_delay_alu instid0(VALU_DEP_1) | instskip(NEXT) | instid1(VALU_DEP_1)
	v_div_fmas_f32 v0, v0, v26, v60
	v_div_fixup_f32 v0, v0, v17, 1.0
.LBB86_268:
	s_mul_i32 s2, s33, s38
	v_cmp_eq_u32_e32 vcc_lo, 0, v41
	s_add_i32 s2, s2, s22
	v_cvt_f32_f16_e32 v41, v57
	v_add_nc_u32_e32 v17, s2, v25
	s_delay_alu instid0(VALU_DEP_1) | instskip(SKIP_3) | instid1(VALU_DEP_2)
	v_mad_u64_u32 v[59:60], null, v17, s39, s[34:35]
	v_mov_b32_e32 v60, 0
	v_lshrrev_b32_e32 v17, 16, v57
	v_mul_f32_e32 v57, v0, v41
	v_cvt_f32_f16_e32 v17, v17
	v_mad_u64_u32 v[25:26], null, s1, v59, s[14:15]
	v_lshrrev_b32_e32 v26, 16, v58
	v_cvt_f32_f16_e32 v58, v58
	s_delay_alu instid0(VALU_DEP_2) | instskip(NEXT) | instid1(VALU_DEP_4)
	v_cvt_f32_f16_e32 v26, v26
	v_lshl_add_u32 v59, v25, 7, v34
	s_delay_alu instid0(VALU_DEP_1) | instskip(NEXT) | instid1(VALU_DEP_4)
	v_lshlrev_b64 v[61:62], 2, v[59:60]
	v_mul_f32_e32 v59, v0, v58
	v_mul_f32_e32 v58, v0, v17
	;; [unrolled: 1-line block ×3, first 2 shown]
	s_delay_alu instid0(VALU_DEP_4) | instskip(NEXT) | instid1(VALU_DEP_1)
	v_add_co_u32 v61, s0, s28, v61
	v_add_co_ci_u32_e64 v62, s0, s29, v62, s0
	s_and_b32 s0, vcc_lo, s4
	global_store_b128 v[61:62], v[57:60], off
	s_and_saveexec_b32 s4, s0
	s_cbranch_execz .LBB86_270
; %bb.269:
	v_ashrrev_i32_e32 v26, 31, v25
	v_mov_b32_e32 v0, v1
	v_mov_b32_e32 v1, v9
	s_delay_alu instid0(VALU_DEP_3) | instskip(NEXT) | instid1(VALU_DEP_1)
	v_lshlrev_b64 v[25:26], 3, v[25:26]
	v_add_co_u32 v25, vcc_lo, s30, v25
	s_delay_alu instid0(VALU_DEP_2)
	v_add_co_ci_u32_e32 v26, vcc_lo, s31, v26, vcc_lo
	global_store_b64 v[25:26], v[0:1], off
.LBB86_270:
	s_or_b32 exec_lo, exec_lo, s4
	v_cmp_gt_i32_e32 vcc_lo, s38, v42
	s_and_b32 exec_lo, exec_lo, vcc_lo
	s_cbranch_execz .LBB86_305
; %bb.271:
	v_cndmask_b32_e64 v17, 0, 1, s3
	v_mov_b32_e32 v9, 1.0
	s_and_not1_b32 vcc_lo, exec_lo, s3
	s_cbranch_vccnz .LBB86_273
; %bb.272:
	v_div_scale_f32 v0, null, v18, v18, 1.0
	s_delay_alu instid0(VALU_DEP_1) | instskip(SKIP_2) | instid1(VALU_DEP_1)
	v_rcp_f32_e32 v1, v0
	s_waitcnt_depctr 0xfff
	v_fma_f32 v9, -v0, v1, 1.0
	v_fmac_f32_e32 v1, v9, v1
	v_div_scale_f32 v9, vcc_lo, 1.0, v18, 1.0
	s_delay_alu instid0(VALU_DEP_1) | instskip(NEXT) | instid1(VALU_DEP_1)
	v_mul_f32_e32 v25, v9, v1
	v_fma_f32 v26, -v0, v25, v9
	s_delay_alu instid0(VALU_DEP_1) | instskip(NEXT) | instid1(VALU_DEP_1)
	v_fmac_f32_e32 v25, v26, v1
	v_fma_f32 v0, -v0, v25, v9
	s_delay_alu instid0(VALU_DEP_1) | instskip(NEXT) | instid1(VALU_DEP_1)
	v_div_fmas_f32 v0, v0, v1, v25
	v_div_fixup_f32 v9, v0, v18, 1.0
.LBB86_273:
	v_cvt_f32_f16_e32 v41, v56
	v_add_nc_u32_e32 v0, s2, v39
	v_cvt_f32_f16_e32 v39, v55
	v_lshrrev_b32_e32 v18, 16, v56
	s_delay_alu instid0(VALU_DEP_4) | instskip(NEXT) | instid1(VALU_DEP_4)
	v_mul_f32_e32 v57, v9, v41
	v_mad_u64_u32 v[25:26], null, v0, s39, s[34:35]
	v_mov_b32_e32 v26, 0
	s_delay_alu instid0(VALU_DEP_4) | instskip(NEXT) | instid1(VALU_DEP_1)
	v_cvt_f32_f16_e32 v18, v18
	v_mul_f32_e32 v58, v9, v18
	s_delay_alu instid0(VALU_DEP_4) | instskip(SKIP_2) | instid1(VALU_DEP_2)
	v_mad_u64_u32 v[0:1], null, s1, v25, s[14:15]
	v_lshrrev_b32_e32 v1, 16, v55
	v_mul_f32_e32 v55, v9, v39
	v_cvt_f32_f16_e32 v1, v1
	s_delay_alu instid0(VALU_DEP_4) | instskip(NEXT) | instid1(VALU_DEP_2)
	v_lshl_add_u32 v25, v0, 7, v34
	v_mul_f32_e32 v56, v9, v1
	s_delay_alu instid0(VALU_DEP_2) | instskip(NEXT) | instid1(VALU_DEP_1)
	v_lshlrev_b64 v[25:26], 2, v[25:26]
	v_add_co_u32 v25, vcc_lo, s28, v25
	s_delay_alu instid0(VALU_DEP_2)
	v_add_co_ci_u32_e32 v26, vcc_lo, s29, v26, vcc_lo
	global_store_b128 v[25:26], v[55:58], off
	s_and_saveexec_b32 s3, s0
	s_cbranch_execz .LBB86_275
; %bb.274:
	v_ashrrev_i32_e32 v1, 31, v0
	v_mov_b32_e32 v9, v2
	s_delay_alu instid0(VALU_DEP_2) | instskip(NEXT) | instid1(VALU_DEP_1)
	v_lshlrev_b64 v[0:1], 3, v[0:1]
	v_add_co_u32 v0, vcc_lo, s30, v0
	s_delay_alu instid0(VALU_DEP_2)
	v_add_co_ci_u32_e32 v1, vcc_lo, s31, v1, vcc_lo
	global_store_b64 v[0:1], v[9:10], off
.LBB86_275:
	s_or_b32 exec_lo, exec_lo, s3
	v_cmp_gt_i32_e32 vcc_lo, s38, v40
	s_and_b32 exec_lo, exec_lo, vcc_lo
	s_cbranch_execz .LBB86_305
; %bb.276:
	v_cmp_ne_u32_e32 vcc_lo, 1, v17
	v_mov_b32_e32 v2, 1.0
	s_cbranch_vccnz .LBB86_278
; %bb.277:
	v_div_scale_f32 v0, null, v19, v19, 1.0
	s_delay_alu instid0(VALU_DEP_1) | instskip(SKIP_2) | instid1(VALU_DEP_1)
	v_rcp_f32_e32 v1, v0
	s_waitcnt_depctr 0xfff
	v_fma_f32 v2, -v0, v1, 1.0
	v_fmac_f32_e32 v1, v2, v1
	v_div_scale_f32 v2, vcc_lo, 1.0, v19, 1.0
	s_delay_alu instid0(VALU_DEP_1) | instskip(NEXT) | instid1(VALU_DEP_1)
	v_mul_f32_e32 v9, v2, v1
	v_fma_f32 v10, -v0, v9, v2
	s_delay_alu instid0(VALU_DEP_1) | instskip(NEXT) | instid1(VALU_DEP_1)
	v_fmac_f32_e32 v9, v10, v1
	v_fma_f32 v0, -v0, v9, v2
	s_delay_alu instid0(VALU_DEP_1) | instskip(NEXT) | instid1(VALU_DEP_1)
	v_div_fmas_f32 v0, v0, v1, v9
	v_div_fixup_f32 v2, v0, v19, 1.0
.LBB86_278:
	v_cvt_f32_f16_e32 v19, v53
	v_add_nc_u32_e32 v0, s2, v37
	v_cvt_f32_f16_e32 v25, v54
	v_lshrrev_b32_e32 v18, 16, v54
	s_delay_alu instid0(VALU_DEP_4) | instskip(NEXT) | instid1(VALU_DEP_4)
	v_mul_f32_e32 v39, v2, v19
	v_mad_u64_u32 v[9:10], null, v0, s39, s[34:35]
	s_delay_alu instid0(VALU_DEP_4) | instskip(NEXT) | instid1(VALU_DEP_4)
	v_dual_mov_b32 v10, 0 :: v_dual_mul_f32 v41, v2, v25
	v_cvt_f32_f16_e32 v18, v18
	s_delay_alu instid0(VALU_DEP_3) | instskip(SKIP_1) | instid1(VALU_DEP_3)
	v_mad_u64_u32 v[0:1], null, s1, v9, s[14:15]
	v_lshrrev_b32_e32 v1, 16, v53
	v_mul_f32_e32 v42, v2, v18
	s_delay_alu instid0(VALU_DEP_2) | instskip(NEXT) | instid1(VALU_DEP_4)
	v_cvt_f32_f16_e32 v1, v1
	v_lshl_add_u32 v9, v0, 7, v34
	s_delay_alu instid0(VALU_DEP_2) | instskip(NEXT) | instid1(VALU_DEP_2)
	v_mul_f32_e32 v40, v2, v1
	v_lshlrev_b64 v[9:10], 2, v[9:10]
	s_delay_alu instid0(VALU_DEP_1) | instskip(NEXT) | instid1(VALU_DEP_2)
	v_add_co_u32 v1, vcc_lo, s28, v9
	v_add_co_ci_u32_e32 v2, vcc_lo, s29, v10, vcc_lo
	global_store_b128 v[1:2], v[39:42], off
	s_and_saveexec_b32 s3, s0
	s_cbranch_execz .LBB86_280
; %bb.279:
	v_ashrrev_i32_e32 v1, 31, v0
	v_mov_b32_e32 v10, v3
	s_delay_alu instid0(VALU_DEP_2) | instskip(NEXT) | instid1(VALU_DEP_1)
	v_lshlrev_b64 v[0:1], 3, v[0:1]
	v_add_co_u32 v0, vcc_lo, s30, v0
	s_delay_alu instid0(VALU_DEP_2)
	v_add_co_ci_u32_e32 v1, vcc_lo, s31, v1, vcc_lo
	global_store_b64 v[0:1], v[10:11], off
.LBB86_280:
	s_or_b32 exec_lo, exec_lo, s3
	v_cmp_gt_i32_e32 vcc_lo, s38, v38
	s_and_b32 exec_lo, exec_lo, vcc_lo
	s_cbranch_execz .LBB86_305
; %bb.281:
	v_cmp_ne_u32_e32 vcc_lo, 1, v17
	v_mov_b32_e32 v2, 1.0
	s_cbranch_vccnz .LBB86_283
; %bb.282:
	v_div_scale_f32 v0, null, v20, v20, 1.0
	s_delay_alu instid0(VALU_DEP_1) | instskip(SKIP_2) | instid1(VALU_DEP_1)
	v_rcp_f32_e32 v1, v0
	s_waitcnt_depctr 0xfff
	v_fma_f32 v2, -v0, v1, 1.0
	v_fmac_f32_e32 v1, v2, v1
	v_div_scale_f32 v2, vcc_lo, 1.0, v20, 1.0
	s_delay_alu instid0(VALU_DEP_1) | instskip(NEXT) | instid1(VALU_DEP_1)
	v_mul_f32_e32 v3, v2, v1
	v_fma_f32 v9, -v0, v3, v2
	s_delay_alu instid0(VALU_DEP_1) | instskip(NEXT) | instid1(VALU_DEP_1)
	v_fmac_f32_e32 v3, v9, v1
	v_fma_f32 v0, -v0, v3, v2
	s_delay_alu instid0(VALU_DEP_1) | instskip(NEXT) | instid1(VALU_DEP_1)
	v_div_fmas_f32 v0, v0, v1, v3
	v_div_fixup_f32 v2, v0, v20, 1.0
.LBB86_283:
	v_cvt_f32_f16_e32 v18, v52
	v_add_nc_u32_e32 v0, s2, v35
	v_cvt_f32_f16_e32 v11, v51
	v_lshrrev_b32_e32 v3, 16, v52
	s_delay_alu instid0(VALU_DEP_4) | instskip(NEXT) | instid1(VALU_DEP_4)
	v_mul_f32_e32 v39, v2, v18
	v_mad_u64_u32 v[9:10], null, v0, s39, s[34:35]
	s_delay_alu instid0(VALU_DEP_4) | instskip(NEXT) | instid1(VALU_DEP_4)
	v_dual_mov_b32 v10, 0 :: v_dual_mul_f32 v37, v2, v11
	v_cvt_f32_f16_e32 v3, v3
	s_delay_alu instid0(VALU_DEP_3) | instskip(SKIP_1) | instid1(VALU_DEP_3)
	v_mad_u64_u32 v[0:1], null, s1, v9, s[14:15]
	v_lshrrev_b32_e32 v1, 16, v51
	v_mul_f32_e32 v40, v2, v3
	s_delay_alu instid0(VALU_DEP_2) | instskip(NEXT) | instid1(VALU_DEP_4)
	v_cvt_f32_f16_e32 v1, v1
	v_lshl_add_u32 v9, v0, 7, v34
	s_delay_alu instid0(VALU_DEP_2) | instskip(NEXT) | instid1(VALU_DEP_2)
	v_mul_f32_e32 v38, v2, v1
	v_lshlrev_b64 v[9:10], 2, v[9:10]
	s_delay_alu instid0(VALU_DEP_1) | instskip(NEXT) | instid1(VALU_DEP_2)
	v_add_co_u32 v1, vcc_lo, s28, v9
	v_add_co_ci_u32_e32 v2, vcc_lo, s29, v10, vcc_lo
	global_store_b128 v[1:2], v[37:40], off
	s_and_saveexec_b32 s3, s0
	s_cbranch_execz .LBB86_285
; %bb.284:
	v_ashrrev_i32_e32 v1, 31, v0
	v_mov_b32_e32 v11, v4
	s_delay_alu instid0(VALU_DEP_2) | instskip(NEXT) | instid1(VALU_DEP_1)
	v_lshlrev_b64 v[0:1], 3, v[0:1]
	v_add_co_u32 v0, vcc_lo, s30, v0
	s_delay_alu instid0(VALU_DEP_2)
	v_add_co_ci_u32_e32 v1, vcc_lo, s31, v1, vcc_lo
	global_store_b64 v[0:1], v[11:12], off
.LBB86_285:
	s_or_b32 exec_lo, exec_lo, s3
	v_cmp_gt_i32_e32 vcc_lo, s38, v36
	s_and_b32 exec_lo, exec_lo, vcc_lo
	s_cbranch_execz .LBB86_305
; %bb.286:
	v_cmp_ne_u32_e32 vcc_lo, 1, v17
	v_mov_b32_e32 v2, 1.0
	s_cbranch_vccnz .LBB86_288
; %bb.287:
	v_div_scale_f32 v0, null, v21, v21, 1.0
	s_delay_alu instid0(VALU_DEP_1) | instskip(SKIP_2) | instid1(VALU_DEP_1)
	v_rcp_f32_e32 v1, v0
	s_waitcnt_depctr 0xfff
	v_fma_f32 v2, -v0, v1, 1.0
	v_fmac_f32_e32 v1, v2, v1
	v_div_scale_f32 v2, vcc_lo, 1.0, v21, 1.0
	s_delay_alu instid0(VALU_DEP_1) | instskip(NEXT) | instid1(VALU_DEP_1)
	v_mul_f32_e32 v3, v2, v1
	v_fma_f32 v4, -v0, v3, v2
	s_delay_alu instid0(VALU_DEP_1) | instskip(NEXT) | instid1(VALU_DEP_1)
	v_fmac_f32_e32 v3, v4, v1
	v_fma_f32 v0, -v0, v3, v2
	s_delay_alu instid0(VALU_DEP_1) | instskip(NEXT) | instid1(VALU_DEP_1)
	v_div_fmas_f32 v0, v0, v1, v3
	v_div_fixup_f32 v2, v0, v21, 1.0
.LBB86_288:
	v_lshrrev_b32_e32 v9, 16, v49
	v_cvt_f32_f16_e32 v10, v50
	v_add_nc_u32_e32 v0, s2, v33
	v_cvt_f32_f16_e32 v11, v49
	s_delay_alu instid0(VALU_DEP_4) | instskip(NEXT) | instid1(VALU_DEP_4)
	v_cvt_f32_f16_e32 v12, v9
	v_mul_f32_e32 v9, v2, v10
	s_delay_alu instid0(VALU_DEP_4) | instskip(NEXT) | instid1(VALU_DEP_4)
	v_mad_u64_u32 v[3:4], null, v0, s39, s[34:35]
	v_dual_mov_b32 v4, 0 :: v_dual_mul_f32 v11, v2, v11
	s_delay_alu instid0(VALU_DEP_4) | instskip(NEXT) | instid1(VALU_DEP_3)
	v_mul_f32_e32 v12, v2, v12
	v_mad_u64_u32 v[0:1], null, s1, v3, s[14:15]
	v_lshrrev_b32_e32 v1, 16, v50
	s_delay_alu instid0(VALU_DEP_1) | instskip(NEXT) | instid1(VALU_DEP_3)
	v_cvt_f32_f16_e32 v1, v1
	v_lshl_add_u32 v3, v0, 7, v34
	s_delay_alu instid0(VALU_DEP_2) | instskip(NEXT) | instid1(VALU_DEP_2)
	v_mul_f32_e32 v10, v2, v1
	v_lshlrev_b64 v[3:4], 2, v[3:4]
	s_delay_alu instid0(VALU_DEP_1) | instskip(NEXT) | instid1(VALU_DEP_2)
	v_add_co_u32 v1, vcc_lo, s28, v3
	v_add_co_ci_u32_e32 v2, vcc_lo, s29, v4, vcc_lo
	global_store_b128 v[1:2], v[9:12], off
	s_and_saveexec_b32 s3, s0
	s_cbranch_execz .LBB86_290
; %bb.289:
	v_ashrrev_i32_e32 v1, 31, v0
	v_mov_b32_e32 v12, v5
	s_delay_alu instid0(VALU_DEP_2) | instskip(NEXT) | instid1(VALU_DEP_1)
	v_lshlrev_b64 v[0:1], 3, v[0:1]
	v_add_co_u32 v0, vcc_lo, s30, v0
	s_delay_alu instid0(VALU_DEP_2)
	v_add_co_ci_u32_e32 v1, vcc_lo, s31, v1, vcc_lo
	global_store_b64 v[0:1], v[12:13], off
.LBB86_290:
	s_or_b32 exec_lo, exec_lo, s3
	v_cmp_gt_i32_e32 vcc_lo, s38, v32
	s_and_b32 exec_lo, exec_lo, vcc_lo
	s_cbranch_execz .LBB86_305
; %bb.291:
	v_cmp_ne_u32_e32 vcc_lo, 1, v17
	v_mov_b32_e32 v2, 1.0
	s_cbranch_vccnz .LBB86_293
; %bb.292:
	v_div_scale_f32 v0, null, v22, v22, 1.0
	s_delay_alu instid0(VALU_DEP_1) | instskip(SKIP_2) | instid1(VALU_DEP_1)
	v_rcp_f32_e32 v1, v0
	s_waitcnt_depctr 0xfff
	v_fma_f32 v2, -v0, v1, 1.0
	v_fmac_f32_e32 v1, v2, v1
	v_div_scale_f32 v2, vcc_lo, 1.0, v22, 1.0
	s_delay_alu instid0(VALU_DEP_1) | instskip(NEXT) | instid1(VALU_DEP_1)
	v_mul_f32_e32 v3, v2, v1
	v_fma_f32 v4, -v0, v3, v2
	s_delay_alu instid0(VALU_DEP_1) | instskip(NEXT) | instid1(VALU_DEP_1)
	v_fmac_f32_e32 v3, v4, v1
	v_fma_f32 v0, -v0, v3, v2
	s_delay_alu instid0(VALU_DEP_1) | instskip(NEXT) | instid1(VALU_DEP_1)
	v_div_fmas_f32 v0, v0, v1, v3
	v_div_fixup_f32 v2, v0, v22, 1.0
.LBB86_293:
	v_cvt_f32_f16_e32 v9, v47
	v_add_nc_u32_e32 v0, s2, v30
	v_cvt_f32_f16_e32 v10, v48
	v_lshrrev_b32_e32 v5, 16, v48
	s_delay_alu instid0(VALU_DEP_4) | instskip(NEXT) | instid1(VALU_DEP_4)
	v_mul_f32_e32 v9, v2, v9
	v_mad_u64_u32 v[3:4], null, v0, s39, s[34:35]
	s_delay_alu instid0(VALU_DEP_4) | instskip(NEXT) | instid1(VALU_DEP_4)
	v_dual_mov_b32 v4, 0 :: v_dual_mul_f32 v11, v2, v10
	v_cvt_f32_f16_e32 v5, v5
	s_delay_alu instid0(VALU_DEP_3) | instskip(SKIP_1) | instid1(VALU_DEP_3)
	v_mad_u64_u32 v[0:1], null, s1, v3, s[14:15]
	v_lshrrev_b32_e32 v1, 16, v47
	v_mul_f32_e32 v12, v2, v5
	s_delay_alu instid0(VALU_DEP_2) | instskip(NEXT) | instid1(VALU_DEP_4)
	v_cvt_f32_f16_e32 v1, v1
	v_lshl_add_u32 v3, v0, 7, v34
	s_delay_alu instid0(VALU_DEP_2) | instskip(NEXT) | instid1(VALU_DEP_2)
	v_mul_f32_e32 v10, v2, v1
	v_lshlrev_b64 v[3:4], 2, v[3:4]
	s_delay_alu instid0(VALU_DEP_1) | instskip(NEXT) | instid1(VALU_DEP_2)
	v_add_co_u32 v1, vcc_lo, s28, v3
	v_add_co_ci_u32_e32 v2, vcc_lo, s29, v4, vcc_lo
	global_store_b128 v[1:2], v[9:12], off
	s_and_saveexec_b32 s3, s0
	s_cbranch_execz .LBB86_295
; %bb.294:
	v_ashrrev_i32_e32 v1, 31, v0
	v_mov_b32_e32 v13, v6
	s_delay_alu instid0(VALU_DEP_2) | instskip(NEXT) | instid1(VALU_DEP_1)
	v_lshlrev_b64 v[0:1], 3, v[0:1]
	v_add_co_u32 v0, vcc_lo, s30, v0
	s_delay_alu instid0(VALU_DEP_2)
	v_add_co_ci_u32_e32 v1, vcc_lo, s31, v1, vcc_lo
	global_store_b64 v[0:1], v[13:14], off
.LBB86_295:
	s_or_b32 exec_lo, exec_lo, s3
	v_cmp_gt_i32_e32 vcc_lo, s38, v31
	s_and_b32 exec_lo, exec_lo, vcc_lo
	s_cbranch_execz .LBB86_305
; %bb.296:
	v_cmp_ne_u32_e32 vcc_lo, 1, v17
	v_mov_b32_e32 v2, 1.0
	s_cbranch_vccnz .LBB86_298
; %bb.297:
	v_div_scale_f32 v0, null, v23, v23, 1.0
	s_delay_alu instid0(VALU_DEP_1) | instskip(SKIP_2) | instid1(VALU_DEP_1)
	v_rcp_f32_e32 v1, v0
	s_waitcnt_depctr 0xfff
	v_fma_f32 v2, -v0, v1, 1.0
	v_fmac_f32_e32 v1, v2, v1
	v_div_scale_f32 v2, vcc_lo, 1.0, v23, 1.0
	s_delay_alu instid0(VALU_DEP_1) | instskip(NEXT) | instid1(VALU_DEP_1)
	v_mul_f32_e32 v3, v2, v1
	v_fma_f32 v4, -v0, v3, v2
	s_delay_alu instid0(VALU_DEP_1) | instskip(NEXT) | instid1(VALU_DEP_1)
	v_fmac_f32_e32 v3, v4, v1
	v_fma_f32 v0, -v0, v3, v2
	s_delay_alu instid0(VALU_DEP_1) | instskip(NEXT) | instid1(VALU_DEP_1)
	v_div_fmas_f32 v0, v0, v1, v3
	v_div_fixup_f32 v2, v0, v23, 1.0
.LBB86_298:
	v_cvt_f32_f16_e32 v6, v45
	v_add_nc_u32_e32 v0, s2, v29
	v_lshrrev_b32_e32 v5, 16, v46
	v_cvt_f32_f16_e32 v11, v46
	s_delay_alu instid0(VALU_DEP_3) | instskip(SKIP_1) | instid1(VALU_DEP_4)
	v_mad_u64_u32 v[3:4], null, v0, s39, s[34:35]
	v_mov_b32_e32 v4, 0
	v_cvt_f32_f16_e32 v12, v5
	s_delay_alu instid0(VALU_DEP_4) | instskip(NEXT) | instid1(VALU_DEP_4)
	v_mul_f32_e32 v5, v2, v11
	v_mad_u64_u32 v[0:1], null, s1, v3, s[14:15]
	v_lshrrev_b32_e32 v1, 16, v45
	s_delay_alu instid0(VALU_DEP_1) | instskip(NEXT) | instid1(VALU_DEP_3)
	v_cvt_f32_f16_e32 v1, v1
	v_lshl_add_u32 v3, v0, 7, v34
	s_delay_alu instid0(VALU_DEP_1) | instskip(NEXT) | instid1(VALU_DEP_3)
	v_lshlrev_b64 v[9:10], 2, v[3:4]
	v_mul_f32_e32 v4, v2, v1
	v_mul_f32_e32 v3, v2, v6
	;; [unrolled: 1-line block ×3, first 2 shown]
	s_delay_alu instid0(VALU_DEP_4)
	v_add_co_u32 v1, vcc_lo, s28, v9
	v_add_co_ci_u32_e32 v2, vcc_lo, s29, v10, vcc_lo
	global_store_b128 v[1:2], v[3:6], off
	s_and_saveexec_b32 s3, s0
	s_cbranch_execz .LBB86_300
; %bb.299:
	v_ashrrev_i32_e32 v1, 31, v0
	v_mov_b32_e32 v14, v7
	s_delay_alu instid0(VALU_DEP_2) | instskip(NEXT) | instid1(VALU_DEP_1)
	v_lshlrev_b64 v[0:1], 3, v[0:1]
	v_add_co_u32 v0, vcc_lo, s30, v0
	s_delay_alu instid0(VALU_DEP_2)
	v_add_co_ci_u32_e32 v1, vcc_lo, s31, v1, vcc_lo
	global_store_b64 v[0:1], v[14:15], off
.LBB86_300:
	s_or_b32 exec_lo, exec_lo, s3
	v_cmp_gt_i32_e32 vcc_lo, s38, v28
	s_and_b32 exec_lo, exec_lo, vcc_lo
	s_cbranch_execz .LBB86_305
; %bb.301:
	v_cmp_ne_u32_e32 vcc_lo, 1, v17
	v_mov_b32_e32 v2, 1.0
	s_cbranch_vccnz .LBB86_303
; %bb.302:
	v_div_scale_f32 v0, null, v24, v24, 1.0
	s_delay_alu instid0(VALU_DEP_1) | instskip(SKIP_2) | instid1(VALU_DEP_1)
	v_rcp_f32_e32 v1, v0
	s_waitcnt_depctr 0xfff
	v_fma_f32 v2, -v0, v1, 1.0
	v_fmac_f32_e32 v1, v2, v1
	v_div_scale_f32 v2, vcc_lo, 1.0, v24, 1.0
	s_delay_alu instid0(VALU_DEP_1) | instskip(NEXT) | instid1(VALU_DEP_1)
	v_mul_f32_e32 v3, v2, v1
	v_fma_f32 v4, -v0, v3, v2
	s_delay_alu instid0(VALU_DEP_1) | instskip(NEXT) | instid1(VALU_DEP_1)
	v_fmac_f32_e32 v3, v4, v1
	v_fma_f32 v0, -v0, v3, v2
	s_delay_alu instid0(VALU_DEP_1) | instskip(NEXT) | instid1(VALU_DEP_1)
	v_div_fmas_f32 v0, v0, v1, v3
	v_div_fixup_f32 v2, v0, v24, 1.0
.LBB86_303:
	v_cvt_f32_f16_e32 v6, v44
	v_add_nc_u32_e32 v0, s2, v27
	v_lshrrev_b32_e32 v5, 16, v43
	v_cvt_f32_f16_e32 v7, v43
	s_delay_alu instid0(VALU_DEP_3) | instskip(SKIP_1) | instid1(VALU_DEP_4)
	v_mad_u64_u32 v[3:4], null, v0, s39, s[34:35]
	v_mov_b32_e32 v4, 0
	v_cvt_f32_f16_e32 v11, v5
	s_delay_alu instid0(VALU_DEP_4) | instskip(NEXT) | instid1(VALU_DEP_4)
	v_mul_f32_e32 v5, v2, v7
	v_mad_u64_u32 v[0:1], null, s1, v3, s[14:15]
	v_lshrrev_b32_e32 v1, 16, v44
	s_delay_alu instid0(VALU_DEP_1) | instskip(NEXT) | instid1(VALU_DEP_3)
	v_cvt_f32_f16_e32 v1, v1
	v_lshl_add_u32 v3, v0, 7, v34
	s_delay_alu instid0(VALU_DEP_1) | instskip(NEXT) | instid1(VALU_DEP_3)
	v_lshlrev_b64 v[9:10], 2, v[3:4]
	v_mul_f32_e32 v4, v2, v1
	v_mul_f32_e32 v3, v2, v6
	;; [unrolled: 1-line block ×3, first 2 shown]
	s_delay_alu instid0(VALU_DEP_4)
	v_add_co_u32 v1, vcc_lo, s28, v9
	v_add_co_ci_u32_e32 v2, vcc_lo, s29, v10, vcc_lo
	global_store_b128 v[1:2], v[3:6], off
	s_and_b32 exec_lo, exec_lo, s0
	s_cbranch_execz .LBB86_305
; %bb.304:
	v_ashrrev_i32_e32 v1, 31, v0
	v_mov_b32_e32 v15, v8
	s_delay_alu instid0(VALU_DEP_2) | instskip(NEXT) | instid1(VALU_DEP_1)
	v_lshlrev_b64 v[0:1], 3, v[0:1]
	v_add_co_u32 v0, vcc_lo, s30, v0
	s_delay_alu instid0(VALU_DEP_2)
	v_add_co_ci_u32_e32 v1, vcc_lo, s31, v1, vcc_lo
	global_store_b64 v[0:1], v[15:16], off
	s_nop 0
	s_sendmsg sendmsg(MSG_DEALLOC_VGPRS)
	s_endpgm
.LBB86_305:
	s_nop 0
	s_sendmsg sendmsg(MSG_DEALLOC_VGPRS)
	s_endpgm
	.section	.rodata,"a",@progbits
	.p2align	6, 0x0
	.amdhsa_kernel _ZL15flash_attn_tileILi128ELi128ELi64ELi1ELb1EEvPKcS1_S1_S1_S1_PKiPfP15HIP_vector_typeIfLj2EEffffjfiS5_IjLj3EEiiiiiiiiiiiliiliiiiil
		.amdhsa_group_segment_fixed_size 41984
		.amdhsa_private_segment_fixed_size 0
		.amdhsa_kernarg_size 464
		.amdhsa_user_sgpr_count 13
		.amdhsa_user_sgpr_dispatch_ptr 1
		.amdhsa_user_sgpr_queue_ptr 0
		.amdhsa_user_sgpr_kernarg_segment_ptr 1
		.amdhsa_user_sgpr_dispatch_id 0
		.amdhsa_user_sgpr_private_segment_size 0
		.amdhsa_wavefront_size32 1
		.amdhsa_uses_dynamic_stack 0
		.amdhsa_enable_private_segment 0
		.amdhsa_system_sgpr_workgroup_id_x 1
		.amdhsa_system_sgpr_workgroup_id_y 1
		.amdhsa_system_sgpr_workgroup_id_z 1
		.amdhsa_system_sgpr_workgroup_info 0
		.amdhsa_system_vgpr_workitem_id 2
		.amdhsa_next_free_vgpr 234
		.amdhsa_next_free_sgpr 50
		.amdhsa_reserve_vcc 1
		.amdhsa_float_round_mode_32 0
		.amdhsa_float_round_mode_16_64 0
		.amdhsa_float_denorm_mode_32 3
		.amdhsa_float_denorm_mode_16_64 3
		.amdhsa_dx10_clamp 1
		.amdhsa_ieee_mode 1
		.amdhsa_fp16_overflow 0
		.amdhsa_workgroup_processor_mode 1
		.amdhsa_memory_ordered 1
		.amdhsa_forward_progress 0
		.amdhsa_shared_vgpr_count 0
		.amdhsa_exception_fp_ieee_invalid_op 0
		.amdhsa_exception_fp_denorm_src 0
		.amdhsa_exception_fp_ieee_div_zero 0
		.amdhsa_exception_fp_ieee_overflow 0
		.amdhsa_exception_fp_ieee_underflow 0
		.amdhsa_exception_fp_ieee_inexact 0
		.amdhsa_exception_int_div_zero 0
	.end_amdhsa_kernel
	.section	.text._ZL15flash_attn_tileILi128ELi128ELi64ELi1ELb1EEvPKcS1_S1_S1_S1_PKiPfP15HIP_vector_typeIfLj2EEffffjfiS5_IjLj3EEiiiiiiiiiiiliiliiiiil,"axG",@progbits,_ZL15flash_attn_tileILi128ELi128ELi64ELi1ELb1EEvPKcS1_S1_S1_S1_PKiPfP15HIP_vector_typeIfLj2EEffffjfiS5_IjLj3EEiiiiiiiiiiiliiliiiiil,comdat
.Lfunc_end86:
	.size	_ZL15flash_attn_tileILi128ELi128ELi64ELi1ELb1EEvPKcS1_S1_S1_S1_PKiPfP15HIP_vector_typeIfLj2EEffffjfiS5_IjLj3EEiiiiiiiiiiiliiliiiiil, .Lfunc_end86-_ZL15flash_attn_tileILi128ELi128ELi64ELi1ELb1EEvPKcS1_S1_S1_S1_PKiPfP15HIP_vector_typeIfLj2EEffffjfiS5_IjLj3EEiiiiiiiiiiiliiliiiiil
                                        ; -- End function
	.section	.AMDGPU.csdata,"",@progbits
; Kernel info:
; codeLenInByte = 95024
; NumSgprs: 52
; NumVgprs: 234
; ScratchSize: 0
; MemoryBound: 0
; FloatMode: 240
; IeeeMode: 1
; LDSByteSize: 41984 bytes/workgroup (compile time only)
; SGPRBlocks: 6
; VGPRBlocks: 29
; NumSGPRsForWavesPerEU: 52
; NumVGPRsForWavesPerEU: 234
; Occupancy: 6
; WaveLimiterHint : 0
; COMPUTE_PGM_RSRC2:SCRATCH_EN: 0
; COMPUTE_PGM_RSRC2:USER_SGPR: 13
; COMPUTE_PGM_RSRC2:TRAP_HANDLER: 0
; COMPUTE_PGM_RSRC2:TGID_X_EN: 1
; COMPUTE_PGM_RSRC2:TGID_Y_EN: 1
; COMPUTE_PGM_RSRC2:TGID_Z_EN: 1
; COMPUTE_PGM_RSRC2:TIDIG_COMP_CNT: 2
	.section	.text._ZL15flash_attn_tileILi128ELi128ELi32ELi1ELb1EEvPKcS1_S1_S1_S1_PKiPfP15HIP_vector_typeIfLj2EEffffjfiS5_IjLj3EEiiiiiiiiiiiliiliiiiil,"axG",@progbits,_ZL15flash_attn_tileILi128ELi128ELi32ELi1ELb1EEvPKcS1_S1_S1_S1_PKiPfP15HIP_vector_typeIfLj2EEffffjfiS5_IjLj3EEiiiiiiiiiiiliiliiiiil,comdat
	.globl	_ZL15flash_attn_tileILi128ELi128ELi32ELi1ELb1EEvPKcS1_S1_S1_S1_PKiPfP15HIP_vector_typeIfLj2EEffffjfiS5_IjLj3EEiiiiiiiiiiiliiliiiiil ; -- Begin function _ZL15flash_attn_tileILi128ELi128ELi32ELi1ELb1EEvPKcS1_S1_S1_S1_PKiPfP15HIP_vector_typeIfLj2EEffffjfiS5_IjLj3EEiiiiiiiiiiiliiliiiiil
	.p2align	8
	.type	_ZL15flash_attn_tileILi128ELi128ELi32ELi1ELb1EEvPKcS1_S1_S1_S1_PKiPfP15HIP_vector_typeIfLj2EEffffjfiS5_IjLj3EEiiiiiiiiiiiliiliiiiil,@function
_ZL15flash_attn_tileILi128ELi128ELi32ELi1ELb1EEvPKcS1_S1_S1_S1_PKiPfP15HIP_vector_typeIfLj2EEffffjfiS5_IjLj3EEiiiiiiiiiiiliiliiiiil: ; @_ZL15flash_attn_tileILi128ELi128ELi32ELi1ELb1EEvPKcS1_S1_S1_S1_PKiPfP15HIP_vector_typeIfLj2EEffffjfiS5_IjLj3EEiiiiiiiiiiiliiliiiiil
; %bb.0:
	s_clause 0x3
	s_load_b128 s[36:39], s[2:3], 0x5c
	s_load_b64 s[42:43], s[2:3], 0x80
	s_load_b512 s[16:31], s[2:3], 0x0
	s_load_b64 s[44:45], s[2:3], 0xb8
	s_mov_b64 s[40:41], 0
	s_waitcnt lgkmcnt(0)
	v_cvt_f32_u32_e32 v1, s39
	s_sub_i32 s5, 0, s39
	s_delay_alu instid0(VALU_DEP_1) | instskip(SKIP_2) | instid1(VALU_DEP_1)
	v_rcp_iflag_f32_e32 v1, v1
	s_waitcnt_depctr 0xfff
	v_mul_f32_e32 v1, 0x4f7ffffe, v1
	v_cvt_u32_f32_e32 v1, v1
	s_delay_alu instid0(VALU_DEP_1) | instskip(NEXT) | instid1(VALU_DEP_1)
	v_readfirstlane_b32 s4, v1
	s_mul_i32 s5, s5, s4
	s_delay_alu instid0(SALU_CYCLE_1) | instskip(NEXT) | instid1(SALU_CYCLE_1)
	s_mul_hi_u32 s5, s4, s5
	s_add_i32 s4, s4, s5
	s_delay_alu instid0(SALU_CYCLE_1) | instskip(NEXT) | instid1(SALU_CYCLE_1)
	s_mul_hi_u32 s4, s15, s4
	s_mul_i32 s5, s4, s39
	s_add_i32 s6, s4, 1
	s_sub_i32 s5, s15, s5
	s_delay_alu instid0(SALU_CYCLE_1)
	s_sub_i32 s7, s5, s39
	s_cmp_ge_u32 s5, s39
	s_cselect_b32 s4, s6, s4
	s_cselect_b32 s5, s7, s5
	s_add_i32 s6, s4, 1
	s_cmp_ge_u32 s5, s39
	s_cselect_b32 s33, s6, s4
	s_abs_i32 s4, s43
	s_abs_i32 s8, s39
	v_cvt_f32_u32_e32 v1, s4
	s_sub_i32 s6, 0, s4
	s_mul_i32 s7, s33, s39
	s_delay_alu instid0(SALU_CYCLE_1) | instskip(NEXT) | instid1(VALU_DEP_1)
	s_sub_i32 s34, s15, s7
	v_rcp_iflag_f32_e32 v1, v1
	s_waitcnt_depctr 0xfff
	v_mul_f32_e32 v1, 0x4f7ffffe, v1
	s_delay_alu instid0(VALU_DEP_1) | instskip(NEXT) | instid1(VALU_DEP_1)
	v_cvt_u32_f32_e32 v1, v1
	v_readfirstlane_b32 s5, v1
	s_delay_alu instid0(VALU_DEP_1) | instskip(NEXT) | instid1(SALU_CYCLE_1)
	s_mul_i32 s6, s6, s5
	s_mul_hi_u32 s6, s5, s6
	s_delay_alu instid0(SALU_CYCLE_1) | instskip(SKIP_4) | instid1(SALU_CYCLE_1)
	s_add_i32 s5, s5, s6
	s_xor_b32 s6, s39, s43
	s_mul_hi_u32 s5, s8, s5
	s_ashr_i32 s6, s6, 31
	s_mul_i32 s7, s5, s4
	s_sub_i32 s7, s8, s7
	s_add_i32 s8, s5, 1
	s_sub_i32 s9, s7, s4
	s_cmp_ge_u32 s7, s4
	s_cselect_b32 s5, s8, s5
	s_cselect_b32 s7, s9, s7
	s_add_i32 s8, s5, 1
	s_cmp_ge_u32 s7, s4
	s_cselect_b32 s4, s8, s5
	s_abs_i32 s15, s34
	s_xor_b32 s4, s4, s6
	s_delay_alu instid0(SALU_CYCLE_1) | instskip(NEXT) | instid1(SALU_CYCLE_1)
	s_sub_i32 s43, s4, s6
	s_abs_i32 s12, s43
	s_delay_alu instid0(SALU_CYCLE_1) | instskip(SKIP_1) | instid1(VALU_DEP_1)
	v_cvt_f32_u32_e32 v1, s12
	s_sub_i32 s5, 0, s12
	v_rcp_iflag_f32_e32 v1, v1
	s_waitcnt_depctr 0xfff
	v_mul_f32_e32 v1, 0x4f7ffffe, v1
	s_delay_alu instid0(VALU_DEP_1) | instskip(NEXT) | instid1(VALU_DEP_1)
	v_cvt_u32_f32_e32 v1, v1
	v_readfirstlane_b32 s4, v1
	s_delay_alu instid0(VALU_DEP_1) | instskip(NEXT) | instid1(SALU_CYCLE_1)
	s_mul_i32 s5, s5, s4
	s_mul_hi_u32 s5, s4, s5
	s_delay_alu instid0(SALU_CYCLE_1)
	s_add_i32 s4, s4, s5
	s_cmp_eq_u64 s[22:23], 0
	s_cbranch_scc1 .LBB87_2
; %bb.1:
	s_abs_i32 s5, s44
	s_abs_i32 s8, s33
	v_cvt_f32_u32_e32 v1, s5
	s_sub_i32 s7, 0, s5
	s_delay_alu instid0(VALU_DEP_1) | instskip(SKIP_2) | instid1(VALU_DEP_1)
	v_rcp_iflag_f32_e32 v1, v1
	s_waitcnt_depctr 0xfff
	v_mul_f32_e32 v1, 0x4f7ffffe, v1
	v_cvt_u32_f32_e32 v1, v1
	s_delay_alu instid0(VALU_DEP_1) | instskip(NEXT) | instid1(VALU_DEP_1)
	v_readfirstlane_b32 s6, v1
	s_mul_i32 s7, s7, s6
	s_delay_alu instid0(SALU_CYCLE_1) | instskip(NEXT) | instid1(SALU_CYCLE_1)
	s_mul_hi_u32 s7, s6, s7
	s_add_i32 s9, s6, s7
	s_load_b64 s[6:7], s[2:3], 0xc8
	s_mul_hi_u32 s9, s8, s9
	s_delay_alu instid0(SALU_CYCLE_1) | instskip(NEXT) | instid1(SALU_CYCLE_1)
	s_mul_i32 s9, s9, s5
	s_sub_i32 s8, s8, s9
	s_ashr_i32 s9, s33, 31
	s_sub_i32 s10, s8, s5
	s_cmp_ge_u32 s8, s5
	s_cselect_b32 s8, s10, s8
	s_delay_alu instid0(SALU_CYCLE_1) | instskip(SKIP_2) | instid1(SALU_CYCLE_1)
	s_sub_i32 s10, s8, s5
	s_cmp_ge_u32 s8, s5
	s_cselect_b32 s5, s10, s8
	s_xor_b32 s5, s5, s9
	s_delay_alu instid0(SALU_CYCLE_1)
	s_sub_i32 s5, s5, s9
	s_waitcnt lgkmcnt(0)
	s_mul_i32 s7, s5, s7
	s_mul_hi_u32 s8, s5, s6
	s_ashr_i32 s9, s5, 31
	s_add_i32 s7, s8, s7
	s_mul_i32 s9, s9, s6
	s_mul_i32 s5, s5, s6
	s_add_i32 s7, s7, s9
	s_add_u32 s40, s22, s5
	s_addc_u32 s41, s23, s7
.LBB87_2:
	s_clause 0x1
	s_load_b128 s[8:11], s[2:3], 0x40
	s_load_b64 s[22:23], s[2:3], 0x50
	v_mov_b32_e32 v43, 1.0
	s_waitcnt lgkmcnt(0)
	v_cmp_le_f32_e64 s5, s9, 0
	s_mul_hi_u32 s9, s15, s4
	s_delay_alu instid0(VALU_DEP_1)
	s_and_b32 vcc_lo, exec_lo, s5
	s_cbranch_vccnz .LBB87_4
; %bb.3:
	s_sub_i32 s4, s34, s22
	s_add_i32 s5, s34, 1
	s_lshl_b32 s4, s4, 1
	v_mov_b32_e32 v1, s10
	s_or_b32 s4, s4, 1
	s_cmp_lt_u32 s34, s22
	s_cselect_b32 vcc_lo, -1, 0
	s_delay_alu instid0(VALU_DEP_1)
	v_cndmask_b32_e32 v3, s11, v1, vcc_lo
	s_and_b32 s6, vcc_lo, exec_lo
	s_cselect_b32 s4, s5, s4
	s_mov_b32 s5, 0x3e76c4e1
	v_cvt_f32_i32_e32 v1, s4
	v_cmp_neq_f32_e32 vcc_lo, 1.0, v3
	s_delay_alu instid0(VALU_DEP_2) | instskip(NEXT) | instid1(VALU_DEP_1)
	v_cndmask_b32_e32 v4, 1.0, v1, vcc_lo
	v_cmp_eq_f32_e32 vcc_lo, 0, v4
	v_cndmask_b32_e64 v5, |v3|, 1.0, vcc_lo
	s_delay_alu instid0(VALU_DEP_1) | instskip(NEXT) | instid1(VALU_DEP_1)
	v_frexp_mant_f32_e32 v1, v5
	v_cmp_gt_f32_e64 s4, 0x3f2aaaab, v1
	s_delay_alu instid0(VALU_DEP_1) | instskip(NEXT) | instid1(VALU_DEP_1)
	v_cndmask_b32_e64 v2, 1.0, 2.0, s4
	v_mul_f32_e32 v1, v1, v2
	s_delay_alu instid0(VALU_DEP_1) | instskip(SKIP_1) | instid1(VALU_DEP_2)
	v_add_f32_e32 v2, 1.0, v1
	v_add_f32_e32 v7, -1.0, v1
	v_rcp_f32_e32 v6, v2
	s_waitcnt_depctr 0xfff
	v_mul_f32_e32 v8, v7, v6
	s_delay_alu instid0(VALU_DEP_1) | instskip(NEXT) | instid1(VALU_DEP_1)
	v_dual_add_f32 v9, -1.0, v2 :: v_dual_mul_f32 v10, v2, v8
	v_sub_f32_e32 v1, v1, v9
	v_cndmask_b32_e64 v3, v3, 1.0, vcc_lo
	s_delay_alu instid0(VALU_DEP_3) | instskip(NEXT) | instid1(VALU_DEP_2)
	v_fma_f32 v2, v8, v2, -v10
	v_cmp_eq_f32_e64 s6, 0, v3
	s_delay_alu instid0(VALU_DEP_2) | instskip(NEXT) | instid1(VALU_DEP_1)
	v_fmac_f32_e32 v2, v8, v1
	v_add_f32_e32 v1, v10, v2
	s_delay_alu instid0(VALU_DEP_1) | instskip(NEXT) | instid1(VALU_DEP_1)
	v_dual_sub_f32 v10, v1, v10 :: v_dual_sub_f32 v9, v7, v1
	v_dual_sub_f32 v2, v10, v2 :: v_dual_sub_f32 v7, v7, v9
	s_delay_alu instid0(VALU_DEP_1) | instskip(NEXT) | instid1(VALU_DEP_1)
	v_sub_f32_e32 v1, v7, v1
	v_add_f32_e32 v1, v2, v1
	s_delay_alu instid0(VALU_DEP_1) | instskip(NEXT) | instid1(VALU_DEP_1)
	v_add_f32_e32 v1, v9, v1
	v_mul_f32_e32 v1, v6, v1
	s_delay_alu instid0(VALU_DEP_1) | instskip(NEXT) | instid1(VALU_DEP_1)
	v_add_f32_e32 v6, v8, v1
	v_sub_f32_e32 v2, v6, v8
	v_mul_f32_e32 v7, v6, v6
	s_delay_alu instid0(VALU_DEP_2) | instskip(NEXT) | instid1(VALU_DEP_2)
	v_sub_f32_e32 v8, v1, v2
	v_fma_f32 v9, v6, v6, -v7
	s_delay_alu instid0(VALU_DEP_2) | instskip(NEXT) | instid1(VALU_DEP_1)
	v_add_f32_e32 v1, v8, v8
	v_fmac_f32_e32 v9, v6, v1
	v_cvt_f64_f32_e32 v[1:2], v5
	s_delay_alu instid0(VALU_DEP_2) | instskip(NEXT) | instid1(VALU_DEP_1)
	v_add_f32_e32 v10, v7, v9
	v_fmaak_f32 v11, s5, v10, 0x3e91f4c4
	v_sub_f32_e32 v7, v10, v7
	v_mul_f32_e32 v14, v6, v10
	s_delay_alu instid0(VALU_DEP_3) | instskip(NEXT) | instid1(VALU_DEP_3)
	v_fmaak_f32 v11, v10, v11, 0x3ecccdef
	v_sub_f32_e32 v7, v9, v7
	s_delay_alu instid0(VALU_DEP_2) | instskip(NEXT) | instid1(VALU_DEP_1)
	v_mul_f32_e32 v12, v10, v11
	v_fma_f32 v9, v10, v11, -v12
	s_delay_alu instid0(VALU_DEP_1) | instskip(NEXT) | instid1(VALU_DEP_1)
	v_fmac_f32_e32 v9, v7, v11
	v_add_f32_e32 v11, v12, v9
	v_frexp_exp_i32_f64_e32 v1, v[1:2]
	s_delay_alu instid0(VALU_DEP_2) | instskip(NEXT) | instid1(VALU_DEP_1)
	v_sub_f32_e32 v12, v11, v12
	v_sub_f32_e32 v2, v9, v12
	v_fma_f32 v12, v10, v6, -v14
	s_delay_alu instid0(VALU_DEP_2) | instskip(NEXT) | instid1(VALU_DEP_2)
	v_add_f32_e32 v2, 0x31739010, v2
	v_dual_add_f32 v13, 0x3f2aaaaa, v11 :: v_dual_fmac_f32 v12, v10, v8
	v_ldexp_f32 v8, v8, 1
	s_delay_alu instid0(VALU_DEP_2) | instskip(NEXT) | instid1(VALU_DEP_1)
	v_dual_add_f32 v9, 0xbf2aaaaa, v13 :: v_dual_fmac_f32 v12, v7, v6
	v_sub_f32_e32 v9, v11, v9
	s_delay_alu instid0(VALU_DEP_1) | instskip(NEXT) | instid1(VALU_DEP_3)
	v_add_f32_e32 v2, v2, v9
	v_add_f32_e32 v9, v14, v12
	s_delay_alu instid0(VALU_DEP_2) | instskip(NEXT) | instid1(VALU_DEP_1)
	v_add_f32_e32 v7, v13, v2
	v_sub_f32_e32 v10, v13, v7
	s_delay_alu instid0(VALU_DEP_3) | instskip(SKIP_2) | instid1(VALU_DEP_4)
	v_mul_f32_e32 v11, v9, v7
	v_sub_f32_e32 v13, v9, v14
	v_subrev_co_ci_u32_e64 v1, s4, 0, v1, s4
	v_add_f32_e32 v2, v2, v10
	s_delay_alu instid0(VALU_DEP_4) | instskip(NEXT) | instid1(VALU_DEP_4)
	v_fma_f32 v10, v9, v7, -v11
	v_sub_f32_e32 v12, v12, v13
	s_delay_alu instid0(VALU_DEP_4) | instskip(NEXT) | instid1(VALU_DEP_3)
	v_cvt_f32_i32_e32 v1, v1
	v_fmac_f32_e32 v10, v9, v2
	v_ldexp_f32 v2, v6, 1
	s_delay_alu instid0(VALU_DEP_2) | instskip(NEXT) | instid1(VALU_DEP_1)
	v_fmac_f32_e32 v10, v12, v7
	v_add_f32_e32 v6, v11, v10
	s_delay_alu instid0(VALU_DEP_1) | instskip(NEXT) | instid1(VALU_DEP_1)
	v_add_f32_e32 v7, v2, v6
	v_dual_sub_f32 v2, v7, v2 :: v_dual_sub_f32 v9, v6, v11
	s_delay_alu instid0(VALU_DEP_1) | instskip(NEXT) | instid1(VALU_DEP_2)
	v_sub_f32_e32 v2, v6, v2
	v_sub_f32_e32 v9, v10, v9
	s_delay_alu instid0(VALU_DEP_1) | instskip(NEXT) | instid1(VALU_DEP_1)
	v_add_f32_e32 v6, v8, v9
	v_dual_mul_f32 v11, 0x3f317218, v1 :: v_dual_add_f32 v2, v6, v2
	s_delay_alu instid0(VALU_DEP_1) | instskip(NEXT) | instid1(VALU_DEP_2)
	v_fma_f32 v10, 0x3f317218, v1, -v11
	v_add_f32_e32 v8, v7, v2
	s_delay_alu instid0(VALU_DEP_1) | instskip(NEXT) | instid1(VALU_DEP_1)
	v_sub_f32_e32 v7, v8, v7
	v_dual_fmamk_f32 v1, v1, 0xb102e308, v10 :: v_dual_sub_f32 v2, v2, v7
	s_delay_alu instid0(VALU_DEP_1) | instskip(NEXT) | instid1(VALU_DEP_1)
	v_add_f32_e32 v6, v11, v1
	v_add_f32_e32 v9, v6, v8
	s_delay_alu instid0(VALU_DEP_1) | instskip(NEXT) | instid1(VALU_DEP_1)
	v_dual_sub_f32 v11, v6, v11 :: v_dual_sub_f32 v10, v9, v6
	v_sub_f32_e32 v12, v9, v10
	s_delay_alu instid0(VALU_DEP_2) | instskip(NEXT) | instid1(VALU_DEP_2)
	v_sub_f32_e32 v1, v1, v11
	v_dual_sub_f32 v7, v8, v10 :: v_dual_sub_f32 v6, v6, v12
	s_delay_alu instid0(VALU_DEP_2) | instskip(NEXT) | instid1(VALU_DEP_2)
	v_add_f32_e32 v8, v1, v2
	v_add_f32_e32 v6, v7, v6
	s_delay_alu instid0(VALU_DEP_1) | instskip(NEXT) | instid1(VALU_DEP_1)
	v_add_f32_e32 v6, v8, v6
	v_dual_sub_f32 v7, v8, v1 :: v_dual_add_f32 v10, v9, v6
	s_delay_alu instid0(VALU_DEP_1) | instskip(SKIP_1) | instid1(VALU_DEP_3)
	v_sub_f32_e32 v8, v8, v7
	v_sub_f32_e32 v2, v2, v7
	;; [unrolled: 1-line block ×3, first 2 shown]
	s_delay_alu instid0(VALU_DEP_3) | instskip(NEXT) | instid1(VALU_DEP_1)
	v_sub_f32_e32 v1, v1, v8
	v_add_f32_e32 v1, v2, v1
	s_delay_alu instid0(VALU_DEP_3) | instskip(NEXT) | instid1(VALU_DEP_1)
	v_sub_f32_e32 v2, v6, v7
	v_add_f32_e32 v1, v1, v2
	s_delay_alu instid0(VALU_DEP_1) | instskip(NEXT) | instid1(VALU_DEP_1)
	v_add_f32_e32 v2, v10, v1
	v_mul_f32_e32 v7, v4, v2
	v_sub_f32_e32 v6, v2, v10
	s_delay_alu instid0(VALU_DEP_2) | instskip(NEXT) | instid1(VALU_DEP_2)
	v_fma_f32 v2, v4, v2, -v7
	v_sub_f32_e32 v1, v1, v6
	v_cmp_class_f32_e64 s4, v7, 0x204
	s_delay_alu instid0(VALU_DEP_2) | instskip(NEXT) | instid1(VALU_DEP_1)
	v_fmac_f32_e32 v2, v4, v1
	v_add_f32_e32 v1, v7, v2
	s_delay_alu instid0(VALU_DEP_1) | instskip(NEXT) | instid1(VALU_DEP_1)
	v_cndmask_b32_e64 v6, v1, v7, s4
	v_cmp_eq_f32_e64 s4, 0x42b17218, v6
	s_delay_alu instid0(VALU_DEP_1) | instskip(SKIP_1) | instid1(VALU_DEP_2)
	v_cndmask_b32_e64 v8, 0, 0x37000000, s4
	v_cmp_neq_f32_e64 s4, 0x7f800000, |v6|
	v_sub_f32_e32 v9, v6, v8
	v_trunc_f32_e32 v6, v4
	s_delay_alu instid0(VALU_DEP_2) | instskip(NEXT) | instid1(VALU_DEP_1)
	v_mul_f32_e32 v10, 0x3fb8aa3b, v9
	v_fma_f32 v11, 0x3fb8aa3b, v9, -v10
	v_rndne_f32_e32 v12, v10
	s_delay_alu instid0(VALU_DEP_1) | instskip(NEXT) | instid1(VALU_DEP_1)
	v_dual_fmamk_f32 v11, v9, 0x32a5705f, v11 :: v_dual_sub_f32 v10, v10, v12
	v_add_f32_e32 v10, v10, v11
	v_sub_f32_e32 v1, v1, v7
	v_cvt_i32_f32_e32 v7, v12
	s_delay_alu instid0(VALU_DEP_3) | instskip(NEXT) | instid1(VALU_DEP_2)
	v_exp_f32_e32 v10, v10
	v_sub_f32_e32 v1, v2, v1
	s_delay_alu instid0(VALU_DEP_1)
	v_cndmask_b32_e64 v1, 0, v1, s4
	v_cmp_ngt_f32_e64 s4, 0xc2ce8ed0, v9
	s_waitcnt_depctr 0xfff
	v_ldexp_f32 v2, v10, v7
	v_mul_f32_e32 v7, 0.5, v4
	v_add_f32_e32 v1, v8, v1
	s_delay_alu instid0(VALU_DEP_3) | instskip(NEXT) | instid1(VALU_DEP_3)
	v_cndmask_b32_e64 v2, 0, v2, s4
	v_trunc_f32_e32 v10, v7
	v_cmp_nlt_f32_e64 s4, 0x42b17218, v9
	s_delay_alu instid0(VALU_DEP_2) | instskip(NEXT) | instid1(VALU_DEP_2)
	v_cmp_neq_f32_e64 s5, v10, v7
	v_cndmask_b32_e64 v2, 0x7f800000, v2, s4
	v_cmp_eq_f32_e64 s4, v6, v4
	s_delay_alu instid0(VALU_DEP_2) | instskip(NEXT) | instid1(VALU_DEP_2)
	v_fma_f32 v1, v2, v1, v2
	s_and_b32 vcc_lo, s4, s5
	v_cmp_class_f32_e64 s5, v2, 0x204
	v_cndmask_b32_e32 v6, 1.0, v3, vcc_lo
	s_delay_alu instid0(VALU_DEP_2) | instskip(SKIP_1) | instid1(VALU_DEP_2)
	v_cndmask_b32_e64 v1, v1, v2, s5
	v_cmp_gt_f32_e64 s5, 0, v4
	v_bfi_b32 v1, 0x7fffffff, v1, v6
	v_cndmask_b32_e32 v6, 0, v3, vcc_lo
	s_delay_alu instid0(VALU_DEP_3)
	s_xor_b32 s5, s5, s6
	v_cmp_eq_f32_e32 vcc_lo, 0x7f800000, v5
	v_cndmask_b32_e64 v2, 0x7f800000, 0, s5
	v_cndmask_b32_e64 v4, 0x7fc00000, v1, s4
	v_cmp_gt_f32_e64 s4, 0, v3
	s_or_b32 vcc_lo, vcc_lo, s6
	s_delay_alu instid0(VALU_DEP_3) | instskip(NEXT) | instid1(VALU_DEP_2)
	v_bfi_b32 v2, 0x7fffffff, v2, v6
	v_cndmask_b32_e64 v1, v1, v4, s4
	s_delay_alu instid0(VALU_DEP_1) | instskip(SKIP_1) | instid1(VALU_DEP_2)
	v_cndmask_b32_e32 v1, v1, v2, vcc_lo
	v_cmp_o_f32_e32 vcc_lo, v3, v3
	v_cndmask_b32_e32 v43, 0x7fc00000, v1, vcc_lo
.LBB87_4:
	v_bfe_u32 v38, v0, 10, 10
	s_lshl_b32 s11, s13, 5
	s_load_b128 s[4:7], s[2:3], 0x70
	s_ashr_i32 s35, s34, 31
	s_ashr_i32 s10, s43, 31
	v_lshlrev_b32_e32 v31, 2, v38
	v_and_b32_e32 v34, 0x3ff, v0
	v_lshlrev_b32_e32 v17, 8, v38
	s_delay_alu instid0(VALU_DEP_3) | instskip(SKIP_3) | instid1(VALU_DEP_4)
	v_or_b32_e32 v27, 2, v31
	v_or_b32_e32 v29, 1, v31
	;; [unrolled: 1-line block ×3, first 2 shown]
	v_lshlrev_b32_e32 v19, 1, v34
	v_add_nc_u32_e32 v30, s11, v27
	s_delay_alu instid0(VALU_DEP_4) | instskip(NEXT) | instid1(VALU_DEP_4)
	v_add_nc_u32_e32 v32, s11, v29
	v_add_nc_u32_e32 v26, s11, v25
	v_lshlrev_b32_e32 v20, 6, v29
	v_lshlrev_b32_e32 v22, 6, v27
	v_mul_hi_u32 v3, v30, s36
	v_mul_hi_u32 v2, v32, s36
	;; [unrolled: 1-line block ×3, first 2 shown]
	s_waitcnt lgkmcnt(0)
	s_mul_i32 s6, s33, s6
	s_mul_i32 s5, s34, s5
	s_ashr_i32 s7, s6, 31
	s_add_u32 s6, s16, s6
	s_addc_u32 s7, s17, s7
	v_add_nc_u32_e32 v3, v30, v3
	v_add_nc_u32_e32 v2, v32, v2
	;; [unrolled: 1-line block ×3, first 2 shown]
	s_ashr_i32 s16, s5, 31
	s_add_u32 s5, s6, s5
	v_lshrrev_b32_e32 v3, s37, v3
	v_lshrrev_b32_e32 v2, s37, v2
	s_addc_u32 s6, s7, s16
	s_ashr_i32 s7, s4, 31
	v_lshrrev_b32_e32 v4, s37, v4
	v_mul_lo_u32 v3, v3, s38
	v_mul_lo_u32 v5, v2, s38
	v_alignbit_b32 v9, s7, s4, 2
	s_lshr_b32 s4, s7, 2
	v_mul_lo_u32 v4, v4, s38
	v_lshlrev_b32_e32 v23, 6, v25
	s_cmp_eq_u64 s[26:27], 0
	v_add_lshl_u32 v21, v17, v19, 2
	v_sub_nc_u32_e32 v13, v30, v3
	v_sub_nc_u32_e32 v12, v32, v5
	v_add_lshl_u32 v24, v20, v19, 2
	v_add_lshl_u32 v22, v22, v19, 2
	v_sub_nc_u32_e32 v14, v26, v4
	v_mad_u64_u32 v[5:6], null, v9, v13, 0
	v_add_nc_u32_e32 v33, s11, v31
	v_mad_u64_u32 v[3:4], null, v9, v12, 0
	s_delay_alu instid0(VALU_DEP_4) | instskip(NEXT) | instid1(VALU_DEP_3)
	v_mad_u64_u32 v[7:8], null, v9, v14, 0
	v_mul_hi_u32 v1, v33, s36
	v_add_lshl_u32 v23, v23, v19, 2
	s_delay_alu instid0(VALU_DEP_2) | instskip(NEXT) | instid1(VALU_DEP_1)
	v_add_nc_u32_e32 v1, v33, v1
	v_lshrrev_b32_e32 v1, s37, v1
	s_delay_alu instid0(VALU_DEP_1) | instskip(NEXT) | instid1(VALU_DEP_1)
	v_mul_lo_u32 v1, v1, s38
	v_sub_nc_u32_e32 v53, v33, v1
	s_delay_alu instid0(VALU_DEP_1) | instskip(NEXT) | instid1(VALU_DEP_1)
	v_mad_u64_u32 v[1:2], null, v9, v53, 0
	v_mad_u64_u32 v[9:10], null, s4, v53, v[2:3]
	v_mov_b32_e32 v2, v4
	v_mov_b32_e32 v4, v6
	;; [unrolled: 1-line block ×3, first 2 shown]
	s_delay_alu instid0(VALU_DEP_3) | instskip(NEXT) | instid1(VALU_DEP_3)
	v_mad_u64_u32 v[10:11], null, s4, v12, v[2:3]
	v_mad_u64_u32 v[11:12], null, s4, v13, v[4:5]
	v_dual_mov_b32 v2, v9 :: v_dual_lshlrev_b32 v15, 4, v34
	s_delay_alu instid0(VALU_DEP_4) | instskip(NEXT) | instid1(VALU_DEP_4)
	v_mad_u64_u32 v[8:9], null, s4, v14, v[6:7]
	v_mov_b32_e32 v4, v10
	s_delay_alu instid0(VALU_DEP_3) | instskip(NEXT) | instid1(VALU_DEP_4)
	v_lshlrev_b64 v[1:2], 2, v[1:2]
	v_add_co_u32 v13, s5, s5, v15
	v_mov_b32_e32 v6, v11
	v_add_co_ci_u32_e64 v15, null, s6, 0, s5
	v_lshlrev_b64 v[9:10], 2, v[3:4]
	s_delay_alu instid0(VALU_DEP_4) | instskip(NEXT) | instid1(VALU_DEP_4)
	v_add_co_u32 v1, vcc_lo, v13, v1
	v_lshlrev_b64 v[5:6], 2, v[5:6]
	s_delay_alu instid0(VALU_DEP_4) | instskip(NEXT) | instid1(VALU_DEP_4)
	v_add_co_ci_u32_e32 v2, vcc_lo, v15, v2, vcc_lo
	v_add_co_u32 v9, vcc_lo, v13, v9
	v_lshlrev_b64 v[7:8], 2, v[7:8]
	v_add_co_ci_u32_e32 v10, vcc_lo, v15, v10, vcc_lo
	v_add_co_u32 v11, vcc_lo, v13, v5
	global_load_b128 v[1:4], v[1:2], off
	v_add_co_ci_u32_e32 v12, vcc_lo, v15, v6, vcc_lo
	v_add_co_u32 v13, vcc_lo, v13, v7
	v_add_co_ci_u32_e32 v14, vcc_lo, v15, v8, vcc_lo
	s_clause 0x2
	global_load_b128 v[5:8], v[9:10], off
	global_load_b128 v[9:12], v[11:12], off
	;; [unrolled: 1-line block ×3, first 2 shown]
	s_mov_b32 s5, 0
	s_waitcnt vmcnt(3)
	v_fma_mixlo_f16 v17, v1, s8, 0
	v_fma_mixlo_f16 v18, v3, s8, 0
	s_delay_alu instid0(VALU_DEP_2)
	v_fma_mixhi_f16 v17, v2, s8, 0
	s_waitcnt vmcnt(2)
	v_fma_mixlo_f16 v1, v5, s8, 0
	v_fma_mixlo_f16 v2, v7, s8, 0
	v_fma_mixhi_f16 v18, v4, s8, 0
	s_waitcnt vmcnt(1)
	v_fma_mixlo_f16 v3, v9, s8, 0
	v_fma_mixlo_f16 v4, v11, s8, 0
	s_waitcnt vmcnt(0)
	v_fma_mixlo_f16 v19, v13, s8, 0
	v_fma_mixlo_f16 v20, v15, s8, 0
	v_fma_mixhi_f16 v2, v8, s8, 0
	v_fma_mixhi_f16 v1, v6, s8, 0
	;; [unrolled: 1-line block ×6, first 2 shown]
	ds_store_b64 v21, v[17:18] offset:26624
	ds_store_b64 v24, v[1:2] offset:26624
	ds_store_b64 v22, v[3:4] offset:26624
	ds_store_b64 v23, v[19:20] offset:26624
	s_waitcnt lgkmcnt(0)
	s_barrier
	buffer_gl0_inv
	s_cbranch_scc1 .LBB87_6
; %bb.5:
	s_load_b32 s4, s[2:3], 0xd0
	s_waitcnt lgkmcnt(0)
	s_mul_i32 s4, s4, s33
	s_delay_alu instid0(SALU_CYCLE_1) | instskip(NEXT) | instid1(SALU_CYCLE_1)
	s_add_i32 s4, s4, s13
	s_lshl_b64 s[4:5], s[4:5], 2
	s_delay_alu instid0(SALU_CYCLE_1)
	s_add_u32 s4, s26, s4
	s_addc_u32 s5, s27, s5
	s_load_b32 s42, s[4:5], 0x0
.LBB87_6:
	s_clause 0x1
	s_load_b64 s[16:17], s[2:3], 0x8c
	s_load_b128 s[4:7], s[2:3], 0x98
	s_ashr_i32 s8, s33, 31
	s_load_b64 s[48:49], s[2:3], 0xa8
	s_ashr_i32 s22, s45, 1
	s_mul_i32 s27, s9, s12
	v_dual_mov_b32 v21, 0 :: v_dual_lshlrev_b32 v28, 2, v34
	v_mov_b32_e32 v48, 0
	v_lshrrev_b32_e32 v56, 3, v34
	v_mul_u32_u24_e32 v54, 0x90, v34
	s_delay_alu instid0(VALU_DEP_4)
	v_and_b32_e32 v55, 28, v28
	v_lshlrev_b32_e32 v36, 10, v38
	v_or_b32_e32 v52, 1, v33
	v_or_b32_e32 v51, 2, v33
	;; [unrolled: 1-line block ×3, first 2 shown]
	v_lshlrev_b32_e32 v37, 3, v34
	v_lshrrev_b32_e32 v40, 4, v34
	v_and_b32_e32 v39, 60, v28
	v_mbcnt_lo_u32_b32 v35, -1, 0
	s_waitcnt lgkmcnt(0)
	s_ashr_i32 s26, s16, 2
	s_ashr_i32 s13, s6, 2
	s_mul_i32 s5, s33, s5
	s_mul_hi_u32 s6, s33, s4
	s_mul_i32 s16, s8, s4
	s_add_i32 s5, s6, s5
	s_mul_i32 s4, s33, s4
	s_add_i32 s5, s5, s16
	s_add_u32 s4, s18, s4
	s_addc_u32 s5, s19, s5
	s_xor_b32 s6, s35, s10
	s_sub_i32 s10, s15, s27
	s_add_i32 s15, s9, 1
	s_sub_i32 s16, s10, s12
	s_cmp_ge_u32 s10, s12
	s_mul_i32 s8, s8, s48
	s_cselect_b32 s9, s15, s9
	s_cselect_b32 s10, s16, s10
	s_add_i32 s15, s9, 1
	s_cmp_ge_u32 s10, s12
	s_mul_i32 s10, s33, s49
	s_cselect_b32 s9, s15, s9
	s_mul_hi_u32 s12, s33, s48
	s_xor_b32 s9, s9, s6
	s_mul_i32 s15, s33, s48
	s_sub_i32 s6, s9, s6
	s_mov_b32 s44, 0xfeffffff
	s_mul_i32 s9, s6, s17
	s_mul_i32 s6, s6, s7
	s_ashr_i32 s16, s9, 31
	s_add_u32 s19, s4, s9
	s_addc_u32 s27, s5, s16
	s_add_i32 s4, s12, s10
	s_delay_alu instid0(SALU_CYCLE_1)
	s_add_i32 s4, s4, s8
	s_add_u32 s5, s20, s15
	s_addc_u32 s4, s21, s4
	s_ashr_i32 s7, s6, 31
	s_add_u32 s15, s5, s6
	s_addc_u32 s18, s4, s7
	s_lshl_b32 s12, s14, 7
	s_add_i32 s20, s42, 0xffffff80
	s_delay_alu instid0(SALU_CYCLE_1)
	s_cmp_ge_i32 s12, s20
	s_cbranch_scc1 .LBB87_110
; %bb.7:
	v_dual_mov_b32 v41, 0 :: v_dual_add_nc_u32 v2, v56, v31
	v_dual_mov_b32 v80, 0xfeffffff :: v_dual_lshlrev_b32 v3, 2, v55
	s_lshl_b32 s4, s26, 5
	s_delay_alu instid0(VALU_DEP_2)
	v_mul_lo_u32 v1, s26, v2
	v_mul_hi_u32 v4, s36, v52
	v_mul_hi_u32 v5, s36, v51
	;; [unrolled: 1-line block ×3, first 2 shown]
	v_lshl_add_u32 v7, v38, 1, v40
	v_mad_u32_u24 v58, 0x90, v2, v3
	s_cmp_lg_u64 s[40:41], 0
	v_mov_b32_e32 v45, 0
	v_dual_mov_b32 v46, 0 :: v_dual_add_nc_u32 v3, s4, v1
	v_mul_lo_u32 v13, s13, v7
	v_add_nc_u32_e32 v4, v52, v4
	v_dual_mov_b32 v44, 0 :: v_dual_add_nc_u32 v5, v51, v5
	s_delay_alu instid0(VALU_DEP_4) | instskip(SKIP_2) | instid1(VALU_DEP_2)
	v_dual_mov_b32 v78, 0xfeffffff :: v_dual_add_nc_u32 v9, s4, v3
	v_dual_mov_b32 v47, 0 :: v_dual_add_nc_u32 v6, v50, v6
	s_cselect_b32 s21, -1, 0
	v_dual_mov_b32 v74, 0 :: v_dual_add_nc_u32 v11, s4, v9
	s_lshl_b32 s4, s13, 4
	v_lshrrev_b32_e32 v8, s37, v4
	v_lshrrev_b32_e32 v5, s37, v5
	;; [unrolled: 1-line block ×3, first 2 shown]
	v_add_nc_u32_e32 v15, s4, v13
	v_dual_mov_b32 v81, 0xfeffffff :: v_dual_lshlrev_b32 v14, 2, v39
	v_mul_lo_u32 v8, v8, s38
	v_mul_lo_u32 v5, v5, s38
	;; [unrolled: 1-line block ×3, first 2 shown]
	v_add_nc_u32_e32 v17, s4, v15
	v_ashrrev_i32_e32 v2, 31, v1
	v_ashrrev_i32_e32 v4, 31, v3
	;; [unrolled: 1-line block ×4, first 2 shown]
	v_add_nc_u32_e32 v19, s4, v17
	v_sub_nc_u32_e32 v8, v52, v8
	v_sub_nc_u32_e32 v5, v51, v5
	;; [unrolled: 1-line block ×3, first 2 shown]
	v_lshl_or_b32 v65, v7, 8, v14
	v_ashrrev_i32_e32 v14, 31, v13
	v_ashrrev_i32_e32 v16, 31, v15
	v_ashrrev_i32_e32 v18, 31, v17
	v_ashrrev_i32_e32 v20, 31, v19
	s_add_u32 s16, s2, 0xd0
	v_mul_lo_u32 v62, v53, s22
	v_mul_lo_u32 v63, v8, s22
	;; [unrolled: 1-line block ×4, first 2 shown]
	s_addc_u32 s17, s3, 0
	s_add_u32 s43, s40, 64
	s_addc_u32 s44, s41, 0
	v_lshlrev_b64 v[5:6], 2, v[1:2]
	v_lshlrev_b64 v[7:8], 2, v[3:4]
	;; [unrolled: 1-line block ×8, first 2 shown]
	v_dual_mov_b32 v42, 0 :: v_dual_add_nc_u32 v57, 0x6800, v36
	v_dual_mov_b32 v48, 0 :: v_dual_add_nc_u32 v59, 0x1200, v58
	;; [unrolled: 1-line block ×4, first 2 shown]
	v_add_nc_u32_e32 v67, 0x4800, v36
	v_dual_mov_b32 v77, 0 :: v_dual_add_nc_u32 v68, 0x1000, v65
	v_add_nc_u32_e32 v69, 0x2000, v65
	v_dual_mov_b32 v75, 0 :: v_dual_add_nc_u32 v70, 0x3000, v65
	s_add_u32 s45, s40, 0x80
	v_lshlrev_b32_e32 v71, 2, v55
	v_dual_mov_b32 v79, 0xfeffffff :: v_dual_lshlrev_b32 v72, 2, v39
	v_mbcnt_lo_u32_b32 v73, -1, 0
	s_addc_u32 s46, s41, 0
	s_add_u32 s47, s40, 0xc0
	s_addc_u32 s48, s41, 0
	s_mov_b32 s49, 0xbbbac73d
.LBB87_8:                               ; =>This Inner Loop Header: Depth=1
	s_mul_hi_i32 s5, s12, s26
	s_mul_i32 s4, s12, s26
	v_mov_b32_e32 v94, 0
	s_lshl_b64 s[4:5], s[4:5], 2
	v_dual_mov_b32 v90, 0 :: v_dual_mov_b32 v91, 0
	s_add_u32 s4, s19, s4
	s_addc_u32 s5, s27, s5
	v_add_co_u32 v1, vcc_lo, s4, v5
	v_add_co_ci_u32_e32 v2, vcc_lo, s5, v6, vcc_lo
	v_add_co_u32 v3, vcc_lo, s4, v7
	v_add_co_ci_u32_e32 v4, vcc_lo, s5, v8, vcc_lo
	s_delay_alu instid0(VALU_DEP_4) | instskip(NEXT) | instid1(VALU_DEP_4)
	v_add_co_u32 v1, vcc_lo, v1, v71
	v_add_co_ci_u32_e32 v2, vcc_lo, 0, v2, vcc_lo
	s_delay_alu instid0(VALU_DEP_4) | instskip(NEXT) | instid1(VALU_DEP_4)
	v_add_co_u32 v3, vcc_lo, v3, v71
	v_add_co_ci_u32_e32 v4, vcc_lo, 0, v4, vcc_lo
	v_add_co_u32 v21, vcc_lo, s4, v9
	v_add_co_ci_u32_e32 v22, vcc_lo, s5, v10, vcc_lo
	;; [unrolled: 2-line block ×3, first 2 shown]
	s_delay_alu instid0(VALU_DEP_4) | instskip(NEXT) | instid1(VALU_DEP_4)
	v_add_co_u32 v21, vcc_lo, v21, v71
	v_add_co_ci_u32_e32 v22, vcc_lo, 0, v22, vcc_lo
	s_delay_alu instid0(VALU_DEP_4) | instskip(NEXT) | instid1(VALU_DEP_4)
	v_add_co_u32 v23, vcc_lo, v23, v71
	v_add_co_ci_u32_e32 v24, vcc_lo, 0, v24, vcc_lo
	s_clause 0x3
	global_load_b128 v[82:85], v[1:2], off
	global_load_b128 v[95:98], v[3:4], off
	;; [unrolled: 1-line block ×4, first 2 shown]
	v_dual_mov_b32 v86, 0 :: v_dual_mov_b32 v87, 0
	v_dual_mov_b32 v92, 0 :: v_dual_mov_b32 v93, 0
	;; [unrolled: 1-line block ×3, first 2 shown]
	s_waitcnt vmcnt(3)
	ds_store_b128 v58, v[82:85]
	s_waitcnt vmcnt(2)
	ds_store_b128 v59, v[95:98]
	;; [unrolled: 2-line block ×4, first 2 shown]
	s_waitcnt lgkmcnt(0)
	s_barrier
	buffer_gl0_inv
	ds_load_b128 v[98:101], v54
	ds_load_b128 v[102:105], v57
	v_mov_b32_e32 v95, 0
	ds_load_b128 v[106:109], v57 offset:256
	ds_load_b128 v[118:121], v54 offset:4608
	;; [unrolled: 1-line block ×6, first 2 shown]
	s_waitcnt lgkmcnt(6)
	;;#ASMSTART
	v_dot2_f32_f16 v94, v98, v102, v94
	;;#ASMEND
	;;#ASMSTART
	v_dot2_f32_f16 v94, v99, v103, v94
	;;#ASMEND
	;; [unrolled: 3-line block ×4, first 2 shown]
	s_waitcnt lgkmcnt(5)
	;;#ASMSTART
	v_dot2_f32_f16 v90, v98, v106, v90
	;;#ASMEND
	;;#ASMSTART
	v_dot2_f32_f16 v90, v99, v107, v90
	;;#ASMEND
	;; [unrolled: 3-line block ×4, first 2 shown]
	s_waitcnt lgkmcnt(3)
	;;#ASMSTART
	v_dot2_f32_f16 v86, v98, v110, v86
	;;#ASMEND
	;;#ASMSTART
	v_dot2_f32_f16 v86, v99, v111, v86
	;;#ASMEND
	v_dual_mov_b32 v82, 0 :: v_dual_mov_b32 v83, 0
	;;#ASMSTART
	v_dot2_f32_f16 v86, v100, v112, v86
	;;#ASMEND
	;;#ASMSTART
	v_dot2_f32_f16 v86, v101, v113, v86
	;;#ASMEND
	s_waitcnt lgkmcnt(2)
	;;#ASMSTART
	v_dot2_f32_f16 v82, v98, v114, v82
	;;#ASMEND
	;;#ASMSTART
	v_dot2_f32_f16 v82, v99, v115, v82
	;;#ASMEND
	;; [unrolled: 3-line block ×18, first 2 shown]
	v_dual_mov_b32 v96, 0 :: v_dual_mov_b32 v97, 0
	;;#ASMSTART
	v_dot2_f32_f16 v83, v120, v116, v83
	;;#ASMEND
	;;#ASMSTART
	v_dot2_f32_f16 v83, v121, v117, v83
	;;#ASMEND
	s_waitcnt lgkmcnt(1)
	;;#ASMSTART
	v_dot2_f32_f16 v96, v122, v102, v96
	;;#ASMEND
	;;#ASMSTART
	v_dot2_f32_f16 v96, v123, v103, v96
	;;#ASMEND
	;;#ASMSTART
	v_dot2_f32_f16 v96, v124, v104, v96
	;;#ASMEND
	;;#ASMSTART
	v_dot2_f32_f16 v96, v125, v105, v96
	;;#ASMEND
	;;#ASMSTART
	v_dot2_f32_f16 v92, v122, v106, v92
	;;#ASMEND
	;;#ASMSTART
	v_dot2_f32_f16 v92, v123, v107, v92
	;;#ASMEND
	;;#ASMSTART
	v_dot2_f32_f16 v92, v124, v108, v92
	;;#ASMEND
	;;#ASMSTART
	v_dot2_f32_f16 v92, v125, v109, v92
	;;#ASMEND
	;;#ASMSTART
	v_dot2_f32_f16 v88, v122, v110, v88
	;;#ASMEND
	;;#ASMSTART
	v_dot2_f32_f16 v88, v123, v111, v88
	;;#ASMEND
	v_dual_mov_b32 v84, 0 :: v_dual_mov_b32 v85, 0
	;;#ASMSTART
	v_dot2_f32_f16 v88, v124, v112, v88
	;;#ASMEND
	;;#ASMSTART
	v_dot2_f32_f16 v88, v125, v113, v88
	;;#ASMEND
	;; [unrolled: 3-line block ×6, first 2 shown]
	s_waitcnt lgkmcnt(0)
	;;#ASMSTART
	v_dot2_f32_f16 v97, v126, v102, v97
	;;#ASMEND
	;;#ASMSTART
	v_dot2_f32_f16 v97, v127, v103, v97
	;;#ASMEND
	;; [unrolled: 3-line block ×16, first 2 shown]
	ds_load_b128 v[98:101], v54 offset:16
	ds_load_b128 v[102:105], v57 offset:16
	ds_load_b128 v[106:109], v57 offset:272
	ds_load_b128 v[110:113], v57 offset:528
	ds_load_b128 v[114:117], v57 offset:784
	ds_load_b128 v[118:121], v54 offset:4624
	ds_load_b128 v[122:125], v54 offset:9232
	ds_load_b128 v[126:129], v54 offset:13840
	s_waitcnt lgkmcnt(6)
	;;#ASMSTART
	v_dot2_f32_f16 v94, v98, v102, v94
	;;#ASMEND
	;;#ASMSTART
	v_dot2_f32_f16 v94, v99, v103, v94
	;;#ASMEND
	;;#ASMSTART
	v_dot2_f32_f16 v94, v100, v104, v94
	;;#ASMEND
	;;#ASMSTART
	v_dot2_f32_f16 v94, v101, v105, v94
	;;#ASMEND
	s_waitcnt lgkmcnt(5)
	;;#ASMSTART
	v_dot2_f32_f16 v90, v98, v106, v90
	;;#ASMEND
	;;#ASMSTART
	v_dot2_f32_f16 v90, v99, v107, v90
	;;#ASMEND
	;;#ASMSTART
	v_dot2_f32_f16 v90, v100, v108, v90
	;;#ASMEND
	;;#ASMSTART
	v_dot2_f32_f16 v90, v101, v109, v90
	;;#ASMEND
	;; [unrolled: 13-line block ×5, first 2 shown]
	;;#ASMSTART
	v_dot2_f32_f16 v91, v118, v106, v91
	;;#ASMEND
	;;#ASMSTART
	v_dot2_f32_f16 v91, v119, v107, v91
	;;#ASMEND
	;; [unrolled: 3-line block ×12, first 2 shown]
	s_waitcnt lgkmcnt(1)
	;;#ASMSTART
	v_dot2_f32_f16 v96, v122, v102, v96
	;;#ASMEND
	;;#ASMSTART
	v_dot2_f32_f16 v96, v123, v103, v96
	;;#ASMEND
	;; [unrolled: 3-line block ×16, first 2 shown]
	s_waitcnt lgkmcnt(0)
	;;#ASMSTART
	v_dot2_f32_f16 v97, v126, v102, v97
	;;#ASMEND
	;;#ASMSTART
	v_dot2_f32_f16 v97, v127, v103, v97
	;;#ASMEND
	;; [unrolled: 3-line block ×16, first 2 shown]
	ds_load_b128 v[98:101], v54 offset:32
	ds_load_b128 v[102:105], v57 offset:32
	ds_load_b128 v[106:109], v57 offset:288
	ds_load_b128 v[110:113], v57 offset:544
	ds_load_b128 v[114:117], v57 offset:800
	ds_load_b128 v[118:121], v54 offset:4640
	ds_load_b128 v[122:125], v54 offset:9248
	ds_load_b128 v[126:129], v54 offset:13856
	s_waitcnt lgkmcnt(6)
	;;#ASMSTART
	v_dot2_f32_f16 v94, v98, v102, v94
	;;#ASMEND
	;;#ASMSTART
	v_dot2_f32_f16 v94, v99, v103, v94
	;;#ASMEND
	;;#ASMSTART
	v_dot2_f32_f16 v94, v100, v104, v94
	;;#ASMEND
	;;#ASMSTART
	v_dot2_f32_f16 v94, v101, v105, v94
	;;#ASMEND
	s_waitcnt lgkmcnt(5)
	;;#ASMSTART
	v_dot2_f32_f16 v90, v98, v106, v90
	;;#ASMEND
	;;#ASMSTART
	v_dot2_f32_f16 v90, v99, v107, v90
	;;#ASMEND
	;;#ASMSTART
	v_dot2_f32_f16 v90, v100, v108, v90
	;;#ASMEND
	;;#ASMSTART
	v_dot2_f32_f16 v90, v101, v109, v90
	;;#ASMEND
	;; [unrolled: 13-line block ×5, first 2 shown]
	;;#ASMSTART
	v_dot2_f32_f16 v91, v118, v106, v91
	;;#ASMEND
	;;#ASMSTART
	v_dot2_f32_f16 v91, v119, v107, v91
	;;#ASMEND
	;; [unrolled: 3-line block ×12, first 2 shown]
	s_waitcnt lgkmcnt(1)
	;;#ASMSTART
	v_dot2_f32_f16 v96, v122, v102, v96
	;;#ASMEND
	;;#ASMSTART
	v_dot2_f32_f16 v96, v123, v103, v96
	;;#ASMEND
	;; [unrolled: 3-line block ×16, first 2 shown]
	s_waitcnt lgkmcnt(0)
	;;#ASMSTART
	v_dot2_f32_f16 v97, v126, v102, v97
	;;#ASMEND
	;;#ASMSTART
	v_dot2_f32_f16 v97, v127, v103, v97
	;;#ASMEND
	;; [unrolled: 3-line block ×16, first 2 shown]
	ds_load_b128 v[98:101], v54 offset:48
	ds_load_b128 v[102:105], v57 offset:48
	;; [unrolled: 1-line block ×8, first 2 shown]
	s_waitcnt lgkmcnt(6)
	;;#ASMSTART
	v_dot2_f32_f16 v94, v98, v102, v94
	;;#ASMEND
	;;#ASMSTART
	v_dot2_f32_f16 v94, v99, v103, v94
	;;#ASMEND
	;;#ASMSTART
	v_dot2_f32_f16 v94, v100, v104, v94
	;;#ASMEND
	;;#ASMSTART
	v_dot2_f32_f16 v94, v101, v105, v94
	;;#ASMEND
	s_waitcnt lgkmcnt(5)
	;;#ASMSTART
	v_dot2_f32_f16 v90, v98, v106, v90
	;;#ASMEND
	;;#ASMSTART
	v_dot2_f32_f16 v90, v99, v107, v90
	;;#ASMEND
	;;#ASMSTART
	v_dot2_f32_f16 v90, v100, v108, v90
	;;#ASMEND
	;;#ASMSTART
	v_dot2_f32_f16 v90, v101, v109, v90
	;;#ASMEND
	;; [unrolled: 13-line block ×5, first 2 shown]
	;;#ASMSTART
	v_dot2_f32_f16 v91, v118, v106, v91
	;;#ASMEND
	;;#ASMSTART
	v_dot2_f32_f16 v91, v119, v107, v91
	;;#ASMEND
	;; [unrolled: 3-line block ×12, first 2 shown]
	s_waitcnt lgkmcnt(1)
	;;#ASMSTART
	v_dot2_f32_f16 v96, v122, v102, v96
	;;#ASMEND
	;;#ASMSTART
	v_dot2_f32_f16 v96, v123, v103, v96
	;;#ASMEND
	;; [unrolled: 3-line block ×16, first 2 shown]
	s_waitcnt lgkmcnt(0)
	;;#ASMSTART
	v_dot2_f32_f16 v97, v126, v102, v97
	;;#ASMEND
	;;#ASMSTART
	v_dot2_f32_f16 v97, v127, v103, v97
	;;#ASMEND
	;; [unrolled: 3-line block ×16, first 2 shown]
	ds_load_b128 v[98:101], v54 offset:64
	ds_load_b128 v[102:105], v57 offset:64
	;; [unrolled: 1-line block ×8, first 2 shown]
	s_waitcnt lgkmcnt(6)
	;;#ASMSTART
	v_dot2_f32_f16 v94, v98, v102, v94
	;;#ASMEND
	;;#ASMSTART
	v_dot2_f32_f16 v94, v99, v103, v94
	;;#ASMEND
	;;#ASMSTART
	v_dot2_f32_f16 v94, v100, v104, v94
	;;#ASMEND
	;;#ASMSTART
	v_dot2_f32_f16 v94, v101, v105, v94
	;;#ASMEND
	s_waitcnt lgkmcnt(5)
	;;#ASMSTART
	v_dot2_f32_f16 v90, v98, v106, v90
	;;#ASMEND
	;;#ASMSTART
	v_dot2_f32_f16 v90, v99, v107, v90
	;;#ASMEND
	;;#ASMSTART
	v_dot2_f32_f16 v90, v100, v108, v90
	;;#ASMEND
	;;#ASMSTART
	v_dot2_f32_f16 v90, v101, v109, v90
	;;#ASMEND
	;; [unrolled: 13-line block ×5, first 2 shown]
	;;#ASMSTART
	v_dot2_f32_f16 v91, v118, v106, v91
	;;#ASMEND
	;;#ASMSTART
	v_dot2_f32_f16 v91, v119, v107, v91
	;;#ASMEND
	;; [unrolled: 3-line block ×12, first 2 shown]
	s_waitcnt lgkmcnt(1)
	;;#ASMSTART
	v_dot2_f32_f16 v96, v122, v102, v96
	;;#ASMEND
	;;#ASMSTART
	v_dot2_f32_f16 v96, v123, v103, v96
	;;#ASMEND
	;; [unrolled: 3-line block ×16, first 2 shown]
	s_waitcnt lgkmcnt(0)
	;;#ASMSTART
	v_dot2_f32_f16 v97, v126, v102, v97
	;;#ASMEND
	;;#ASMSTART
	v_dot2_f32_f16 v97, v127, v103, v97
	;;#ASMEND
	;; [unrolled: 3-line block ×16, first 2 shown]
	ds_load_b128 v[98:101], v54 offset:80
	ds_load_b128 v[102:105], v57 offset:80
	;; [unrolled: 1-line block ×8, first 2 shown]
	s_waitcnt lgkmcnt(6)
	;;#ASMSTART
	v_dot2_f32_f16 v94, v98, v102, v94
	;;#ASMEND
	;;#ASMSTART
	v_dot2_f32_f16 v94, v99, v103, v94
	;;#ASMEND
	;;#ASMSTART
	v_dot2_f32_f16 v94, v100, v104, v94
	;;#ASMEND
	;;#ASMSTART
	v_dot2_f32_f16 v94, v101, v105, v94
	;;#ASMEND
	s_waitcnt lgkmcnt(5)
	;;#ASMSTART
	v_dot2_f32_f16 v90, v98, v106, v90
	;;#ASMEND
	;;#ASMSTART
	v_dot2_f32_f16 v90, v99, v107, v90
	;;#ASMEND
	;;#ASMSTART
	v_dot2_f32_f16 v90, v100, v108, v90
	;;#ASMEND
	;;#ASMSTART
	v_dot2_f32_f16 v90, v101, v109, v90
	;;#ASMEND
	;; [unrolled: 13-line block ×5, first 2 shown]
	;;#ASMSTART
	v_dot2_f32_f16 v91, v118, v106, v91
	;;#ASMEND
	;;#ASMSTART
	v_dot2_f32_f16 v91, v119, v107, v91
	;;#ASMEND
	;; [unrolled: 3-line block ×12, first 2 shown]
	s_waitcnt lgkmcnt(1)
	;;#ASMSTART
	v_dot2_f32_f16 v96, v122, v102, v96
	;;#ASMEND
	;;#ASMSTART
	v_dot2_f32_f16 v96, v123, v103, v96
	;;#ASMEND
	;;#ASMSTART
	v_dot2_f32_f16 v96, v124, v104, v96
	;;#ASMEND
	;;#ASMSTART
	v_dot2_f32_f16 v96, v125, v105, v96
	;;#ASMEND
	;;#ASMSTART
	v_dot2_f32_f16 v92, v122, v106, v92
	;;#ASMEND
	;;#ASMSTART
	v_dot2_f32_f16 v92, v123, v107, v92
	;;#ASMEND
	;;#ASMSTART
	v_dot2_f32_f16 v92, v124, v108, v92
	;;#ASMEND
	;;#ASMSTART
	v_dot2_f32_f16 v92, v125, v109, v92
	;;#ASMEND
	;;#ASMSTART
	v_dot2_f32_f16 v88, v122, v110, v88
	;;#ASMEND
	;;#ASMSTART
	v_dot2_f32_f16 v88, v123, v111, v88
	;;#ASMEND
	;;#ASMSTART
	v_dot2_f32_f16 v88, v124, v112, v88
	;;#ASMEND
	;;#ASMSTART
	v_dot2_f32_f16 v88, v125, v113, v88
	;;#ASMEND
	;;#ASMSTART
	v_dot2_f32_f16 v84, v122, v114, v84
	;;#ASMEND
	;;#ASMSTART
	v_dot2_f32_f16 v84, v123, v115, v84
	;;#ASMEND
	;;#ASMSTART
	v_dot2_f32_f16 v84, v124, v116, v84
	;;#ASMEND
	;;#ASMSTART
	v_dot2_f32_f16 v84, v125, v117, v84
	;;#ASMEND
	s_waitcnt lgkmcnt(0)
	;;#ASMSTART
	v_dot2_f32_f16 v97, v126, v102, v97
	;;#ASMEND
	;;#ASMSTART
	v_dot2_f32_f16 v97, v127, v103, v97
	;;#ASMEND
	;; [unrolled: 3-line block ×16, first 2 shown]
	ds_load_b128 v[98:101], v54 offset:96
	ds_load_b128 v[102:105], v57 offset:96
	;; [unrolled: 1-line block ×8, first 2 shown]
	s_waitcnt lgkmcnt(6)
	;;#ASMSTART
	v_dot2_f32_f16 v94, v98, v102, v94
	;;#ASMEND
	;;#ASMSTART
	v_dot2_f32_f16 v94, v99, v103, v94
	;;#ASMEND
	;;#ASMSTART
	v_dot2_f32_f16 v94, v100, v104, v94
	;;#ASMEND
	;;#ASMSTART
	v_dot2_f32_f16 v94, v101, v105, v94
	;;#ASMEND
	s_waitcnt lgkmcnt(5)
	;;#ASMSTART
	v_dot2_f32_f16 v90, v98, v106, v90
	;;#ASMEND
	;;#ASMSTART
	v_dot2_f32_f16 v90, v99, v107, v90
	;;#ASMEND
	;;#ASMSTART
	v_dot2_f32_f16 v90, v100, v108, v90
	;;#ASMEND
	;;#ASMSTART
	v_dot2_f32_f16 v90, v101, v109, v90
	;;#ASMEND
	;; [unrolled: 13-line block ×5, first 2 shown]
	;;#ASMSTART
	v_dot2_f32_f16 v91, v118, v106, v91
	;;#ASMEND
	;;#ASMSTART
	v_dot2_f32_f16 v91, v119, v107, v91
	;;#ASMEND
	;; [unrolled: 3-line block ×12, first 2 shown]
	s_waitcnt lgkmcnt(1)
	;;#ASMSTART
	v_dot2_f32_f16 v96, v122, v102, v96
	;;#ASMEND
	;;#ASMSTART
	v_dot2_f32_f16 v96, v123, v103, v96
	;;#ASMEND
	;; [unrolled: 3-line block ×16, first 2 shown]
	s_waitcnt lgkmcnt(0)
	;;#ASMSTART
	v_dot2_f32_f16 v97, v126, v102, v97
	;;#ASMEND
	;;#ASMSTART
	v_dot2_f32_f16 v97, v127, v103, v97
	;;#ASMEND
	;; [unrolled: 3-line block ×16, first 2 shown]
	ds_load_b128 v[98:101], v54 offset:112
	ds_load_b128 v[102:105], v57 offset:112
	;; [unrolled: 1-line block ×8, first 2 shown]
	s_waitcnt lgkmcnt(6)
	;;#ASMSTART
	v_dot2_f32_f16 v94, v98, v102, v94
	;;#ASMEND
	;;#ASMSTART
	v_dot2_f32_f16 v94, v99, v103, v94
	;;#ASMEND
	;;#ASMSTART
	v_dot2_f32_f16 v94, v100, v104, v94
	;;#ASMEND
	;;#ASMSTART
	v_dot2_f32_f16 v94, v101, v105, v94
	;;#ASMEND
	s_waitcnt lgkmcnt(5)
	;;#ASMSTART
	v_dot2_f32_f16 v90, v98, v106, v90
	;;#ASMEND
	;;#ASMSTART
	v_dot2_f32_f16 v90, v99, v107, v90
	;;#ASMEND
	;;#ASMSTART
	v_dot2_f32_f16 v90, v100, v108, v90
	;;#ASMEND
	;;#ASMSTART
	v_dot2_f32_f16 v90, v101, v109, v90
	;;#ASMEND
	;; [unrolled: 13-line block ×5, first 2 shown]
	;;#ASMSTART
	v_dot2_f32_f16 v91, v118, v106, v91
	;;#ASMEND
	;;#ASMSTART
	v_dot2_f32_f16 v91, v119, v107, v91
	;;#ASMEND
	;; [unrolled: 3-line block ×12, first 2 shown]
	s_waitcnt lgkmcnt(1)
	;;#ASMSTART
	v_dot2_f32_f16 v96, v122, v102, v96
	;;#ASMEND
	;;#ASMSTART
	v_dot2_f32_f16 v96, v123, v103, v96
	;;#ASMEND
	;; [unrolled: 3-line block ×16, first 2 shown]
	s_waitcnt lgkmcnt(0)
	;;#ASMSTART
	v_dot2_f32_f16 v97, v126, v102, v97
	;;#ASMEND
	;;#ASMSTART
	v_dot2_f32_f16 v97, v127, v103, v97
	;;#ASMEND
	;;#ASMSTART
	v_dot2_f32_f16 v97, v128, v104, v97
	;;#ASMEND
	;;#ASMSTART
	v_dot2_f32_f16 v97, v129, v105, v97
	;;#ASMEND
	;;#ASMSTART
	v_dot2_f32_f16 v93, v126, v106, v93
	;;#ASMEND
	;;#ASMSTART
	v_dot2_f32_f16 v93, v127, v107, v93
	;;#ASMEND
	;;#ASMSTART
	v_dot2_f32_f16 v93, v128, v108, v93
	;;#ASMEND
	;;#ASMSTART
	v_dot2_f32_f16 v93, v129, v109, v93
	;;#ASMEND
	;;#ASMSTART
	v_dot2_f32_f16 v89, v126, v110, v89
	;;#ASMEND
	;;#ASMSTART
	v_dot2_f32_f16 v89, v127, v111, v89
	;;#ASMEND
	;;#ASMSTART
	v_dot2_f32_f16 v89, v128, v112, v89
	;;#ASMEND
	;;#ASMSTART
	v_dot2_f32_f16 v89, v129, v113, v89
	;;#ASMEND
	;;#ASMSTART
	v_dot2_f32_f16 v85, v126, v114, v85
	;;#ASMEND
	;;#ASMSTART
	v_dot2_f32_f16 v85, v127, v115, v85
	;;#ASMEND
	;;#ASMSTART
	v_dot2_f32_f16 v85, v128, v116, v85
	;;#ASMEND
	;;#ASMSTART
	v_dot2_f32_f16 v85, v129, v117, v85
	;;#ASMEND
	s_barrier
	buffer_gl0_inv
	s_clause 0x3
	global_load_b128 v[98:101], v[1:2], off offset:128
	global_load_b128 v[1:4], v[3:4], off offset:128
	;; [unrolled: 1-line block ×4, first 2 shown]
	s_waitcnt vmcnt(3)
	ds_store_b128 v58, v[98:101]
	s_waitcnt vmcnt(2)
	ds_store_b128 v59, v[1:4]
	;; [unrolled: 2-line block ×4, first 2 shown]
	s_waitcnt lgkmcnt(0)
	s_barrier
	buffer_gl0_inv
	ds_load_b128 v[1:4], v54
	ds_load_b128 v[21:24], v57 offset:128
	ds_load_b128 v[98:101], v57 offset:384
	;; [unrolled: 1-line block ×7, first 2 shown]
	s_waitcnt lgkmcnt(6)
	;;#ASMSTART
	v_dot2_f32_f16 v94, v1, v21, v94
	;;#ASMEND
	;;#ASMSTART
	v_dot2_f32_f16 v94, v2, v22, v94
	;;#ASMEND
	;;#ASMSTART
	v_dot2_f32_f16 v94, v3, v23, v94
	;;#ASMEND
	;;#ASMSTART
	v_dot2_f32_f16 v94, v4, v24, v94
	;;#ASMEND
	s_waitcnt lgkmcnt(5)
	;;#ASMSTART
	v_dot2_f32_f16 v90, v1, v98, v90
	;;#ASMEND
	;;#ASMSTART
	v_dot2_f32_f16 v90, v2, v99, v90
	;;#ASMEND
	;;#ASMSTART
	v_dot2_f32_f16 v90, v3, v100, v90
	;;#ASMEND
	;;#ASMSTART
	v_dot2_f32_f16 v90, v4, v101, v90
	;;#ASMEND
	;; [unrolled: 13-line block ×5, first 2 shown]
	;;#ASMSTART
	v_dot2_f32_f16 v91, v110, v98, v91
	;;#ASMEND
	;;#ASMSTART
	v_dot2_f32_f16 v91, v111, v99, v91
	;;#ASMEND
	;; [unrolled: 3-line block ×12, first 2 shown]
	s_waitcnt lgkmcnt(1)
	;;#ASMSTART
	v_dot2_f32_f16 v96, v114, v21, v96
	;;#ASMEND
	;;#ASMSTART
	v_dot2_f32_f16 v96, v115, v22, v96
	;;#ASMEND
	;; [unrolled: 3-line block ×16, first 2 shown]
	s_waitcnt lgkmcnt(0)
	;;#ASMSTART
	v_dot2_f32_f16 v97, v118, v21, v97
	;;#ASMEND
	;;#ASMSTART
	v_dot2_f32_f16 v97, v119, v22, v97
	;;#ASMEND
	;; [unrolled: 3-line block ×16, first 2 shown]
	ds_load_b128 v[1:4], v54 offset:16
	ds_load_b128 v[21:24], v57 offset:144
	;; [unrolled: 1-line block ×8, first 2 shown]
	s_waitcnt lgkmcnt(6)
	;;#ASMSTART
	v_dot2_f32_f16 v94, v1, v21, v94
	;;#ASMEND
	;;#ASMSTART
	v_dot2_f32_f16 v94, v2, v22, v94
	;;#ASMEND
	;;#ASMSTART
	v_dot2_f32_f16 v94, v3, v23, v94
	;;#ASMEND
	;;#ASMSTART
	v_dot2_f32_f16 v94, v4, v24, v94
	;;#ASMEND
	s_waitcnt lgkmcnt(5)
	;;#ASMSTART
	v_dot2_f32_f16 v90, v1, v98, v90
	;;#ASMEND
	;;#ASMSTART
	v_dot2_f32_f16 v90, v2, v99, v90
	;;#ASMEND
	;;#ASMSTART
	v_dot2_f32_f16 v90, v3, v100, v90
	;;#ASMEND
	;;#ASMSTART
	v_dot2_f32_f16 v90, v4, v101, v90
	;;#ASMEND
	;; [unrolled: 13-line block ×5, first 2 shown]
	;;#ASMSTART
	v_dot2_f32_f16 v91, v110, v98, v91
	;;#ASMEND
	;;#ASMSTART
	v_dot2_f32_f16 v91, v111, v99, v91
	;;#ASMEND
	;; [unrolled: 3-line block ×12, first 2 shown]
	s_waitcnt lgkmcnt(1)
	;;#ASMSTART
	v_dot2_f32_f16 v96, v114, v21, v96
	;;#ASMEND
	;;#ASMSTART
	v_dot2_f32_f16 v96, v115, v22, v96
	;;#ASMEND
	;;#ASMSTART
	v_dot2_f32_f16 v96, v116, v23, v96
	;;#ASMEND
	;;#ASMSTART
	v_dot2_f32_f16 v96, v117, v24, v96
	;;#ASMEND
	;;#ASMSTART
	v_dot2_f32_f16 v92, v114, v98, v92
	;;#ASMEND
	;;#ASMSTART
	v_dot2_f32_f16 v92, v115, v99, v92
	;;#ASMEND
	;;#ASMSTART
	v_dot2_f32_f16 v92, v116, v100, v92
	;;#ASMEND
	;;#ASMSTART
	v_dot2_f32_f16 v92, v117, v101, v92
	;;#ASMEND
	;;#ASMSTART
	v_dot2_f32_f16 v88, v114, v102, v88
	;;#ASMEND
	;;#ASMSTART
	v_dot2_f32_f16 v88, v115, v103, v88
	;;#ASMEND
	;;#ASMSTART
	v_dot2_f32_f16 v88, v116, v104, v88
	;;#ASMEND
	;;#ASMSTART
	v_dot2_f32_f16 v88, v117, v105, v88
	;;#ASMEND
	;;#ASMSTART
	v_dot2_f32_f16 v84, v114, v106, v84
	;;#ASMEND
	;;#ASMSTART
	v_dot2_f32_f16 v84, v115, v107, v84
	;;#ASMEND
	;;#ASMSTART
	v_dot2_f32_f16 v84, v116, v108, v84
	;;#ASMEND
	;;#ASMSTART
	v_dot2_f32_f16 v84, v117, v109, v84
	;;#ASMEND
	s_waitcnt lgkmcnt(0)
	;;#ASMSTART
	v_dot2_f32_f16 v97, v118, v21, v97
	;;#ASMEND
	;;#ASMSTART
	v_dot2_f32_f16 v97, v119, v22, v97
	;;#ASMEND
	;;#ASMSTART
	v_dot2_f32_f16 v97, v120, v23, v97
	;;#ASMEND
	;;#ASMSTART
	v_dot2_f32_f16 v97, v121, v24, v97
	;;#ASMEND
	;;#ASMSTART
	v_dot2_f32_f16 v93, v118, v98, v93
	;;#ASMEND
	;;#ASMSTART
	v_dot2_f32_f16 v93, v119, v99, v93
	;;#ASMEND
	;;#ASMSTART
	v_dot2_f32_f16 v93, v120, v100, v93
	;;#ASMEND
	;;#ASMSTART
	v_dot2_f32_f16 v93, v121, v101, v93
	;;#ASMEND
	;;#ASMSTART
	v_dot2_f32_f16 v89, v118, v102, v89
	;;#ASMEND
	;;#ASMSTART
	v_dot2_f32_f16 v89, v119, v103, v89
	;;#ASMEND
	;;#ASMSTART
	v_dot2_f32_f16 v89, v120, v104, v89
	;;#ASMEND
	;;#ASMSTART
	v_dot2_f32_f16 v89, v121, v105, v89
	;;#ASMEND
	;;#ASMSTART
	v_dot2_f32_f16 v85, v118, v106, v85
	;;#ASMEND
	;;#ASMSTART
	v_dot2_f32_f16 v85, v119, v107, v85
	;;#ASMEND
	;;#ASMSTART
	v_dot2_f32_f16 v85, v120, v108, v85
	;;#ASMEND
	;;#ASMSTART
	v_dot2_f32_f16 v85, v121, v109, v85
	;;#ASMEND
	ds_load_b128 v[1:4], v54 offset:32
	ds_load_b128 v[21:24], v57 offset:160
	;; [unrolled: 1-line block ×8, first 2 shown]
	s_waitcnt lgkmcnt(6)
	;;#ASMSTART
	v_dot2_f32_f16 v94, v1, v21, v94
	;;#ASMEND
	;;#ASMSTART
	v_dot2_f32_f16 v94, v2, v22, v94
	;;#ASMEND
	;;#ASMSTART
	v_dot2_f32_f16 v94, v3, v23, v94
	;;#ASMEND
	;;#ASMSTART
	v_dot2_f32_f16 v94, v4, v24, v94
	;;#ASMEND
	s_waitcnt lgkmcnt(5)
	;;#ASMSTART
	v_dot2_f32_f16 v90, v1, v98, v90
	;;#ASMEND
	;;#ASMSTART
	v_dot2_f32_f16 v90, v2, v99, v90
	;;#ASMEND
	;;#ASMSTART
	v_dot2_f32_f16 v90, v3, v100, v90
	;;#ASMEND
	;;#ASMSTART
	v_dot2_f32_f16 v90, v4, v101, v90
	;;#ASMEND
	;; [unrolled: 13-line block ×5, first 2 shown]
	;;#ASMSTART
	v_dot2_f32_f16 v91, v110, v98, v91
	;;#ASMEND
	;;#ASMSTART
	v_dot2_f32_f16 v91, v111, v99, v91
	;;#ASMEND
	;; [unrolled: 3-line block ×12, first 2 shown]
	s_waitcnt lgkmcnt(1)
	;;#ASMSTART
	v_dot2_f32_f16 v96, v114, v21, v96
	;;#ASMEND
	;;#ASMSTART
	v_dot2_f32_f16 v96, v115, v22, v96
	;;#ASMEND
	;; [unrolled: 3-line block ×16, first 2 shown]
	s_waitcnt lgkmcnt(0)
	;;#ASMSTART
	v_dot2_f32_f16 v97, v118, v21, v97
	;;#ASMEND
	;;#ASMSTART
	v_dot2_f32_f16 v97, v119, v22, v97
	;;#ASMEND
	;; [unrolled: 3-line block ×16, first 2 shown]
	ds_load_b128 v[1:4], v54 offset:48
	ds_load_b128 v[21:24], v57 offset:176
	;; [unrolled: 1-line block ×8, first 2 shown]
	s_waitcnt lgkmcnt(6)
	;;#ASMSTART
	v_dot2_f32_f16 v94, v1, v21, v94
	;;#ASMEND
	;;#ASMSTART
	v_dot2_f32_f16 v94, v2, v22, v94
	;;#ASMEND
	;;#ASMSTART
	v_dot2_f32_f16 v94, v3, v23, v94
	;;#ASMEND
	;;#ASMSTART
	v_dot2_f32_f16 v94, v4, v24, v94
	;;#ASMEND
	s_waitcnt lgkmcnt(5)
	;;#ASMSTART
	v_dot2_f32_f16 v90, v1, v98, v90
	;;#ASMEND
	;;#ASMSTART
	v_dot2_f32_f16 v90, v2, v99, v90
	;;#ASMEND
	;;#ASMSTART
	v_dot2_f32_f16 v90, v3, v100, v90
	;;#ASMEND
	;;#ASMSTART
	v_dot2_f32_f16 v90, v4, v101, v90
	;;#ASMEND
	;; [unrolled: 13-line block ×5, first 2 shown]
	;;#ASMSTART
	v_dot2_f32_f16 v91, v110, v98, v91
	;;#ASMEND
	;;#ASMSTART
	v_dot2_f32_f16 v91, v111, v99, v91
	;;#ASMEND
	;; [unrolled: 3-line block ×12, first 2 shown]
	s_waitcnt lgkmcnt(1)
	;;#ASMSTART
	v_dot2_f32_f16 v96, v114, v21, v96
	;;#ASMEND
	;;#ASMSTART
	v_dot2_f32_f16 v96, v115, v22, v96
	;;#ASMEND
	;;#ASMSTART
	v_dot2_f32_f16 v96, v116, v23, v96
	;;#ASMEND
	;;#ASMSTART
	v_dot2_f32_f16 v96, v117, v24, v96
	;;#ASMEND
	;;#ASMSTART
	v_dot2_f32_f16 v92, v114, v98, v92
	;;#ASMEND
	;;#ASMSTART
	v_dot2_f32_f16 v92, v115, v99, v92
	;;#ASMEND
	;;#ASMSTART
	v_dot2_f32_f16 v92, v116, v100, v92
	;;#ASMEND
	;;#ASMSTART
	v_dot2_f32_f16 v92, v117, v101, v92
	;;#ASMEND
	;;#ASMSTART
	v_dot2_f32_f16 v88, v114, v102, v88
	;;#ASMEND
	;;#ASMSTART
	v_dot2_f32_f16 v88, v115, v103, v88
	;;#ASMEND
	;;#ASMSTART
	v_dot2_f32_f16 v88, v116, v104, v88
	;;#ASMEND
	;;#ASMSTART
	v_dot2_f32_f16 v88, v117, v105, v88
	;;#ASMEND
	;;#ASMSTART
	v_dot2_f32_f16 v84, v114, v106, v84
	;;#ASMEND
	;;#ASMSTART
	v_dot2_f32_f16 v84, v115, v107, v84
	;;#ASMEND
	;;#ASMSTART
	v_dot2_f32_f16 v84, v116, v108, v84
	;;#ASMEND
	;;#ASMSTART
	v_dot2_f32_f16 v84, v117, v109, v84
	;;#ASMEND
	s_waitcnt lgkmcnt(0)
	;;#ASMSTART
	v_dot2_f32_f16 v97, v118, v21, v97
	;;#ASMEND
	;;#ASMSTART
	v_dot2_f32_f16 v97, v119, v22, v97
	;;#ASMEND
	;; [unrolled: 3-line block ×16, first 2 shown]
	ds_load_b128 v[1:4], v54 offset:64
	ds_load_b128 v[21:24], v57 offset:192
	;; [unrolled: 1-line block ×8, first 2 shown]
	s_waitcnt lgkmcnt(6)
	;;#ASMSTART
	v_dot2_f32_f16 v94, v1, v21, v94
	;;#ASMEND
	;;#ASMSTART
	v_dot2_f32_f16 v94, v2, v22, v94
	;;#ASMEND
	;;#ASMSTART
	v_dot2_f32_f16 v94, v3, v23, v94
	;;#ASMEND
	;;#ASMSTART
	v_dot2_f32_f16 v94, v4, v24, v94
	;;#ASMEND
	s_waitcnt lgkmcnt(5)
	;;#ASMSTART
	v_dot2_f32_f16 v90, v1, v98, v90
	;;#ASMEND
	;;#ASMSTART
	v_dot2_f32_f16 v90, v2, v99, v90
	;;#ASMEND
	;;#ASMSTART
	v_dot2_f32_f16 v90, v3, v100, v90
	;;#ASMEND
	;;#ASMSTART
	v_dot2_f32_f16 v90, v4, v101, v90
	;;#ASMEND
	s_waitcnt lgkmcnt(4)
	;;#ASMSTART
	v_dot2_f32_f16 v86, v1, v102, v86
	;;#ASMEND
	;;#ASMSTART
	v_dot2_f32_f16 v86, v2, v103, v86
	;;#ASMEND
	;;#ASMSTART
	v_dot2_f32_f16 v86, v3, v104, v86
	;;#ASMEND
	;;#ASMSTART
	v_dot2_f32_f16 v86, v4, v105, v86
	;;#ASMEND
	s_waitcnt lgkmcnt(3)
	;;#ASMSTART
	v_dot2_f32_f16 v82, v1, v106, v82
	;;#ASMEND
	;;#ASMSTART
	v_dot2_f32_f16 v82, v2, v107, v82
	;;#ASMEND
	;;#ASMSTART
	v_dot2_f32_f16 v82, v3, v108, v82
	;;#ASMEND
	;;#ASMSTART
	v_dot2_f32_f16 v82, v4, v109, v82
	;;#ASMEND
	s_waitcnt lgkmcnt(2)
	;;#ASMSTART
	v_dot2_f32_f16 v95, v110, v21, v95
	;;#ASMEND
	;;#ASMSTART
	v_dot2_f32_f16 v95, v111, v22, v95
	;;#ASMEND
	;;#ASMSTART
	v_dot2_f32_f16 v95, v112, v23, v95
	;;#ASMEND
	;;#ASMSTART
	v_dot2_f32_f16 v95, v113, v24, v95
	;;#ASMEND
	;;#ASMSTART
	v_dot2_f32_f16 v91, v110, v98, v91
	;;#ASMEND
	;;#ASMSTART
	v_dot2_f32_f16 v91, v111, v99, v91
	;;#ASMEND
	;; [unrolled: 3-line block ×12, first 2 shown]
	s_waitcnt lgkmcnt(1)
	;;#ASMSTART
	v_dot2_f32_f16 v96, v114, v21, v96
	;;#ASMEND
	;;#ASMSTART
	v_dot2_f32_f16 v96, v115, v22, v96
	;;#ASMEND
	;; [unrolled: 3-line block ×16, first 2 shown]
	s_waitcnt lgkmcnt(0)
	;;#ASMSTART
	v_dot2_f32_f16 v97, v118, v21, v97
	;;#ASMEND
	;;#ASMSTART
	v_dot2_f32_f16 v97, v119, v22, v97
	;;#ASMEND
	;; [unrolled: 3-line block ×16, first 2 shown]
	ds_load_b128 v[1:4], v54 offset:80
	ds_load_b128 v[21:24], v57 offset:208
	;; [unrolled: 1-line block ×8, first 2 shown]
	s_waitcnt lgkmcnt(6)
	;;#ASMSTART
	v_dot2_f32_f16 v94, v1, v21, v94
	;;#ASMEND
	;;#ASMSTART
	v_dot2_f32_f16 v94, v2, v22, v94
	;;#ASMEND
	;;#ASMSTART
	v_dot2_f32_f16 v94, v3, v23, v94
	;;#ASMEND
	;;#ASMSTART
	v_dot2_f32_f16 v94, v4, v24, v94
	;;#ASMEND
	s_waitcnt lgkmcnt(5)
	;;#ASMSTART
	v_dot2_f32_f16 v90, v1, v98, v90
	;;#ASMEND
	;;#ASMSTART
	v_dot2_f32_f16 v90, v2, v99, v90
	;;#ASMEND
	;;#ASMSTART
	v_dot2_f32_f16 v90, v3, v100, v90
	;;#ASMEND
	;;#ASMSTART
	v_dot2_f32_f16 v90, v4, v101, v90
	;;#ASMEND
	s_waitcnt lgkmcnt(4)
	;;#ASMSTART
	v_dot2_f32_f16 v86, v1, v102, v86
	;;#ASMEND
	;;#ASMSTART
	v_dot2_f32_f16 v86, v2, v103, v86
	;;#ASMEND
	;;#ASMSTART
	v_dot2_f32_f16 v86, v3, v104, v86
	;;#ASMEND
	;;#ASMSTART
	v_dot2_f32_f16 v86, v4, v105, v86
	;;#ASMEND
	s_waitcnt lgkmcnt(3)
	;;#ASMSTART
	v_dot2_f32_f16 v82, v1, v106, v82
	;;#ASMEND
	;;#ASMSTART
	v_dot2_f32_f16 v82, v2, v107, v82
	;;#ASMEND
	;;#ASMSTART
	v_dot2_f32_f16 v82, v3, v108, v82
	;;#ASMEND
	;;#ASMSTART
	v_dot2_f32_f16 v82, v4, v109, v82
	;;#ASMEND
	s_waitcnt lgkmcnt(2)
	;;#ASMSTART
	v_dot2_f32_f16 v95, v110, v21, v95
	;;#ASMEND
	;;#ASMSTART
	v_dot2_f32_f16 v95, v111, v22, v95
	;;#ASMEND
	;;#ASMSTART
	v_dot2_f32_f16 v95, v112, v23, v95
	;;#ASMEND
	;;#ASMSTART
	v_dot2_f32_f16 v95, v113, v24, v95
	;;#ASMEND
	;;#ASMSTART
	v_dot2_f32_f16 v91, v110, v98, v91
	;;#ASMEND
	;;#ASMSTART
	v_dot2_f32_f16 v91, v111, v99, v91
	;;#ASMEND
	;; [unrolled: 3-line block ×12, first 2 shown]
	s_waitcnt lgkmcnt(1)
	;;#ASMSTART
	v_dot2_f32_f16 v96, v114, v21, v96
	;;#ASMEND
	;;#ASMSTART
	v_dot2_f32_f16 v96, v115, v22, v96
	;;#ASMEND
	;; [unrolled: 3-line block ×16, first 2 shown]
	s_waitcnt lgkmcnt(0)
	;;#ASMSTART
	v_dot2_f32_f16 v97, v118, v21, v97
	;;#ASMEND
	;;#ASMSTART
	v_dot2_f32_f16 v97, v119, v22, v97
	;;#ASMEND
	;; [unrolled: 3-line block ×16, first 2 shown]
	ds_load_b128 v[1:4], v54 offset:96
	ds_load_b128 v[21:24], v57 offset:224
	;; [unrolled: 1-line block ×8, first 2 shown]
	s_waitcnt lgkmcnt(6)
	;;#ASMSTART
	v_dot2_f32_f16 v94, v1, v21, v94
	;;#ASMEND
	;;#ASMSTART
	v_dot2_f32_f16 v94, v2, v22, v94
	;;#ASMEND
	;;#ASMSTART
	v_dot2_f32_f16 v94, v3, v23, v94
	;;#ASMEND
	;;#ASMSTART
	v_dot2_f32_f16 v94, v4, v24, v94
	;;#ASMEND
	s_waitcnt lgkmcnt(5)
	;;#ASMSTART
	v_dot2_f32_f16 v90, v1, v98, v90
	;;#ASMEND
	;;#ASMSTART
	v_dot2_f32_f16 v90, v2, v99, v90
	;;#ASMEND
	;;#ASMSTART
	v_dot2_f32_f16 v90, v3, v100, v90
	;;#ASMEND
	;;#ASMSTART
	v_dot2_f32_f16 v90, v4, v101, v90
	;;#ASMEND
	;; [unrolled: 13-line block ×5, first 2 shown]
	;;#ASMSTART
	v_dot2_f32_f16 v91, v110, v98, v91
	;;#ASMEND
	;;#ASMSTART
	v_dot2_f32_f16 v91, v111, v99, v91
	;;#ASMEND
	;; [unrolled: 3-line block ×12, first 2 shown]
	s_waitcnt lgkmcnt(1)
	;;#ASMSTART
	v_dot2_f32_f16 v96, v114, v21, v96
	;;#ASMEND
	;;#ASMSTART
	v_dot2_f32_f16 v96, v115, v22, v96
	;;#ASMEND
	;; [unrolled: 3-line block ×16, first 2 shown]
	s_waitcnt lgkmcnt(0)
	;;#ASMSTART
	v_dot2_f32_f16 v97, v118, v21, v97
	;;#ASMEND
	;;#ASMSTART
	v_dot2_f32_f16 v97, v119, v22, v97
	;;#ASMEND
	;; [unrolled: 3-line block ×16, first 2 shown]
	ds_load_b128 v[1:4], v54 offset:112
	ds_load_b128 v[21:24], v57 offset:240
	;; [unrolled: 1-line block ×8, first 2 shown]
	s_waitcnt lgkmcnt(6)
	;;#ASMSTART
	v_dot2_f32_f16 v94, v1, v21, v94
	;;#ASMEND
	;;#ASMSTART
	v_dot2_f32_f16 v94, v2, v22, v94
	;;#ASMEND
	;;#ASMSTART
	v_dot2_f32_f16 v94, v3, v23, v94
	;;#ASMEND
	;;#ASMSTART
	v_dot2_f32_f16 v94, v4, v24, v94
	;;#ASMEND
	s_waitcnt lgkmcnt(5)
	;;#ASMSTART
	v_dot2_f32_f16 v90, v1, v98, v90
	;;#ASMEND
	;;#ASMSTART
	v_dot2_f32_f16 v90, v2, v99, v90
	;;#ASMEND
	;;#ASMSTART
	v_dot2_f32_f16 v90, v3, v100, v90
	;;#ASMEND
	;;#ASMSTART
	v_dot2_f32_f16 v90, v4, v101, v90
	;;#ASMEND
	;; [unrolled: 13-line block ×5, first 2 shown]
	;;#ASMSTART
	v_dot2_f32_f16 v91, v110, v98, v91
	;;#ASMEND
	;;#ASMSTART
	v_dot2_f32_f16 v91, v111, v99, v91
	;;#ASMEND
	;; [unrolled: 3-line block ×12, first 2 shown]
	s_waitcnt lgkmcnt(1)
	;;#ASMSTART
	v_dot2_f32_f16 v96, v114, v21, v96
	;;#ASMEND
	;;#ASMSTART
	v_dot2_f32_f16 v96, v115, v22, v96
	;;#ASMEND
	;; [unrolled: 3-line block ×16, first 2 shown]
	s_waitcnt lgkmcnt(0)
	;;#ASMSTART
	v_dot2_f32_f16 v97, v118, v21, v97
	;;#ASMEND
	;;#ASMSTART
	v_dot2_f32_f16 v97, v119, v22, v97
	;;#ASMEND
	;; [unrolled: 3-line block ×9, first 2 shown]
	v_cmp_ngt_f32_e64 s4, 0x3f200000, |v94|
	;;#ASMSTART
	v_dot2_f32_f16 v89, v119, v103, v89
	;;#ASMEND
	;;#ASMSTART
	v_dot2_f32_f16 v89, v120, v104, v89
	;;#ASMEND
	;; [unrolled: 3-line block ×7, first 2 shown]
                                        ; implicit-def: $vgpr4
	s_and_saveexec_b32 s5, s4
	s_delay_alu instid0(SALU_CYCLE_1)
	s_xor_b32 s4, exec_lo, s5
	s_cbranch_execz .LBB87_10
; %bb.9:                                ;   in Loop: Header=BB87_8 Depth=1
	v_add_f32_e64 v1, |v94|, |v94|
	s_delay_alu instid0(VALU_DEP_1) | instskip(SKIP_1) | instid1(VALU_DEP_2)
	v_mul_f32_e32 v2, 0x3fb8aa3b, v1
	v_cmp_ngt_f32_e32 vcc_lo, 0xc2ce8ed0, v1
	v_rndne_f32_e32 v3, v2
	v_fma_f32 v4, 0x3fb8aa3b, v1, -v2
	s_delay_alu instid0(VALU_DEP_2) | instskip(NEXT) | instid1(VALU_DEP_2)
	v_sub_f32_e32 v2, v2, v3
	v_fmac_f32_e32 v4, 0x32a5705f, v1
	v_cvt_i32_f32_e32 v3, v3
	s_delay_alu instid0(VALU_DEP_2) | instskip(NEXT) | instid1(VALU_DEP_1)
	v_add_f32_e32 v2, v2, v4
	v_exp_f32_e32 v2, v2
	s_waitcnt_depctr 0xfff
	v_ldexp_f32 v2, v2, v3
	s_delay_alu instid0(VALU_DEP_1) | instskip(SKIP_1) | instid1(VALU_DEP_2)
	v_cndmask_b32_e32 v2, 0, v2, vcc_lo
	v_cmp_nlt_f32_e32 vcc_lo, 0x42b17218, v1
	v_cndmask_b32_e32 v1, 0x7f800000, v2, vcc_lo
	s_delay_alu instid0(VALU_DEP_1) | instskip(NEXT) | instid1(VALU_DEP_1)
	v_add_f32_e32 v1, 1.0, v1
	v_rcp_f32_e32 v1, v1
	s_waitcnt_depctr 0xfff
	v_fma_f32 v4, v1, -2.0, 1.0
.LBB87_10:                              ;   in Loop: Header=BB87_8 Depth=1
	s_and_not1_saveexec_b32 s4, s4
; %bb.11:                               ;   in Loop: Header=BB87_8 Depth=1
	v_mul_f32_e32 v1, v94, v94
	s_delay_alu instid0(VALU_DEP_1) | instskip(NEXT) | instid1(VALU_DEP_1)
	v_fmaak_f32 v2, s49, v1, 0x3ca908c9
	v_fmaak_f32 v2, v1, v2, 0xbd5c1c4e
	s_delay_alu instid0(VALU_DEP_1) | instskip(NEXT) | instid1(VALU_DEP_1)
	v_fmaak_f32 v2, v1, v2, 0x3e088382
	v_fmaak_f32 v2, v1, v2, 0xbeaaaa99
	s_delay_alu instid0(VALU_DEP_1) | instskip(NEXT) | instid1(VALU_DEP_1)
	v_mul_f32_e64 v2, |v94|, v2
	v_fma_f32 v4, v1, v2, |v94|
; %bb.12:                               ;   in Loop: Header=BB87_8 Depth=1
	s_or_b32 exec_lo, exec_lo, s4
	v_add_nc_u32_e32 v3, s12, v34
	s_and_not1_b32 vcc_lo, exec_lo, s21
	s_delay_alu instid0(VALU_DEP_1) | instskip(NEXT) | instid1(VALU_DEP_1)
	v_add_nc_u32_e32 v1, v3, v62
	v_ashrrev_i32_e32 v2, 31, v1
	s_cbranch_vccnz .LBB87_106
; %bb.13:                               ;   in Loop: Header=BB87_8 Depth=1
	s_delay_alu instid0(VALU_DEP_1) | instskip(NEXT) | instid1(VALU_DEP_1)
	v_lshlrev_b64 v[21:22], 1, v[1:2]
	v_add_co_u32 v21, vcc_lo, s40, v21
	s_delay_alu instid0(VALU_DEP_2) | instskip(SKIP_3) | instid1(VALU_DEP_1)
	v_add_co_ci_u32_e32 v22, vcc_lo, s41, v22, vcc_lo
	flat_load_u16 v21, v[21:22]
	s_waitcnt vmcnt(0) lgkmcnt(0)
	v_cvt_f32_f16_e32 v21, v21
	v_mul_f32_e32 v21, v43, v21
	v_cmp_ngt_f32_e64 s4, 0x3f200000, |v95|
                                        ; implicit-def: $vgpr22
	s_delay_alu instid0(VALU_DEP_1) | instskip(NEXT) | instid1(SALU_CYCLE_1)
	s_and_saveexec_b32 s5, s4
	s_xor_b32 s4, exec_lo, s5
	s_cbranch_execz .LBB87_15
.LBB87_14:                              ;   in Loop: Header=BB87_8 Depth=1
	v_add_f32_e64 v22, |v95|, |v95|
	s_delay_alu instid0(VALU_DEP_1) | instskip(SKIP_1) | instid1(VALU_DEP_2)
	v_mul_f32_e32 v23, 0x3fb8aa3b, v22
	v_cmp_ngt_f32_e32 vcc_lo, 0xc2ce8ed0, v22
	v_rndne_f32_e32 v24, v23
	v_fma_f32 v98, 0x3fb8aa3b, v22, -v23
	s_delay_alu instid0(VALU_DEP_1) | instskip(SKIP_1) | instid1(VALU_DEP_2)
	v_dual_sub_f32 v23, v23, v24 :: v_dual_fmac_f32 v98, 0x32a5705f, v22
	v_cvt_i32_f32_e32 v24, v24
	v_add_f32_e32 v23, v23, v98
	s_delay_alu instid0(VALU_DEP_1) | instskip(SKIP_2) | instid1(VALU_DEP_1)
	v_exp_f32_e32 v23, v23
	s_waitcnt_depctr 0xfff
	v_ldexp_f32 v23, v23, v24
	v_cndmask_b32_e32 v23, 0, v23, vcc_lo
	v_cmp_nlt_f32_e32 vcc_lo, 0x42b17218, v22
	s_delay_alu instid0(VALU_DEP_2) | instskip(NEXT) | instid1(VALU_DEP_1)
	v_cndmask_b32_e32 v22, 0x7f800000, v23, vcc_lo
	v_add_f32_e32 v22, 1.0, v22
	s_delay_alu instid0(VALU_DEP_1)
	v_rcp_f32_e32 v22, v22
	s_waitcnt_depctr 0xfff
	v_fma_f32 v22, v22, -2.0, 1.0
.LBB87_15:                              ;   in Loop: Header=BB87_8 Depth=1
	s_and_not1_saveexec_b32 s4, s4
	s_cbranch_execz .LBB87_18
; %bb.16:                               ;   in Loop: Header=BB87_8 Depth=1
	v_mul_f32_e32 v22, v95, v95
	s_delay_alu instid0(VALU_DEP_1) | instskip(NEXT) | instid1(VALU_DEP_1)
	v_fmaak_f32 v23, s49, v22, 0x3ca908c9
	v_fmaak_f32 v23, v22, v23, 0xbd5c1c4e
	s_delay_alu instid0(VALU_DEP_1) | instskip(NEXT) | instid1(VALU_DEP_1)
	v_fmaak_f32 v23, v22, v23, 0x3e088382
	v_fmaak_f32 v23, v22, v23, 0xbeaaaa99
	s_delay_alu instid0(VALU_DEP_1) | instskip(NEXT) | instid1(VALU_DEP_1)
	v_mul_f32_e64 v23, |v95|, v23
	v_fma_f32 v22, v22, v23, |v95|
	s_or_b32 exec_lo, exec_lo, s4
	s_delay_alu instid0(SALU_CYCLE_1)
	s_and_not1_b32 vcc_lo, exec_lo, s21
	s_cbranch_vccz .LBB87_19
.LBB87_17:                              ;   in Loop: Header=BB87_8 Depth=1
	v_mov_b32_e32 v98, 0
	v_cmp_ngt_f32_e64 s4, 0x3f200000, |v96|
                                        ; implicit-def: $vgpr23
	s_delay_alu instid0(VALU_DEP_1) | instskip(NEXT) | instid1(SALU_CYCLE_1)
	s_and_saveexec_b32 s5, s4
	s_xor_b32 s4, exec_lo, s5
	s_cbranch_execz .LBB87_21
	s_branch .LBB87_20
.LBB87_18:                              ;   in Loop: Header=BB87_8 Depth=1
	s_or_b32 exec_lo, exec_lo, s4
	s_delay_alu instid0(SALU_CYCLE_1)
	s_and_not1_b32 vcc_lo, exec_lo, s21
	s_cbranch_vccnz .LBB87_17
.LBB87_19:                              ;   in Loop: Header=BB87_8 Depth=1
	v_lshlrev_b64 v[23:24], 1, v[1:2]
	s_delay_alu instid0(VALU_DEP_1) | instskip(NEXT) | instid1(VALU_DEP_2)
	v_add_co_u32 v23, vcc_lo, s43, v23
	v_add_co_ci_u32_e32 v24, vcc_lo, s44, v24, vcc_lo
	flat_load_u16 v23, v[23:24]
	s_waitcnt vmcnt(0) lgkmcnt(0)
	v_cvt_f32_f16_e32 v23, v23
	s_delay_alu instid0(VALU_DEP_1) | instskip(SKIP_1) | instid1(VALU_DEP_1)
	v_mul_f32_e32 v98, v43, v23
	v_cmp_ngt_f32_e64 s4, 0x3f200000, |v96|
                                        ; implicit-def: $vgpr23
	s_and_saveexec_b32 s5, s4
	s_delay_alu instid0(SALU_CYCLE_1)
	s_xor_b32 s4, exec_lo, s5
	s_cbranch_execz .LBB87_21
.LBB87_20:                              ;   in Loop: Header=BB87_8 Depth=1
	v_add_f32_e64 v23, |v96|, |v96|
	s_delay_alu instid0(VALU_DEP_1) | instskip(SKIP_1) | instid1(VALU_DEP_2)
	v_mul_f32_e32 v24, 0x3fb8aa3b, v23
	v_cmp_ngt_f32_e32 vcc_lo, 0xc2ce8ed0, v23
	v_rndne_f32_e32 v99, v24
	v_fma_f32 v100, 0x3fb8aa3b, v23, -v24
	s_delay_alu instid0(VALU_DEP_2) | instskip(NEXT) | instid1(VALU_DEP_2)
	v_sub_f32_e32 v24, v24, v99
	v_fmac_f32_e32 v100, 0x32a5705f, v23
	v_cvt_i32_f32_e32 v99, v99
	s_delay_alu instid0(VALU_DEP_2) | instskip(NEXT) | instid1(VALU_DEP_1)
	v_add_f32_e32 v24, v24, v100
	v_exp_f32_e32 v24, v24
	s_waitcnt_depctr 0xfff
	v_ldexp_f32 v24, v24, v99
	s_delay_alu instid0(VALU_DEP_1) | instskip(SKIP_1) | instid1(VALU_DEP_2)
	v_cndmask_b32_e32 v24, 0, v24, vcc_lo
	v_cmp_nlt_f32_e32 vcc_lo, 0x42b17218, v23
	v_cndmask_b32_e32 v23, 0x7f800000, v24, vcc_lo
	s_delay_alu instid0(VALU_DEP_1) | instskip(NEXT) | instid1(VALU_DEP_1)
	v_add_f32_e32 v23, 1.0, v23
	v_rcp_f32_e32 v23, v23
	s_waitcnt_depctr 0xfff
	v_fma_f32 v23, v23, -2.0, 1.0
.LBB87_21:                              ;   in Loop: Header=BB87_8 Depth=1
	s_and_not1_saveexec_b32 s4, s4
	s_cbranch_execz .LBB87_24
; %bb.22:                               ;   in Loop: Header=BB87_8 Depth=1
	v_mul_f32_e32 v23, v96, v96
	s_delay_alu instid0(VALU_DEP_1) | instskip(NEXT) | instid1(VALU_DEP_1)
	v_fmaak_f32 v24, s49, v23, 0x3ca908c9
	v_fmaak_f32 v24, v23, v24, 0xbd5c1c4e
	s_delay_alu instid0(VALU_DEP_1) | instskip(NEXT) | instid1(VALU_DEP_1)
	v_fmaak_f32 v24, v23, v24, 0x3e088382
	v_fmaak_f32 v24, v23, v24, 0xbeaaaa99
	s_delay_alu instid0(VALU_DEP_1) | instskip(NEXT) | instid1(VALU_DEP_1)
	v_mul_f32_e64 v24, |v96|, v24
	v_fma_f32 v23, v23, v24, |v96|
	s_or_b32 exec_lo, exec_lo, s4
	s_delay_alu instid0(SALU_CYCLE_1)
	s_and_not1_b32 vcc_lo, exec_lo, s21
	s_cbranch_vccz .LBB87_25
.LBB87_23:                              ;   in Loop: Header=BB87_8 Depth=1
	v_mov_b32_e32 v99, 0
	v_cmp_ngt_f32_e64 s4, 0x3f200000, |v97|
                                        ; implicit-def: $vgpr24
	s_delay_alu instid0(VALU_DEP_1) | instskip(NEXT) | instid1(SALU_CYCLE_1)
	s_and_saveexec_b32 s5, s4
	s_xor_b32 s4, exec_lo, s5
	s_cbranch_execz .LBB87_27
	s_branch .LBB87_26
.LBB87_24:                              ;   in Loop: Header=BB87_8 Depth=1
	s_or_b32 exec_lo, exec_lo, s4
	s_delay_alu instid0(SALU_CYCLE_1)
	s_and_not1_b32 vcc_lo, exec_lo, s21
	s_cbranch_vccnz .LBB87_23
.LBB87_25:                              ;   in Loop: Header=BB87_8 Depth=1
	v_lshlrev_b64 v[99:100], 1, v[1:2]
	s_delay_alu instid0(VALU_DEP_1) | instskip(NEXT) | instid1(VALU_DEP_2)
	v_add_co_u32 v99, vcc_lo, s45, v99
	v_add_co_ci_u32_e32 v100, vcc_lo, s46, v100, vcc_lo
	flat_load_u16 v24, v[99:100]
	s_waitcnt vmcnt(0) lgkmcnt(0)
	v_cvt_f32_f16_e32 v24, v24
	s_delay_alu instid0(VALU_DEP_1) | instskip(SKIP_1) | instid1(VALU_DEP_1)
	v_mul_f32_e32 v99, v43, v24
	v_cmp_ngt_f32_e64 s4, 0x3f200000, |v97|
                                        ; implicit-def: $vgpr24
	s_and_saveexec_b32 s5, s4
	s_delay_alu instid0(SALU_CYCLE_1)
	s_xor_b32 s4, exec_lo, s5
	s_cbranch_execz .LBB87_27
.LBB87_26:                              ;   in Loop: Header=BB87_8 Depth=1
	v_add_f32_e64 v24, |v97|, |v97|
	s_delay_alu instid0(VALU_DEP_1) | instskip(SKIP_1) | instid1(VALU_DEP_2)
	v_mul_f32_e32 v100, 0x3fb8aa3b, v24
	v_cmp_ngt_f32_e32 vcc_lo, 0xc2ce8ed0, v24
	v_rndne_f32_e32 v101, v100
	v_fma_f32 v102, 0x3fb8aa3b, v24, -v100
	s_delay_alu instid0(VALU_DEP_2) | instskip(NEXT) | instid1(VALU_DEP_2)
	v_sub_f32_e32 v100, v100, v101
	v_fmac_f32_e32 v102, 0x32a5705f, v24
	v_cvt_i32_f32_e32 v101, v101
	s_delay_alu instid0(VALU_DEP_2) | instskip(NEXT) | instid1(VALU_DEP_1)
	v_add_f32_e32 v100, v100, v102
	v_exp_f32_e32 v100, v100
	s_waitcnt_depctr 0xfff
	v_ldexp_f32 v100, v100, v101
	s_delay_alu instid0(VALU_DEP_1) | instskip(SKIP_1) | instid1(VALU_DEP_2)
	v_cndmask_b32_e32 v100, 0, v100, vcc_lo
	v_cmp_nlt_f32_e32 vcc_lo, 0x42b17218, v24
	v_cndmask_b32_e32 v24, 0x7f800000, v100, vcc_lo
	s_delay_alu instid0(VALU_DEP_1) | instskip(NEXT) | instid1(VALU_DEP_1)
	v_add_f32_e32 v24, 1.0, v24
	v_rcp_f32_e32 v24, v24
	s_waitcnt_depctr 0xfff
	v_fma_f32 v24, v24, -2.0, 1.0
.LBB87_27:                              ;   in Loop: Header=BB87_8 Depth=1
	s_and_not1_saveexec_b32 s4, s4
	s_cbranch_execz .LBB87_30
; %bb.28:                               ;   in Loop: Header=BB87_8 Depth=1
	v_mul_f32_e32 v24, v97, v97
	s_delay_alu instid0(VALU_DEP_1) | instskip(NEXT) | instid1(VALU_DEP_1)
	v_fmaak_f32 v100, s49, v24, 0x3ca908c9
	v_fmaak_f32 v100, v24, v100, 0xbd5c1c4e
	s_delay_alu instid0(VALU_DEP_1) | instskip(NEXT) | instid1(VALU_DEP_1)
	v_fmaak_f32 v100, v24, v100, 0x3e088382
	v_fmaak_f32 v100, v24, v100, 0xbeaaaa99
	s_delay_alu instid0(VALU_DEP_1) | instskip(NEXT) | instid1(VALU_DEP_1)
	v_mul_f32_e64 v100, |v97|, v100
	v_fma_f32 v24, v24, v100, |v97|
	s_or_b32 exec_lo, exec_lo, s4
	s_delay_alu instid0(SALU_CYCLE_1)
	s_and_not1_b32 vcc_lo, exec_lo, s21
	s_cbranch_vccz .LBB87_31
.LBB87_29:                              ;   in Loop: Header=BB87_8 Depth=1
	v_mov_b32_e32 v100, 0
	s_branch .LBB87_32
.LBB87_30:                              ;   in Loop: Header=BB87_8 Depth=1
	s_or_b32 exec_lo, exec_lo, s4
	s_delay_alu instid0(SALU_CYCLE_1)
	s_and_not1_b32 vcc_lo, exec_lo, s21
	s_cbranch_vccnz .LBB87_29
.LBB87_31:                              ;   in Loop: Header=BB87_8 Depth=1
	v_lshlrev_b64 v[1:2], 1, v[1:2]
	s_delay_alu instid0(VALU_DEP_1) | instskip(NEXT) | instid1(VALU_DEP_2)
	v_add_co_u32 v1, vcc_lo, s47, v1
	v_add_co_ci_u32_e32 v2, vcc_lo, s48, v2, vcc_lo
	flat_load_u16 v1, v[1:2]
	s_waitcnt vmcnt(0) lgkmcnt(0)
	v_cvt_f32_f16_e32 v1, v1
	s_delay_alu instid0(VALU_DEP_1)
	v_mul_f32_e32 v100, v43, v1
.LBB87_32:                              ;   in Loop: Header=BB87_8 Depth=1
	v_bfi_b32 v1, 0x7fffffff, v4, v94
	v_bfi_b32 v2, 0x7fffffff, v22, v95
	v_bfi_b32 v4, 0x7fffffff, v23, v96
	v_xor_b32_e32 v94, 1, v73
	v_cmp_ngt_f32_e64 s4, 0x3f200000, |v90|
	s_delay_alu instid0(VALU_DEP_4) | instskip(SKIP_2) | instid1(VALU_DEP_3)
	v_dual_fmac_f32 v21, s23, v1 :: v_dual_fmac_f32 v98, s23, v2
	v_xor_b32_e32 v2, 16, v73
	v_bfi_b32 v1, 0x7fffffff, v24, v97
	v_dual_fmac_f32 v99, s23, v4 :: v_dual_add_f32 v4, 0x40051340, v21
	v_xor_b32_e32 v24, 2, v73
	s_delay_alu instid0(VALU_DEP_4) | instskip(NEXT) | instid1(VALU_DEP_4)
	v_cmp_gt_i32_e32 vcc_lo, 32, v2
	v_fmac_f32_e32 v100, s23, v1
                                        ; implicit-def: $vgpr104
	v_cndmask_b32_e32 v1, v73, v2, vcc_lo
	s_delay_alu instid0(VALU_DEP_2) | instskip(SKIP_1) | instid1(VALU_DEP_2)
	v_dual_add_f32 v22, 0x40051340, v98 :: v_dual_add_f32 v23, 0x40051340, v100
	v_add_f32_e32 v2, 0x40051340, v99
	v_max3_f32 v22, v80, v4, v22
	s_delay_alu instid0(VALU_DEP_4) | instskip(NEXT) | instid1(VALU_DEP_2)
	v_lshlrev_b32_e32 v4, 2, v1
	v_max3_f32 v1, v22, v2, v23
	v_xor_b32_e32 v22, 8, v73
	v_xor_b32_e32 v23, 4, v73
	ds_bpermute_b32 v2, v4, v1
	v_cmp_gt_i32_e32 vcc_lo, 32, v22
	v_cndmask_b32_e32 v22, v73, v22, vcc_lo
	v_cmp_gt_i32_e32 vcc_lo, 32, v23
	v_cndmask_b32_e32 v23, v73, v23, vcc_lo
	v_cmp_gt_i32_e32 vcc_lo, 32, v24
	s_delay_alu instid0(VALU_DEP_2)
	v_lshlrev_b32_e32 v23, 2, v23
	v_lshlrev_b32_e32 v22, 2, v22
	v_cndmask_b32_e32 v24, v73, v24, vcc_lo
	s_waitcnt lgkmcnt(0)
	v_max_f32_e32 v2, v2, v2
	v_cmp_gt_i32_e32 vcc_lo, 32, v94
	s_delay_alu instid0(VALU_DEP_2)
	v_dual_max_f32 v1, v1, v2 :: v_dual_lshlrev_b32 v24, 2, v24
	v_cndmask_b32_e32 v94, v73, v94, vcc_lo
	ds_bpermute_b32 v2, v22, v1
	v_lshlrev_b32_e32 v97, 2, v94
	s_waitcnt lgkmcnt(0)
	v_max_f32_e32 v2, v2, v2
	s_delay_alu instid0(VALU_DEP_1) | instskip(SKIP_3) | instid1(VALU_DEP_1)
	v_max_f32_e32 v1, v1, v2
	ds_bpermute_b32 v2, v23, v1
	s_waitcnt lgkmcnt(0)
	v_max_f32_e32 v2, v2, v2
	v_max_f32_e32 v1, v1, v2
	ds_bpermute_b32 v2, v24, v1
	s_waitcnt lgkmcnt(0)
	v_max_f32_e32 v2, v2, v2
	s_delay_alu instid0(VALU_DEP_1) | instskip(SKIP_2) | instid1(SALU_CYCLE_1)
	v_max_f32_e32 v102, v1, v2
	ds_bpermute_b32 v103, v97, v102
	s_and_saveexec_b32 s5, s4
	s_xor_b32 s4, exec_lo, s5
	s_cbranch_execz .LBB87_34
; %bb.33:                               ;   in Loop: Header=BB87_8 Depth=1
	v_add_f32_e64 v1, |v90|, |v90|
	s_delay_alu instid0(VALU_DEP_1) | instskip(SKIP_1) | instid1(VALU_DEP_2)
	v_mul_f32_e32 v2, 0x3fb8aa3b, v1
	v_cmp_ngt_f32_e32 vcc_lo, 0xc2ce8ed0, v1
	v_rndne_f32_e32 v94, v2
	v_fma_f32 v95, 0x3fb8aa3b, v1, -v2
	s_delay_alu instid0(VALU_DEP_1) | instskip(SKIP_1) | instid1(VALU_DEP_2)
	v_dual_sub_f32 v2, v2, v94 :: v_dual_fmac_f32 v95, 0x32a5705f, v1
	v_cvt_i32_f32_e32 v94, v94
	v_add_f32_e32 v2, v2, v95
	s_delay_alu instid0(VALU_DEP_1) | instskip(SKIP_2) | instid1(VALU_DEP_1)
	v_exp_f32_e32 v2, v2
	s_waitcnt_depctr 0xfff
	v_ldexp_f32 v2, v2, v94
	v_cndmask_b32_e32 v2, 0, v2, vcc_lo
	v_cmp_nlt_f32_e32 vcc_lo, 0x42b17218, v1
	s_delay_alu instid0(VALU_DEP_2) | instskip(NEXT) | instid1(VALU_DEP_1)
	v_cndmask_b32_e32 v1, 0x7f800000, v2, vcc_lo
	v_add_f32_e32 v1, 1.0, v1
	s_delay_alu instid0(VALU_DEP_1)
	v_rcp_f32_e32 v1, v1
	s_waitcnt_depctr 0xfff
	v_fma_f32 v104, v1, -2.0, 1.0
.LBB87_34:                              ;   in Loop: Header=BB87_8 Depth=1
	s_and_not1_saveexec_b32 s4, s4
; %bb.35:                               ;   in Loop: Header=BB87_8 Depth=1
	v_mul_f32_e32 v1, v90, v90
	s_delay_alu instid0(VALU_DEP_1) | instskip(NEXT) | instid1(VALU_DEP_1)
	v_fmaak_f32 v2, s49, v1, 0x3ca908c9
	v_fmaak_f32 v2, v1, v2, 0xbd5c1c4e
	s_delay_alu instid0(VALU_DEP_1) | instskip(NEXT) | instid1(VALU_DEP_1)
	v_fmaak_f32 v2, v1, v2, 0x3e088382
	v_fmaak_f32 v2, v1, v2, 0xbeaaaa99
	s_delay_alu instid0(VALU_DEP_1) | instskip(NEXT) | instid1(VALU_DEP_1)
	v_mul_f32_e64 v2, |v90|, v2
	v_fma_f32 v104, v1, v2, |v90|
; %bb.36:                               ;   in Loop: Header=BB87_8 Depth=1
	s_or_b32 exec_lo, exec_lo, s4
	v_add_nc_u32_e32 v1, v3, v63
	s_and_not1_b32 vcc_lo, exec_lo, s21
	s_delay_alu instid0(VALU_DEP_1)
	v_ashrrev_i32_e32 v2, 31, v1
	s_cbranch_vccnz .LBB87_107
; %bb.37:                               ;   in Loop: Header=BB87_8 Depth=1
	s_delay_alu instid0(VALU_DEP_1) | instskip(NEXT) | instid1(VALU_DEP_1)
	v_lshlrev_b64 v[94:95], 1, v[1:2]
	v_add_co_u32 v94, vcc_lo, s40, v94
	s_delay_alu instid0(VALU_DEP_2) | instskip(SKIP_3) | instid1(VALU_DEP_1)
	v_add_co_ci_u32_e32 v95, vcc_lo, s41, v95, vcc_lo
	flat_load_u16 v94, v[94:95]
	s_waitcnt vmcnt(0) lgkmcnt(0)
	v_cvt_f32_f16_e32 v94, v94
	v_mul_f32_e32 v101, v43, v94
	v_cmp_ngt_f32_e64 s4, 0x3f200000, |v91|
                                        ; implicit-def: $vgpr105
	s_delay_alu instid0(VALU_DEP_1) | instskip(NEXT) | instid1(SALU_CYCLE_1)
	s_and_saveexec_b32 s5, s4
	s_xor_b32 s4, exec_lo, s5
	s_cbranch_execz .LBB87_39
.LBB87_38:                              ;   in Loop: Header=BB87_8 Depth=1
	v_add_f32_e64 v94, |v91|, |v91|
	s_delay_alu instid0(VALU_DEP_1) | instskip(SKIP_1) | instid1(VALU_DEP_2)
	v_mul_f32_e32 v95, 0x3fb8aa3b, v94
	v_cmp_ngt_f32_e32 vcc_lo, 0xc2ce8ed0, v94
	v_rndne_f32_e32 v96, v95
	v_fma_f32 v105, 0x3fb8aa3b, v94, -v95
	s_delay_alu instid0(VALU_DEP_2) | instskip(NEXT) | instid1(VALU_DEP_2)
	v_sub_f32_e32 v95, v95, v96
	v_fmac_f32_e32 v105, 0x32a5705f, v94
	v_cvt_i32_f32_e32 v96, v96
	s_delay_alu instid0(VALU_DEP_2) | instskip(NEXT) | instid1(VALU_DEP_1)
	v_add_f32_e32 v95, v95, v105
	v_exp_f32_e32 v95, v95
	s_waitcnt_depctr 0xfff
	v_ldexp_f32 v95, v95, v96
	s_delay_alu instid0(VALU_DEP_1) | instskip(SKIP_1) | instid1(VALU_DEP_2)
	v_cndmask_b32_e32 v95, 0, v95, vcc_lo
	v_cmp_nlt_f32_e32 vcc_lo, 0x42b17218, v94
	v_cndmask_b32_e32 v94, 0x7f800000, v95, vcc_lo
	s_delay_alu instid0(VALU_DEP_1) | instskip(NEXT) | instid1(VALU_DEP_1)
	v_add_f32_e32 v94, 1.0, v94
	v_rcp_f32_e32 v94, v94
	s_waitcnt_depctr 0xfff
	v_fma_f32 v105, v94, -2.0, 1.0
.LBB87_39:                              ;   in Loop: Header=BB87_8 Depth=1
	s_and_not1_saveexec_b32 s4, s4
	s_cbranch_execz .LBB87_42
; %bb.40:                               ;   in Loop: Header=BB87_8 Depth=1
	v_mul_f32_e32 v94, v91, v91
	s_delay_alu instid0(VALU_DEP_1) | instskip(NEXT) | instid1(VALU_DEP_1)
	v_fmaak_f32 v95, s49, v94, 0x3ca908c9
	v_fmaak_f32 v95, v94, v95, 0xbd5c1c4e
	s_delay_alu instid0(VALU_DEP_1) | instskip(NEXT) | instid1(VALU_DEP_1)
	v_fmaak_f32 v95, v94, v95, 0x3e088382
	v_fmaak_f32 v95, v94, v95, 0xbeaaaa99
	s_delay_alu instid0(VALU_DEP_1) | instskip(NEXT) | instid1(VALU_DEP_1)
	v_mul_f32_e64 v95, |v91|, v95
	v_fma_f32 v105, v94, v95, |v91|
	s_or_b32 exec_lo, exec_lo, s4
	s_delay_alu instid0(SALU_CYCLE_1)
	s_and_not1_b32 vcc_lo, exec_lo, s21
	s_cbranch_vccz .LBB87_43
.LBB87_41:                              ;   in Loop: Header=BB87_8 Depth=1
	v_mov_b32_e32 v94, 0
	v_cmp_ngt_f32_e64 s4, 0x3f200000, |v92|
                                        ; implicit-def: $vgpr106
	s_delay_alu instid0(VALU_DEP_1) | instskip(NEXT) | instid1(SALU_CYCLE_1)
	s_and_saveexec_b32 s5, s4
	s_xor_b32 s4, exec_lo, s5
	s_cbranch_execz .LBB87_45
	s_branch .LBB87_44
.LBB87_42:                              ;   in Loop: Header=BB87_8 Depth=1
	s_or_b32 exec_lo, exec_lo, s4
	s_delay_alu instid0(SALU_CYCLE_1)
	s_and_not1_b32 vcc_lo, exec_lo, s21
	s_cbranch_vccnz .LBB87_41
.LBB87_43:                              ;   in Loop: Header=BB87_8 Depth=1
	v_lshlrev_b64 v[94:95], 1, v[1:2]
	s_delay_alu instid0(VALU_DEP_1) | instskip(NEXT) | instid1(VALU_DEP_2)
	v_add_co_u32 v94, vcc_lo, s43, v94
	v_add_co_ci_u32_e32 v95, vcc_lo, s44, v95, vcc_lo
	flat_load_u16 v94, v[94:95]
	s_waitcnt vmcnt(0) lgkmcnt(0)
	v_cvt_f32_f16_e32 v94, v94
	s_delay_alu instid0(VALU_DEP_1) | instskip(SKIP_1) | instid1(VALU_DEP_1)
	v_mul_f32_e32 v94, v43, v94
	v_cmp_ngt_f32_e64 s4, 0x3f200000, |v92|
                                        ; implicit-def: $vgpr106
	s_and_saveexec_b32 s5, s4
	s_delay_alu instid0(SALU_CYCLE_1)
	s_xor_b32 s4, exec_lo, s5
	s_cbranch_execz .LBB87_45
.LBB87_44:                              ;   in Loop: Header=BB87_8 Depth=1
	v_add_f32_e64 v95, |v92|, |v92|
	s_delay_alu instid0(VALU_DEP_1) | instskip(SKIP_1) | instid1(VALU_DEP_2)
	v_mul_f32_e32 v96, 0x3fb8aa3b, v95
	v_cmp_ngt_f32_e32 vcc_lo, 0xc2ce8ed0, v95
	v_rndne_f32_e32 v106, v96
	v_fma_f32 v107, 0x3fb8aa3b, v95, -v96
	s_delay_alu instid0(VALU_DEP_1) | instskip(SKIP_1) | instid1(VALU_DEP_2)
	v_dual_sub_f32 v96, v96, v106 :: v_dual_fmac_f32 v107, 0x32a5705f, v95
	v_cvt_i32_f32_e32 v106, v106
	v_add_f32_e32 v96, v96, v107
	s_delay_alu instid0(VALU_DEP_1) | instskip(SKIP_2) | instid1(VALU_DEP_1)
	v_exp_f32_e32 v96, v96
	s_waitcnt_depctr 0xfff
	v_ldexp_f32 v96, v96, v106
	v_cndmask_b32_e32 v96, 0, v96, vcc_lo
	v_cmp_nlt_f32_e32 vcc_lo, 0x42b17218, v95
	s_delay_alu instid0(VALU_DEP_2) | instskip(NEXT) | instid1(VALU_DEP_1)
	v_cndmask_b32_e32 v95, 0x7f800000, v96, vcc_lo
	v_add_f32_e32 v95, 1.0, v95
	s_delay_alu instid0(VALU_DEP_1)
	v_rcp_f32_e32 v95, v95
	s_waitcnt_depctr 0xfff
	v_fma_f32 v106, v95, -2.0, 1.0
.LBB87_45:                              ;   in Loop: Header=BB87_8 Depth=1
	s_and_not1_saveexec_b32 s4, s4
	s_cbranch_execz .LBB87_48
; %bb.46:                               ;   in Loop: Header=BB87_8 Depth=1
	v_mul_f32_e32 v95, v92, v92
	s_delay_alu instid0(VALU_DEP_1) | instskip(NEXT) | instid1(VALU_DEP_1)
	v_fmaak_f32 v96, s49, v95, 0x3ca908c9
	v_fmaak_f32 v96, v95, v96, 0xbd5c1c4e
	s_delay_alu instid0(VALU_DEP_1) | instskip(NEXT) | instid1(VALU_DEP_1)
	v_fmaak_f32 v96, v95, v96, 0x3e088382
	v_fmaak_f32 v96, v95, v96, 0xbeaaaa99
	s_delay_alu instid0(VALU_DEP_1) | instskip(NEXT) | instid1(VALU_DEP_1)
	v_mul_f32_e64 v96, |v92|, v96
	v_fma_f32 v106, v95, v96, |v92|
	s_or_b32 exec_lo, exec_lo, s4
	s_delay_alu instid0(SALU_CYCLE_1)
	s_and_not1_b32 vcc_lo, exec_lo, s21
	s_cbranch_vccz .LBB87_49
.LBB87_47:                              ;   in Loop: Header=BB87_8 Depth=1
	v_mov_b32_e32 v95, 0
	v_cmp_ngt_f32_e64 s4, 0x3f200000, |v93|
                                        ; implicit-def: $vgpr107
	s_delay_alu instid0(VALU_DEP_1) | instskip(NEXT) | instid1(SALU_CYCLE_1)
	s_and_saveexec_b32 s5, s4
	s_xor_b32 s4, exec_lo, s5
	s_cbranch_execz .LBB87_51
	s_branch .LBB87_50
.LBB87_48:                              ;   in Loop: Header=BB87_8 Depth=1
	s_or_b32 exec_lo, exec_lo, s4
	s_delay_alu instid0(SALU_CYCLE_1)
	s_and_not1_b32 vcc_lo, exec_lo, s21
	s_cbranch_vccnz .LBB87_47
.LBB87_49:                              ;   in Loop: Header=BB87_8 Depth=1
	v_lshlrev_b64 v[95:96], 1, v[1:2]
	s_delay_alu instid0(VALU_DEP_1) | instskip(NEXT) | instid1(VALU_DEP_2)
	v_add_co_u32 v95, vcc_lo, s45, v95
	v_add_co_ci_u32_e32 v96, vcc_lo, s46, v96, vcc_lo
	flat_load_u16 v95, v[95:96]
	s_waitcnt vmcnt(0) lgkmcnt(0)
	v_cvt_f32_f16_e32 v95, v95
	s_delay_alu instid0(VALU_DEP_1) | instskip(SKIP_1) | instid1(VALU_DEP_1)
	v_mul_f32_e32 v95, v43, v95
	v_cmp_ngt_f32_e64 s4, 0x3f200000, |v93|
                                        ; implicit-def: $vgpr107
	s_and_saveexec_b32 s5, s4
	s_delay_alu instid0(SALU_CYCLE_1)
	s_xor_b32 s4, exec_lo, s5
	s_cbranch_execz .LBB87_51
.LBB87_50:                              ;   in Loop: Header=BB87_8 Depth=1
	v_add_f32_e64 v96, |v93|, |v93|
	s_delay_alu instid0(VALU_DEP_1) | instskip(SKIP_1) | instid1(VALU_DEP_2)
	v_mul_f32_e32 v107, 0x3fb8aa3b, v96
	v_cmp_ngt_f32_e32 vcc_lo, 0xc2ce8ed0, v96
	v_rndne_f32_e32 v108, v107
	v_fma_f32 v109, 0x3fb8aa3b, v96, -v107
	s_delay_alu instid0(VALU_DEP_2) | instskip(NEXT) | instid1(VALU_DEP_2)
	v_sub_f32_e32 v107, v107, v108
	v_fmac_f32_e32 v109, 0x32a5705f, v96
	v_cvt_i32_f32_e32 v108, v108
	s_delay_alu instid0(VALU_DEP_2) | instskip(NEXT) | instid1(VALU_DEP_1)
	v_add_f32_e32 v107, v107, v109
	v_exp_f32_e32 v107, v107
	s_waitcnt_depctr 0xfff
	v_ldexp_f32 v107, v107, v108
	s_delay_alu instid0(VALU_DEP_1) | instskip(SKIP_1) | instid1(VALU_DEP_2)
	v_cndmask_b32_e32 v107, 0, v107, vcc_lo
	v_cmp_nlt_f32_e32 vcc_lo, 0x42b17218, v96
	v_cndmask_b32_e32 v96, 0x7f800000, v107, vcc_lo
	s_delay_alu instid0(VALU_DEP_1) | instskip(NEXT) | instid1(VALU_DEP_1)
	v_add_f32_e32 v96, 1.0, v96
	v_rcp_f32_e32 v96, v96
	s_waitcnt_depctr 0xfff
	v_fma_f32 v107, v96, -2.0, 1.0
.LBB87_51:                              ;   in Loop: Header=BB87_8 Depth=1
	s_and_not1_saveexec_b32 s4, s4
	s_cbranch_execz .LBB87_54
; %bb.52:                               ;   in Loop: Header=BB87_8 Depth=1
	v_mul_f32_e32 v96, v93, v93
	s_delay_alu instid0(VALU_DEP_1) | instskip(NEXT) | instid1(VALU_DEP_1)
	v_fmaak_f32 v107, s49, v96, 0x3ca908c9
	v_fmaak_f32 v107, v96, v107, 0xbd5c1c4e
	s_delay_alu instid0(VALU_DEP_1) | instskip(NEXT) | instid1(VALU_DEP_1)
	v_fmaak_f32 v107, v96, v107, 0x3e088382
	v_fmaak_f32 v107, v96, v107, 0xbeaaaa99
	s_delay_alu instid0(VALU_DEP_1) | instskip(NEXT) | instid1(VALU_DEP_1)
	v_mul_f32_e64 v107, |v93|, v107
	v_fma_f32 v107, v96, v107, |v93|
	s_or_b32 exec_lo, exec_lo, s4
	s_delay_alu instid0(SALU_CYCLE_1)
	s_and_not1_b32 vcc_lo, exec_lo, s21
	s_cbranch_vccz .LBB87_55
.LBB87_53:                              ;   in Loop: Header=BB87_8 Depth=1
	v_mov_b32_e32 v96, 0
	s_branch .LBB87_56
.LBB87_54:                              ;   in Loop: Header=BB87_8 Depth=1
	s_or_b32 exec_lo, exec_lo, s4
	s_delay_alu instid0(SALU_CYCLE_1)
	s_and_not1_b32 vcc_lo, exec_lo, s21
	s_cbranch_vccnz .LBB87_53
.LBB87_55:                              ;   in Loop: Header=BB87_8 Depth=1
	v_lshlrev_b64 v[1:2], 1, v[1:2]
	s_delay_alu instid0(VALU_DEP_1) | instskip(NEXT) | instid1(VALU_DEP_2)
	v_add_co_u32 v1, vcc_lo, s47, v1
	v_add_co_ci_u32_e32 v2, vcc_lo, s48, v2, vcc_lo
	flat_load_u16 v1, v[1:2]
	s_waitcnt vmcnt(0) lgkmcnt(0)
	v_cvt_f32_f16_e32 v1, v1
	s_delay_alu instid0(VALU_DEP_1)
	v_mul_f32_e32 v96, v43, v1
.LBB87_56:                              ;   in Loop: Header=BB87_8 Depth=1
	v_bfi_b32 v1, 0x7fffffff, v104, v90
	v_bfi_b32 v2, 0x7fffffff, v105, v91
	;; [unrolled: 1-line block ×3, first 2 shown]
	v_cmp_ngt_f32_e64 s4, 0x3f200000, |v86|
                                        ; implicit-def: $vgpr106
	s_delay_alu instid0(VALU_DEP_3) | instskip(SKIP_1) | instid1(VALU_DEP_2)
	v_dual_fmac_f32 v101, s23, v1 :: v_dual_fmac_f32 v94, s23, v2
	v_bfi_b32 v1, 0x7fffffff, v107, v93
	v_dual_fmac_f32 v95, s23, v90 :: v_dual_add_f32 v2, 0x40051340, v101
	s_delay_alu instid0(VALU_DEP_3) | instskip(NEXT) | instid1(VALU_DEP_2)
	v_add_f32_e32 v90, 0x40051340, v94
	v_dual_fmac_f32 v96, s23, v1 :: v_dual_add_f32 v1, 0x40051340, v95
	s_delay_alu instid0(VALU_DEP_2) | instskip(NEXT) | instid1(VALU_DEP_2)
	v_max3_f32 v2, v81, v2, v90
	v_add_f32_e32 v90, 0x40051340, v96
	s_delay_alu instid0(VALU_DEP_1) | instskip(SKIP_3) | instid1(VALU_DEP_1)
	v_max3_f32 v1, v2, v1, v90
	ds_bpermute_b32 v2, v4, v1
	s_waitcnt lgkmcnt(0)
	v_max_f32_e32 v2, v2, v2
	v_max_f32_e32 v1, v1, v2
	ds_bpermute_b32 v2, v22, v1
	s_waitcnt lgkmcnt(0)
	v_max_f32_e32 v2, v2, v2
	s_delay_alu instid0(VALU_DEP_1) | instskip(SKIP_3) | instid1(VALU_DEP_1)
	v_max_f32_e32 v1, v1, v2
	ds_bpermute_b32 v2, v23, v1
	s_waitcnt lgkmcnt(0)
	v_max_f32_e32 v2, v2, v2
	v_max_f32_e32 v1, v1, v2
	ds_bpermute_b32 v2, v24, v1
	s_waitcnt lgkmcnt(0)
	v_max_f32_e32 v2, v2, v2
	s_delay_alu instid0(VALU_DEP_1) | instskip(SKIP_2) | instid1(SALU_CYCLE_1)
	v_max_f32_e32 v104, v1, v2
	ds_bpermute_b32 v105, v97, v104
	s_and_saveexec_b32 s5, s4
	s_xor_b32 s4, exec_lo, s5
	s_cbranch_execz .LBB87_58
; %bb.57:                               ;   in Loop: Header=BB87_8 Depth=1
	v_add_f32_e64 v1, |v86|, |v86|
	s_delay_alu instid0(VALU_DEP_1) | instskip(SKIP_1) | instid1(VALU_DEP_2)
	v_mul_f32_e32 v2, 0x3fb8aa3b, v1
	v_cmp_ngt_f32_e32 vcc_lo, 0xc2ce8ed0, v1
	v_rndne_f32_e32 v90, v2
	v_fma_f32 v91, 0x3fb8aa3b, v1, -v2
	s_delay_alu instid0(VALU_DEP_1) | instskip(SKIP_1) | instid1(VALU_DEP_2)
	v_dual_sub_f32 v2, v2, v90 :: v_dual_fmac_f32 v91, 0x32a5705f, v1
	v_cvt_i32_f32_e32 v90, v90
	v_add_f32_e32 v2, v2, v91
	s_delay_alu instid0(VALU_DEP_1) | instskip(SKIP_2) | instid1(VALU_DEP_1)
	v_exp_f32_e32 v2, v2
	s_waitcnt_depctr 0xfff
	v_ldexp_f32 v2, v2, v90
	v_cndmask_b32_e32 v2, 0, v2, vcc_lo
	v_cmp_nlt_f32_e32 vcc_lo, 0x42b17218, v1
	s_delay_alu instid0(VALU_DEP_2) | instskip(NEXT) | instid1(VALU_DEP_1)
	v_cndmask_b32_e32 v1, 0x7f800000, v2, vcc_lo
	v_add_f32_e32 v1, 1.0, v1
	s_delay_alu instid0(VALU_DEP_1)
	v_rcp_f32_e32 v1, v1
	s_waitcnt_depctr 0xfff
	v_fma_f32 v106, v1, -2.0, 1.0
.LBB87_58:                              ;   in Loop: Header=BB87_8 Depth=1
	s_and_not1_saveexec_b32 s4, s4
; %bb.59:                               ;   in Loop: Header=BB87_8 Depth=1
	v_mul_f32_e32 v1, v86, v86
	s_delay_alu instid0(VALU_DEP_1) | instskip(NEXT) | instid1(VALU_DEP_1)
	v_fmaak_f32 v2, s49, v1, 0x3ca908c9
	v_fmaak_f32 v2, v1, v2, 0xbd5c1c4e
	s_delay_alu instid0(VALU_DEP_1) | instskip(NEXT) | instid1(VALU_DEP_1)
	v_fmaak_f32 v2, v1, v2, 0x3e088382
	v_fmaak_f32 v2, v1, v2, 0xbeaaaa99
	s_delay_alu instid0(VALU_DEP_1) | instskip(NEXT) | instid1(VALU_DEP_1)
	v_mul_f32_e64 v2, |v86|, v2
	v_fma_f32 v106, v1, v2, |v86|
; %bb.60:                               ;   in Loop: Header=BB87_8 Depth=1
	s_or_b32 exec_lo, exec_lo, s4
	v_add_nc_u32_e32 v1, v3, v64
	s_and_not1_b32 vcc_lo, exec_lo, s21
	s_delay_alu instid0(VALU_DEP_1)
	v_ashrrev_i32_e32 v2, 31, v1
	s_cbranch_vccnz .LBB87_108
; %bb.61:                               ;   in Loop: Header=BB87_8 Depth=1
	s_delay_alu instid0(VALU_DEP_1) | instskip(NEXT) | instid1(VALU_DEP_1)
	v_lshlrev_b64 v[90:91], 1, v[1:2]
	v_add_co_u32 v90, vcc_lo, s40, v90
	s_delay_alu instid0(VALU_DEP_2) | instskip(SKIP_3) | instid1(VALU_DEP_1)
	v_add_co_ci_u32_e32 v91, vcc_lo, s41, v91, vcc_lo
	flat_load_u16 v90, v[90:91]
	s_waitcnt vmcnt(0) lgkmcnt(0)
	v_cvt_f32_f16_e32 v90, v90
	v_mul_f32_e32 v93, v43, v90
	v_cmp_ngt_f32_e64 s4, 0x3f200000, |v87|
                                        ; implicit-def: $vgpr107
	s_delay_alu instid0(VALU_DEP_1) | instskip(NEXT) | instid1(SALU_CYCLE_1)
	s_and_saveexec_b32 s5, s4
	s_xor_b32 s4, exec_lo, s5
	s_cbranch_execz .LBB87_63
.LBB87_62:                              ;   in Loop: Header=BB87_8 Depth=1
	v_add_f32_e64 v90, |v87|, |v87|
	s_delay_alu instid0(VALU_DEP_1) | instskip(SKIP_1) | instid1(VALU_DEP_2)
	v_mul_f32_e32 v91, 0x3fb8aa3b, v90
	v_cmp_ngt_f32_e32 vcc_lo, 0xc2ce8ed0, v90
	v_rndne_f32_e32 v92, v91
	v_fma_f32 v107, 0x3fb8aa3b, v90, -v91
	s_delay_alu instid0(VALU_DEP_2) | instskip(NEXT) | instid1(VALU_DEP_2)
	v_sub_f32_e32 v91, v91, v92
	v_fmac_f32_e32 v107, 0x32a5705f, v90
	v_cvt_i32_f32_e32 v92, v92
	s_delay_alu instid0(VALU_DEP_2) | instskip(NEXT) | instid1(VALU_DEP_1)
	v_add_f32_e32 v91, v91, v107
	v_exp_f32_e32 v91, v91
	s_waitcnt_depctr 0xfff
	v_ldexp_f32 v91, v91, v92
	s_delay_alu instid0(VALU_DEP_1) | instskip(SKIP_1) | instid1(VALU_DEP_2)
	v_cndmask_b32_e32 v91, 0, v91, vcc_lo
	v_cmp_nlt_f32_e32 vcc_lo, 0x42b17218, v90
	v_cndmask_b32_e32 v90, 0x7f800000, v91, vcc_lo
	s_delay_alu instid0(VALU_DEP_1) | instskip(NEXT) | instid1(VALU_DEP_1)
	v_add_f32_e32 v90, 1.0, v90
	v_rcp_f32_e32 v90, v90
	s_waitcnt_depctr 0xfff
	v_fma_f32 v107, v90, -2.0, 1.0
.LBB87_63:                              ;   in Loop: Header=BB87_8 Depth=1
	s_and_not1_saveexec_b32 s4, s4
	s_cbranch_execz .LBB87_66
; %bb.64:                               ;   in Loop: Header=BB87_8 Depth=1
	v_mul_f32_e32 v90, v87, v87
	s_delay_alu instid0(VALU_DEP_1) | instskip(NEXT) | instid1(VALU_DEP_1)
	v_fmaak_f32 v91, s49, v90, 0x3ca908c9
	v_fmaak_f32 v91, v90, v91, 0xbd5c1c4e
	s_delay_alu instid0(VALU_DEP_1) | instskip(NEXT) | instid1(VALU_DEP_1)
	v_fmaak_f32 v91, v90, v91, 0x3e088382
	v_fmaak_f32 v91, v90, v91, 0xbeaaaa99
	s_delay_alu instid0(VALU_DEP_1) | instskip(NEXT) | instid1(VALU_DEP_1)
	v_mul_f32_e64 v91, |v87|, v91
	v_fma_f32 v107, v90, v91, |v87|
	s_or_b32 exec_lo, exec_lo, s4
	s_delay_alu instid0(SALU_CYCLE_1)
	s_and_not1_b32 vcc_lo, exec_lo, s21
	s_cbranch_vccz .LBB87_67
.LBB87_65:                              ;   in Loop: Header=BB87_8 Depth=1
	v_mov_b32_e32 v91, 0
	v_cmp_ngt_f32_e64 s4, 0x3f200000, |v88|
                                        ; implicit-def: $vgpr108
	s_delay_alu instid0(VALU_DEP_1) | instskip(NEXT) | instid1(SALU_CYCLE_1)
	s_and_saveexec_b32 s5, s4
	s_xor_b32 s4, exec_lo, s5
	s_cbranch_execz .LBB87_69
	s_branch .LBB87_68
.LBB87_66:                              ;   in Loop: Header=BB87_8 Depth=1
	s_or_b32 exec_lo, exec_lo, s4
	s_delay_alu instid0(SALU_CYCLE_1)
	s_and_not1_b32 vcc_lo, exec_lo, s21
	s_cbranch_vccnz .LBB87_65
.LBB87_67:                              ;   in Loop: Header=BB87_8 Depth=1
	v_lshlrev_b64 v[90:91], 1, v[1:2]
	s_delay_alu instid0(VALU_DEP_1) | instskip(NEXT) | instid1(VALU_DEP_2)
	v_add_co_u32 v90, vcc_lo, s43, v90
	v_add_co_ci_u32_e32 v91, vcc_lo, s44, v91, vcc_lo
	flat_load_u16 v90, v[90:91]
	s_waitcnt vmcnt(0) lgkmcnt(0)
	v_cvt_f32_f16_e32 v90, v90
	s_delay_alu instid0(VALU_DEP_1) | instskip(SKIP_1) | instid1(VALU_DEP_1)
	v_mul_f32_e32 v91, v43, v90
	v_cmp_ngt_f32_e64 s4, 0x3f200000, |v88|
                                        ; implicit-def: $vgpr108
	s_and_saveexec_b32 s5, s4
	s_delay_alu instid0(SALU_CYCLE_1)
	s_xor_b32 s4, exec_lo, s5
	s_cbranch_execz .LBB87_69
.LBB87_68:                              ;   in Loop: Header=BB87_8 Depth=1
	v_add_f32_e64 v90, |v88|, |v88|
	s_delay_alu instid0(VALU_DEP_1) | instskip(SKIP_1) | instid1(VALU_DEP_2)
	v_mul_f32_e32 v92, 0x3fb8aa3b, v90
	v_cmp_ngt_f32_e32 vcc_lo, 0xc2ce8ed0, v90
	v_rndne_f32_e32 v108, v92
	v_fma_f32 v109, 0x3fb8aa3b, v90, -v92
	s_delay_alu instid0(VALU_DEP_1) | instskip(SKIP_1) | instid1(VALU_DEP_2)
	v_dual_sub_f32 v92, v92, v108 :: v_dual_fmac_f32 v109, 0x32a5705f, v90
	v_cvt_i32_f32_e32 v108, v108
	v_add_f32_e32 v92, v92, v109
	s_delay_alu instid0(VALU_DEP_1) | instskip(SKIP_2) | instid1(VALU_DEP_1)
	v_exp_f32_e32 v92, v92
	s_waitcnt_depctr 0xfff
	v_ldexp_f32 v92, v92, v108
	v_cndmask_b32_e32 v92, 0, v92, vcc_lo
	v_cmp_nlt_f32_e32 vcc_lo, 0x42b17218, v90
	s_delay_alu instid0(VALU_DEP_2) | instskip(NEXT) | instid1(VALU_DEP_1)
	v_cndmask_b32_e32 v90, 0x7f800000, v92, vcc_lo
	v_add_f32_e32 v90, 1.0, v90
	s_delay_alu instid0(VALU_DEP_1)
	v_rcp_f32_e32 v90, v90
	s_waitcnt_depctr 0xfff
	v_fma_f32 v108, v90, -2.0, 1.0
.LBB87_69:                              ;   in Loop: Header=BB87_8 Depth=1
	s_and_not1_saveexec_b32 s4, s4
	s_cbranch_execz .LBB87_72
; %bb.70:                               ;   in Loop: Header=BB87_8 Depth=1
	v_mul_f32_e32 v90, v88, v88
	s_delay_alu instid0(VALU_DEP_1) | instskip(NEXT) | instid1(VALU_DEP_1)
	v_fmaak_f32 v92, s49, v90, 0x3ca908c9
	v_fmaak_f32 v92, v90, v92, 0xbd5c1c4e
	s_delay_alu instid0(VALU_DEP_1) | instskip(NEXT) | instid1(VALU_DEP_1)
	v_fmaak_f32 v92, v90, v92, 0x3e088382
	v_fmaak_f32 v92, v90, v92, 0xbeaaaa99
	s_delay_alu instid0(VALU_DEP_1) | instskip(NEXT) | instid1(VALU_DEP_1)
	v_mul_f32_e64 v92, |v88|, v92
	v_fma_f32 v108, v90, v92, |v88|
	s_or_b32 exec_lo, exec_lo, s4
	s_delay_alu instid0(SALU_CYCLE_1)
	s_and_not1_b32 vcc_lo, exec_lo, s21
	s_cbranch_vccz .LBB87_73
.LBB87_71:                              ;   in Loop: Header=BB87_8 Depth=1
	v_mov_b32_e32 v92, 0
	v_cmp_ngt_f32_e64 s4, 0x3f200000, |v89|
                                        ; implicit-def: $vgpr109
	s_delay_alu instid0(VALU_DEP_1) | instskip(NEXT) | instid1(SALU_CYCLE_1)
	s_and_saveexec_b32 s5, s4
	s_xor_b32 s4, exec_lo, s5
	s_cbranch_execz .LBB87_75
	s_branch .LBB87_74
.LBB87_72:                              ;   in Loop: Header=BB87_8 Depth=1
	s_or_b32 exec_lo, exec_lo, s4
	s_delay_alu instid0(SALU_CYCLE_1)
	s_and_not1_b32 vcc_lo, exec_lo, s21
	s_cbranch_vccnz .LBB87_71
.LBB87_73:                              ;   in Loop: Header=BB87_8 Depth=1
	v_lshlrev_b64 v[109:110], 1, v[1:2]
	s_delay_alu instid0(VALU_DEP_1) | instskip(NEXT) | instid1(VALU_DEP_2)
	v_add_co_u32 v109, vcc_lo, s45, v109
	v_add_co_ci_u32_e32 v110, vcc_lo, s46, v110, vcc_lo
	flat_load_u16 v90, v[109:110]
	s_waitcnt vmcnt(0) lgkmcnt(0)
	v_cvt_f32_f16_e32 v90, v90
	s_delay_alu instid0(VALU_DEP_1) | instskip(SKIP_1) | instid1(VALU_DEP_1)
	v_mul_f32_e32 v92, v43, v90
	v_cmp_ngt_f32_e64 s4, 0x3f200000, |v89|
                                        ; implicit-def: $vgpr109
	s_and_saveexec_b32 s5, s4
	s_delay_alu instid0(SALU_CYCLE_1)
	s_xor_b32 s4, exec_lo, s5
	s_cbranch_execz .LBB87_75
.LBB87_74:                              ;   in Loop: Header=BB87_8 Depth=1
	v_add_f32_e64 v90, |v89|, |v89|
	s_delay_alu instid0(VALU_DEP_1) | instskip(SKIP_1) | instid1(VALU_DEP_2)
	v_mul_f32_e32 v109, 0x3fb8aa3b, v90
	v_cmp_ngt_f32_e32 vcc_lo, 0xc2ce8ed0, v90
	v_rndne_f32_e32 v110, v109
	v_fma_f32 v111, 0x3fb8aa3b, v90, -v109
	s_delay_alu instid0(VALU_DEP_2) | instskip(NEXT) | instid1(VALU_DEP_2)
	v_sub_f32_e32 v109, v109, v110
	v_fmac_f32_e32 v111, 0x32a5705f, v90
	v_cvt_i32_f32_e32 v110, v110
	s_delay_alu instid0(VALU_DEP_2) | instskip(NEXT) | instid1(VALU_DEP_1)
	v_add_f32_e32 v109, v109, v111
	v_exp_f32_e32 v109, v109
	s_waitcnt_depctr 0xfff
	v_ldexp_f32 v109, v109, v110
	s_delay_alu instid0(VALU_DEP_1) | instskip(SKIP_1) | instid1(VALU_DEP_2)
	v_cndmask_b32_e32 v109, 0, v109, vcc_lo
	v_cmp_nlt_f32_e32 vcc_lo, 0x42b17218, v90
	v_cndmask_b32_e32 v90, 0x7f800000, v109, vcc_lo
	s_delay_alu instid0(VALU_DEP_1) | instskip(NEXT) | instid1(VALU_DEP_1)
	v_add_f32_e32 v90, 1.0, v90
	v_rcp_f32_e32 v90, v90
	s_waitcnt_depctr 0xfff
	v_fma_f32 v109, v90, -2.0, 1.0
.LBB87_75:                              ;   in Loop: Header=BB87_8 Depth=1
	s_and_not1_saveexec_b32 s4, s4
	s_cbranch_execz .LBB87_78
; %bb.76:                               ;   in Loop: Header=BB87_8 Depth=1
	v_mul_f32_e32 v90, v89, v89
	s_delay_alu instid0(VALU_DEP_1) | instskip(NEXT) | instid1(VALU_DEP_1)
	v_fmaak_f32 v109, s49, v90, 0x3ca908c9
	v_fmaak_f32 v109, v90, v109, 0xbd5c1c4e
	s_delay_alu instid0(VALU_DEP_1) | instskip(NEXT) | instid1(VALU_DEP_1)
	v_fmaak_f32 v109, v90, v109, 0x3e088382
	v_fmaak_f32 v109, v90, v109, 0xbeaaaa99
	s_delay_alu instid0(VALU_DEP_1) | instskip(NEXT) | instid1(VALU_DEP_1)
	v_mul_f32_e64 v109, |v89|, v109
	v_fma_f32 v109, v90, v109, |v89|
	s_or_b32 exec_lo, exec_lo, s4
	s_delay_alu instid0(SALU_CYCLE_1)
	s_and_not1_b32 vcc_lo, exec_lo, s21
	s_cbranch_vccz .LBB87_79
.LBB87_77:                              ;   in Loop: Header=BB87_8 Depth=1
	v_mov_b32_e32 v90, 0
	s_branch .LBB87_80
.LBB87_78:                              ;   in Loop: Header=BB87_8 Depth=1
	s_or_b32 exec_lo, exec_lo, s4
	s_delay_alu instid0(SALU_CYCLE_1)
	s_and_not1_b32 vcc_lo, exec_lo, s21
	s_cbranch_vccnz .LBB87_77
.LBB87_79:                              ;   in Loop: Header=BB87_8 Depth=1
	v_lshlrev_b64 v[1:2], 1, v[1:2]
	s_delay_alu instid0(VALU_DEP_1) | instskip(NEXT) | instid1(VALU_DEP_2)
	v_add_co_u32 v1, vcc_lo, s47, v1
	v_add_co_ci_u32_e32 v2, vcc_lo, s48, v2, vcc_lo
	flat_load_u16 v1, v[1:2]
	s_waitcnt vmcnt(0) lgkmcnt(0)
	v_cvt_f32_f16_e32 v1, v1
	s_delay_alu instid0(VALU_DEP_1)
	v_mul_f32_e32 v90, v43, v1
.LBB87_80:                              ;   in Loop: Header=BB87_8 Depth=1
	v_bfi_b32 v1, 0x7fffffff, v106, v86
	v_bfi_b32 v2, 0x7fffffff, v107, v87
	v_bfi_b32 v86, 0x7fffffff, v108, v88
	v_cmp_ngt_f32_e64 s4, 0x3f200000, |v82|
                                        ; implicit-def: $vgpr108
	s_delay_alu instid0(VALU_DEP_4) | instskip(SKIP_1) | instid1(VALU_DEP_4)
	v_fmac_f32_e32 v93, s23, v1
	v_bfi_b32 v1, 0x7fffffff, v109, v89
	v_fmac_f32_e32 v92, s23, v86
	s_delay_alu instid0(VALU_DEP_3) | instskip(NEXT) | instid1(VALU_DEP_2)
	v_dual_fmac_f32 v91, s23, v2 :: v_dual_add_f32 v2, 0x40051340, v93
	v_dual_fmac_f32 v90, s23, v1 :: v_dual_add_f32 v1, 0x40051340, v92
	s_delay_alu instid0(VALU_DEP_2) | instskip(NEXT) | instid1(VALU_DEP_1)
	v_add_f32_e32 v86, 0x40051340, v91
	v_max3_f32 v2, v79, v2, v86
	s_delay_alu instid0(VALU_DEP_3) | instskip(NEXT) | instid1(VALU_DEP_1)
	v_add_f32_e32 v86, 0x40051340, v90
	v_max3_f32 v1, v2, v1, v86
	ds_bpermute_b32 v2, v4, v1
	s_waitcnt lgkmcnt(0)
	v_max_f32_e32 v2, v2, v2
	s_delay_alu instid0(VALU_DEP_1) | instskip(SKIP_3) | instid1(VALU_DEP_1)
	v_max_f32_e32 v1, v1, v2
	ds_bpermute_b32 v2, v22, v1
	s_waitcnt lgkmcnt(0)
	v_max_f32_e32 v2, v2, v2
	v_max_f32_e32 v1, v1, v2
	ds_bpermute_b32 v2, v23, v1
	s_waitcnt lgkmcnt(0)
	v_max_f32_e32 v2, v2, v2
	s_delay_alu instid0(VALU_DEP_1) | instskip(SKIP_3) | instid1(VALU_DEP_1)
	v_max_f32_e32 v1, v1, v2
	ds_bpermute_b32 v2, v24, v1
	s_waitcnt lgkmcnt(0)
	v_max_f32_e32 v2, v2, v2
	v_max_f32_e32 v89, v1, v2
	ds_bpermute_b32 v107, v97, v89
	s_and_saveexec_b32 s5, s4
	s_delay_alu instid0(SALU_CYCLE_1)
	s_xor_b32 s4, exec_lo, s5
	s_cbranch_execz .LBB87_82
; %bb.81:                               ;   in Loop: Header=BB87_8 Depth=1
	v_add_f32_e64 v1, |v82|, |v82|
	s_delay_alu instid0(VALU_DEP_1) | instskip(SKIP_1) | instid1(VALU_DEP_2)
	v_mul_f32_e32 v2, 0x3fb8aa3b, v1
	v_cmp_ngt_f32_e32 vcc_lo, 0xc2ce8ed0, v1
	v_rndne_f32_e32 v86, v2
	v_fma_f32 v87, 0x3fb8aa3b, v1, -v2
	s_delay_alu instid0(VALU_DEP_1) | instskip(SKIP_1) | instid1(VALU_DEP_2)
	v_dual_sub_f32 v2, v2, v86 :: v_dual_fmac_f32 v87, 0x32a5705f, v1
	v_cvt_i32_f32_e32 v86, v86
	v_add_f32_e32 v2, v2, v87
	s_delay_alu instid0(VALU_DEP_1) | instskip(SKIP_2) | instid1(VALU_DEP_1)
	v_exp_f32_e32 v2, v2
	s_waitcnt_depctr 0xfff
	v_ldexp_f32 v2, v2, v86
	v_cndmask_b32_e32 v2, 0, v2, vcc_lo
	v_cmp_nlt_f32_e32 vcc_lo, 0x42b17218, v1
	s_delay_alu instid0(VALU_DEP_2) | instskip(NEXT) | instid1(VALU_DEP_1)
	v_cndmask_b32_e32 v1, 0x7f800000, v2, vcc_lo
	v_add_f32_e32 v1, 1.0, v1
	s_delay_alu instid0(VALU_DEP_1)
	v_rcp_f32_e32 v1, v1
	s_waitcnt_depctr 0xfff
	v_fma_f32 v108, v1, -2.0, 1.0
.LBB87_82:                              ;   in Loop: Header=BB87_8 Depth=1
	s_and_not1_saveexec_b32 s4, s4
; %bb.83:                               ;   in Loop: Header=BB87_8 Depth=1
	v_mul_f32_e32 v1, v82, v82
	s_delay_alu instid0(VALU_DEP_1) | instskip(NEXT) | instid1(VALU_DEP_1)
	v_fmaak_f32 v2, s49, v1, 0x3ca908c9
	v_fmaak_f32 v2, v1, v2, 0xbd5c1c4e
	s_delay_alu instid0(VALU_DEP_1) | instskip(NEXT) | instid1(VALU_DEP_1)
	v_fmaak_f32 v2, v1, v2, 0x3e088382
	v_fmaak_f32 v2, v1, v2, 0xbeaaaa99
	s_delay_alu instid0(VALU_DEP_1) | instskip(NEXT) | instid1(VALU_DEP_1)
	v_mul_f32_e64 v2, |v82|, v2
	v_fma_f32 v108, v1, v2, |v82|
; %bb.84:                               ;   in Loop: Header=BB87_8 Depth=1
	s_or_b32 exec_lo, exec_lo, s4
	v_add_nc_u32_e32 v1, v3, v66
	s_and_not1_b32 vcc_lo, exec_lo, s21
	s_delay_alu instid0(VALU_DEP_1)
	v_ashrrev_i32_e32 v2, 31, v1
	s_cbranch_vccnz .LBB87_109
; %bb.85:                               ;   in Loop: Header=BB87_8 Depth=1
	s_delay_alu instid0(VALU_DEP_1) | instskip(NEXT) | instid1(VALU_DEP_1)
	v_lshlrev_b64 v[86:87], 1, v[1:2]
	v_add_co_u32 v86, vcc_lo, s40, v86
	s_delay_alu instid0(VALU_DEP_2) | instskip(SKIP_3) | instid1(VALU_DEP_1)
	v_add_co_ci_u32_e32 v87, vcc_lo, s41, v87, vcc_lo
	flat_load_u16 v3, v[86:87]
	s_waitcnt vmcnt(0) lgkmcnt(0)
	v_cvt_f32_f16_e32 v3, v3
	v_mul_f32_e32 v88, v43, v3
	v_cmp_ngt_f32_e64 s4, 0x3f200000, |v83|
                                        ; implicit-def: $vgpr3
	s_delay_alu instid0(VALU_DEP_1) | instskip(NEXT) | instid1(SALU_CYCLE_1)
	s_and_saveexec_b32 s5, s4
	s_xor_b32 s4, exec_lo, s5
	s_cbranch_execz .LBB87_87
.LBB87_86:                              ;   in Loop: Header=BB87_8 Depth=1
	v_add_f32_e64 v3, |v83|, |v83|
	s_delay_alu instid0(VALU_DEP_1) | instskip(SKIP_1) | instid1(VALU_DEP_2)
	v_mul_f32_e32 v86, 0x3fb8aa3b, v3
	v_cmp_ngt_f32_e32 vcc_lo, 0xc2ce8ed0, v3
	v_rndne_f32_e32 v87, v86
	v_fma_f32 v106, 0x3fb8aa3b, v3, -v86
	s_delay_alu instid0(VALU_DEP_2) | instskip(NEXT) | instid1(VALU_DEP_2)
	v_sub_f32_e32 v86, v86, v87
	v_fmac_f32_e32 v106, 0x32a5705f, v3
	v_cvt_i32_f32_e32 v87, v87
	s_delay_alu instid0(VALU_DEP_2) | instskip(NEXT) | instid1(VALU_DEP_1)
	v_add_f32_e32 v86, v86, v106
	v_exp_f32_e32 v86, v86
	s_waitcnt_depctr 0xfff
	v_ldexp_f32 v86, v86, v87
	s_delay_alu instid0(VALU_DEP_1) | instskip(SKIP_1) | instid1(VALU_DEP_2)
	v_cndmask_b32_e32 v86, 0, v86, vcc_lo
	v_cmp_nlt_f32_e32 vcc_lo, 0x42b17218, v3
	v_cndmask_b32_e32 v3, 0x7f800000, v86, vcc_lo
	s_delay_alu instid0(VALU_DEP_1) | instskip(NEXT) | instid1(VALU_DEP_1)
	v_add_f32_e32 v3, 1.0, v3
	v_rcp_f32_e32 v3, v3
	s_waitcnt_depctr 0xfff
	v_fma_f32 v3, v3, -2.0, 1.0
.LBB87_87:                              ;   in Loop: Header=BB87_8 Depth=1
	s_and_not1_saveexec_b32 s4, s4
	s_cbranch_execz .LBB87_90
; %bb.88:                               ;   in Loop: Header=BB87_8 Depth=1
	v_mul_f32_e32 v3, v83, v83
	s_delay_alu instid0(VALU_DEP_1) | instskip(NEXT) | instid1(VALU_DEP_1)
	v_fmaak_f32 v86, s49, v3, 0x3ca908c9
	v_fmaak_f32 v86, v3, v86, 0xbd5c1c4e
	s_delay_alu instid0(VALU_DEP_1) | instskip(NEXT) | instid1(VALU_DEP_1)
	v_fmaak_f32 v86, v3, v86, 0x3e088382
	v_fmaak_f32 v86, v3, v86, 0xbeaaaa99
	s_delay_alu instid0(VALU_DEP_1) | instskip(NEXT) | instid1(VALU_DEP_1)
	v_mul_f32_e64 v86, |v83|, v86
	v_fma_f32 v3, v3, v86, |v83|
	s_or_b32 exec_lo, exec_lo, s4
	s_delay_alu instid0(SALU_CYCLE_1)
	s_and_not1_b32 vcc_lo, exec_lo, s21
	s_cbranch_vccz .LBB87_91
.LBB87_89:                              ;   in Loop: Header=BB87_8 Depth=1
	v_mov_b32_e32 v86, 0
	v_cmp_ngt_f32_e64 s4, 0x3f200000, |v84|
                                        ; implicit-def: $vgpr109
	s_delay_alu instid0(VALU_DEP_1) | instskip(NEXT) | instid1(SALU_CYCLE_1)
	s_and_saveexec_b32 s5, s4
	s_xor_b32 s4, exec_lo, s5
	s_cbranch_execz .LBB87_93
	s_branch .LBB87_92
.LBB87_90:                              ;   in Loop: Header=BB87_8 Depth=1
	s_or_b32 exec_lo, exec_lo, s4
	s_delay_alu instid0(SALU_CYCLE_1)
	s_and_not1_b32 vcc_lo, exec_lo, s21
	s_cbranch_vccnz .LBB87_89
.LBB87_91:                              ;   in Loop: Header=BB87_8 Depth=1
	v_lshlrev_b64 v[86:87], 1, v[1:2]
	s_delay_alu instid0(VALU_DEP_1) | instskip(NEXT) | instid1(VALU_DEP_2)
	v_add_co_u32 v86, vcc_lo, s43, v86
	v_add_co_ci_u32_e32 v87, vcc_lo, s44, v87, vcc_lo
	flat_load_u16 v86, v[86:87]
	s_waitcnt vmcnt(0) lgkmcnt(0)
	v_cvt_f32_f16_e32 v86, v86
	s_delay_alu instid0(VALU_DEP_1) | instskip(SKIP_1) | instid1(VALU_DEP_1)
	v_mul_f32_e32 v86, v43, v86
	v_cmp_ngt_f32_e64 s4, 0x3f200000, |v84|
                                        ; implicit-def: $vgpr109
	s_and_saveexec_b32 s5, s4
	s_delay_alu instid0(SALU_CYCLE_1)
	s_xor_b32 s4, exec_lo, s5
	s_cbranch_execz .LBB87_93
.LBB87_92:                              ;   in Loop: Header=BB87_8 Depth=1
	v_add_f32_e64 v87, |v84|, |v84|
	s_delay_alu instid0(VALU_DEP_1) | instskip(SKIP_1) | instid1(VALU_DEP_2)
	v_mul_f32_e32 v106, 0x3fb8aa3b, v87
	v_cmp_ngt_f32_e32 vcc_lo, 0xc2ce8ed0, v87
	v_rndne_f32_e32 v109, v106
	v_fma_f32 v110, 0x3fb8aa3b, v87, -v106
	s_delay_alu instid0(VALU_DEP_2) | instskip(NEXT) | instid1(VALU_DEP_2)
	v_sub_f32_e32 v106, v106, v109
	v_fmac_f32_e32 v110, 0x32a5705f, v87
	v_cvt_i32_f32_e32 v109, v109
	s_delay_alu instid0(VALU_DEP_2) | instskip(NEXT) | instid1(VALU_DEP_1)
	v_add_f32_e32 v106, v106, v110
	v_exp_f32_e32 v106, v106
	s_waitcnt_depctr 0xfff
	v_ldexp_f32 v106, v106, v109
	s_delay_alu instid0(VALU_DEP_1) | instskip(SKIP_1) | instid1(VALU_DEP_2)
	v_cndmask_b32_e32 v106, 0, v106, vcc_lo
	v_cmp_nlt_f32_e32 vcc_lo, 0x42b17218, v87
	v_cndmask_b32_e32 v87, 0x7f800000, v106, vcc_lo
	s_delay_alu instid0(VALU_DEP_1) | instskip(NEXT) | instid1(VALU_DEP_1)
	v_add_f32_e32 v87, 1.0, v87
	v_rcp_f32_e32 v87, v87
	s_waitcnt_depctr 0xfff
	v_fma_f32 v109, v87, -2.0, 1.0
.LBB87_93:                              ;   in Loop: Header=BB87_8 Depth=1
	s_and_not1_saveexec_b32 s4, s4
	s_cbranch_execz .LBB87_96
; %bb.94:                               ;   in Loop: Header=BB87_8 Depth=1
	v_mul_f32_e32 v87, v84, v84
	s_delay_alu instid0(VALU_DEP_1) | instskip(NEXT) | instid1(VALU_DEP_1)
	v_fmaak_f32 v106, s49, v87, 0x3ca908c9
	v_fmaak_f32 v106, v87, v106, 0xbd5c1c4e
	s_delay_alu instid0(VALU_DEP_1) | instskip(NEXT) | instid1(VALU_DEP_1)
	v_fmaak_f32 v106, v87, v106, 0x3e088382
	v_fmaak_f32 v106, v87, v106, 0xbeaaaa99
	s_delay_alu instid0(VALU_DEP_1) | instskip(NEXT) | instid1(VALU_DEP_1)
	v_mul_f32_e64 v106, |v84|, v106
	v_fma_f32 v109, v87, v106, |v84|
	s_or_b32 exec_lo, exec_lo, s4
	s_delay_alu instid0(SALU_CYCLE_1)
	s_and_not1_b32 vcc_lo, exec_lo, s21
	s_cbranch_vccz .LBB87_97
.LBB87_95:                              ;   in Loop: Header=BB87_8 Depth=1
	v_mov_b32_e32 v87, 0
	v_cmp_ngt_f32_e64 s4, 0x3f200000, |v85|
                                        ; implicit-def: $vgpr110
	s_delay_alu instid0(VALU_DEP_1) | instskip(NEXT) | instid1(SALU_CYCLE_1)
	s_and_saveexec_b32 s5, s4
	s_xor_b32 s4, exec_lo, s5
	s_cbranch_execz .LBB87_99
	s_branch .LBB87_98
.LBB87_96:                              ;   in Loop: Header=BB87_8 Depth=1
	s_or_b32 exec_lo, exec_lo, s4
	s_delay_alu instid0(SALU_CYCLE_1)
	s_and_not1_b32 vcc_lo, exec_lo, s21
	s_cbranch_vccnz .LBB87_95
.LBB87_97:                              ;   in Loop: Header=BB87_8 Depth=1
	v_lshlrev_b64 v[110:111], 1, v[1:2]
	s_delay_alu instid0(VALU_DEP_1) | instskip(NEXT) | instid1(VALU_DEP_2)
	v_add_co_u32 v110, vcc_lo, s45, v110
	v_add_co_ci_u32_e32 v111, vcc_lo, s46, v111, vcc_lo
	flat_load_u16 v87, v[110:111]
	s_waitcnt vmcnt(0) lgkmcnt(0)
	v_cvt_f32_f16_e32 v87, v87
	s_delay_alu instid0(VALU_DEP_1) | instskip(SKIP_1) | instid1(VALU_DEP_1)
	v_mul_f32_e32 v87, v43, v87
	v_cmp_ngt_f32_e64 s4, 0x3f200000, |v85|
                                        ; implicit-def: $vgpr110
	s_and_saveexec_b32 s5, s4
	s_delay_alu instid0(SALU_CYCLE_1)
	s_xor_b32 s4, exec_lo, s5
	s_cbranch_execz .LBB87_99
.LBB87_98:                              ;   in Loop: Header=BB87_8 Depth=1
	v_add_f32_e64 v106, |v85|, |v85|
	s_delay_alu instid0(VALU_DEP_1) | instskip(SKIP_1) | instid1(VALU_DEP_2)
	v_mul_f32_e32 v110, 0x3fb8aa3b, v106
	v_cmp_ngt_f32_e32 vcc_lo, 0xc2ce8ed0, v106
	v_rndne_f32_e32 v111, v110
	v_fma_f32 v112, 0x3fb8aa3b, v106, -v110
	s_delay_alu instid0(VALU_DEP_2) | instskip(NEXT) | instid1(VALU_DEP_2)
	v_sub_f32_e32 v110, v110, v111
	v_fmac_f32_e32 v112, 0x32a5705f, v106
	v_cvt_i32_f32_e32 v111, v111
	s_delay_alu instid0(VALU_DEP_2) | instskip(NEXT) | instid1(VALU_DEP_1)
	v_add_f32_e32 v110, v110, v112
	v_exp_f32_e32 v110, v110
	s_waitcnt_depctr 0xfff
	v_ldexp_f32 v110, v110, v111
	s_delay_alu instid0(VALU_DEP_1) | instskip(SKIP_1) | instid1(VALU_DEP_2)
	v_cndmask_b32_e32 v110, 0, v110, vcc_lo
	v_cmp_nlt_f32_e32 vcc_lo, 0x42b17218, v106
	v_cndmask_b32_e32 v106, 0x7f800000, v110, vcc_lo
	s_delay_alu instid0(VALU_DEP_1) | instskip(NEXT) | instid1(VALU_DEP_1)
	v_add_f32_e32 v106, 1.0, v106
	v_rcp_f32_e32 v106, v106
	s_waitcnt_depctr 0xfff
	v_fma_f32 v110, v106, -2.0, 1.0
.LBB87_99:                              ;   in Loop: Header=BB87_8 Depth=1
	s_and_not1_saveexec_b32 s4, s4
	s_cbranch_execz .LBB87_102
; %bb.100:                              ;   in Loop: Header=BB87_8 Depth=1
	v_mul_f32_e32 v106, v85, v85
	s_delay_alu instid0(VALU_DEP_1) | instskip(NEXT) | instid1(VALU_DEP_1)
	v_fmaak_f32 v110, s49, v106, 0x3ca908c9
	v_fmaak_f32 v110, v106, v110, 0xbd5c1c4e
	s_delay_alu instid0(VALU_DEP_1) | instskip(NEXT) | instid1(VALU_DEP_1)
	v_fmaak_f32 v110, v106, v110, 0x3e088382
	v_fmaak_f32 v110, v106, v110, 0xbeaaaa99
	s_delay_alu instid0(VALU_DEP_1) | instskip(NEXT) | instid1(VALU_DEP_1)
	v_mul_f32_e64 v110, |v85|, v110
	v_fma_f32 v110, v106, v110, |v85|
	s_or_b32 exec_lo, exec_lo, s4
	s_delay_alu instid0(SALU_CYCLE_1)
	s_and_not1_b32 vcc_lo, exec_lo, s21
	s_cbranch_vccz .LBB87_103
.LBB87_101:                             ;   in Loop: Header=BB87_8 Depth=1
	v_mov_b32_e32 v106, 0
	s_branch .LBB87_104
.LBB87_102:                             ;   in Loop: Header=BB87_8 Depth=1
	s_or_b32 exec_lo, exec_lo, s4
	s_delay_alu instid0(SALU_CYCLE_1)
	s_and_not1_b32 vcc_lo, exec_lo, s21
	s_cbranch_vccnz .LBB87_101
.LBB87_103:                             ;   in Loop: Header=BB87_8 Depth=1
	v_lshlrev_b64 v[1:2], 1, v[1:2]
	s_delay_alu instid0(VALU_DEP_1) | instskip(NEXT) | instid1(VALU_DEP_2)
	v_add_co_u32 v1, vcc_lo, s47, v1
	v_add_co_ci_u32_e32 v2, vcc_lo, s48, v2, vcc_lo
	flat_load_u16 v1, v[1:2]
	s_waitcnt vmcnt(0) lgkmcnt(0)
	v_cvt_f32_f16_e32 v1, v1
	s_delay_alu instid0(VALU_DEP_1)
	v_mul_f32_e32 v106, v43, v1
.LBB87_104:                             ;   in Loop: Header=BB87_8 Depth=1
	v_dual_max_f32 v1, v105, v105 :: v_dual_max_f32 v2, v104, v104
	v_dual_max_f32 v103, v103, v103 :: v_dual_max_f32 v102, v102, v102
	v_bfi_b32 v82, 0x7fffffff, v108, v82
	v_bfi_b32 v3, 0x7fffffff, v3, v83
	;; [unrolled: 1-line block ×3, first 2 shown]
	v_max_f32_e32 v2, v2, v1
	s_delay_alu instid0(VALU_DEP_4)
	v_dual_max_f32 v1, v102, v103 :: v_dual_fmac_f32 v88, s23, v82
	v_bfi_b32 v84, 0x7fffffff, v110, v85
	v_fmac_f32_e32 v86, s23, v3
	v_fmac_f32_e32 v87, s23, v83
	s_waitcnt lgkmcnt(0)
	v_add_f32_e32 v3, 0x40051340, v88
	v_fmac_f32_e32 v106, s23, v84
	v_add_f32_e32 v82, 0x40051340, v86
	s_barrier
	buffer_gl0_inv
	v_dual_sub_f32 v80, v80, v1 :: v_dual_add_f32 v83, 0x40051340, v106
	v_max3_f32 v3, v78, v3, v82
	v_dual_add_f32 v82, 0x40051340, v87 :: v_dual_sub_f32 v21, v21, v1
	v_sub_f32_e32 v81, v81, v2
	s_delay_alu instid0(VALU_DEP_2)
	v_max3_f32 v82, v3, v82, v83
	v_max_f32_e32 v3, v107, v107
	v_max_f32_e32 v83, v89, v89
	v_cmp_ngt_f32_e64 s5, 0xc2ce8ed0, v21
	v_cmp_nlt_f32_e64 s6, 0x42b17218, v21
	ds_bpermute_b32 v4, v4, v82
	s_waitcnt lgkmcnt(0)
	v_dual_max_f32 v3, v83, v3 :: v_dual_max_f32 v4, v4, v4
	s_delay_alu instid0(VALU_DEP_1) | instskip(NEXT) | instid1(VALU_DEP_2)
	v_sub_f32_e32 v90, v90, v3
	v_max_f32_e32 v4, v82, v4
	ds_bpermute_b32 v22, v22, v4
	s_waitcnt lgkmcnt(0)
	v_max_f32_e32 v22, v22, v22
	s_delay_alu instid0(VALU_DEP_1) | instskip(SKIP_3) | instid1(VALU_DEP_1)
	v_max_f32_e32 v4, v4, v22
	ds_bpermute_b32 v22, v23, v4
	s_waitcnt lgkmcnt(0)
	v_max_f32_e32 v22, v22, v22
	v_max_f32_e32 v4, v4, v22
	ds_bpermute_b32 v22, v24, v4
	s_waitcnt lgkmcnt(0)
	v_max_f32_e32 v22, v22, v22
	s_delay_alu instid0(VALU_DEP_1) | instskip(SKIP_3) | instid1(VALU_DEP_1)
	v_max_f32_e32 v4, v4, v22
	ds_bpermute_b32 v22, v97, v4
	s_waitcnt lgkmcnt(0)
	v_max_f32_e32 v22, v22, v22
	v_max_f32_e32 v4, v4, v22
	v_sub_f32_e32 v22, v101, v2
	s_delay_alu instid0(VALU_DEP_1) | instskip(SKIP_2) | instid1(VALU_DEP_3)
	v_mul_f32_e32 v23, 0x3fb8aa3b, v22
	v_cmp_ngt_f32_e32 vcc_lo, 0xc2ce8ed0, v22
	v_cmp_nlt_f32_e64 s4, 0x42b17218, v22
	v_fma_f32 v24, 0x3fb8aa3b, v22, -v23
	s_delay_alu instid0(VALU_DEP_1) | instskip(SKIP_1) | instid1(VALU_DEP_1)
	v_fmac_f32_e32 v24, 0x32a5705f, v22
	v_mul_f32_e32 v22, 0x3fb8aa3b, v21
	v_fma_f32 v82, 0x3fb8aa3b, v21, -v22
	s_delay_alu instid0(VALU_DEP_1) | instskip(NEXT) | instid1(VALU_DEP_1)
	v_dual_fmac_f32 v82, 0x32a5705f, v21 :: v_dual_sub_f32 v21, v93, v3
	v_mul_f32_e32 v83, 0x3fb8aa3b, v21
	v_cmp_ngt_f32_e64 s7, 0xc2ce8ed0, v21
	v_cmp_nlt_f32_e64 s8, 0x42b17218, v21
	s_delay_alu instid0(VALU_DEP_3) | instskip(NEXT) | instid1(VALU_DEP_1)
	v_fma_f32 v84, 0x3fb8aa3b, v21, -v83
	v_fmac_f32_e32 v84, 0x32a5705f, v21
	v_rndne_f32_e32 v21, v23
	s_delay_alu instid0(VALU_DEP_1) | instskip(SKIP_1) | instid1(VALU_DEP_2)
	v_sub_f32_e32 v23, v23, v21
	v_cvt_i32_f32_e32 v21, v21
	v_add_f32_e32 v23, v23, v24
	v_rndne_f32_e32 v24, v22
	s_delay_alu instid0(VALU_DEP_2) | instskip(NEXT) | instid1(VALU_DEP_1)
	v_exp_f32_e32 v23, v23
	v_sub_f32_e32 v22, v22, v24
	s_delay_alu instid0(VALU_DEP_1)
	v_add_f32_e32 v22, v22, v82
	v_rndne_f32_e32 v82, v83
	s_waitcnt_depctr 0xfff
	v_ldexp_f32 v21, v23, v21
	v_exp_f32_e32 v22, v22
	v_cvt_i32_f32_e32 v23, v24
	v_sub_f32_e32 v83, v83, v82
	v_cvt_i32_f32_e32 v82, v82
	v_cndmask_b32_e32 v21, 0, v21, vcc_lo
	v_sub_f32_e32 v87, v87, v4
	s_delay_alu instid0(VALU_DEP_4) | instskip(NEXT) | instid1(TRANS32_DEP_1)
	v_add_f32_e32 v83, v83, v84
	v_ldexp_f32 v22, v22, v23
	v_sub_f32_e32 v23, v88, v4
	s_delay_alu instid0(VALU_DEP_3) | instskip(NEXT) | instid1(VALU_DEP_2)
	v_exp_f32_e32 v83, v83
	v_cndmask_b32_e64 v22, 0, v22, s5
	s_delay_alu instid0(VALU_DEP_2) | instskip(SKIP_2) | instid1(VALU_DEP_3)
	v_mul_f32_e32 v24, 0x3fb8aa3b, v23
	v_cmp_ngt_f32_e64 s9, 0xc2ce8ed0, v23
	v_cmp_nlt_f32_e64 s10, 0x42b17218, v23
	v_fma_f32 v84, 0x3fb8aa3b, v23, -v24
	v_rndne_f32_e32 v85, v24
	s_delay_alu instid0(TRANS32_DEP_1) | instskip(NEXT) | instid1(VALU_DEP_3)
	v_ldexp_f32 v82, v83, v82
	v_fmac_f32_e32 v84, 0x32a5705f, v23
	s_delay_alu instid0(VALU_DEP_3) | instskip(NEXT) | instid1(VALU_DEP_3)
	v_sub_f32_e32 v24, v24, v85
	v_cndmask_b32_e64 v82, 0, v82, s7
	s_delay_alu instid0(VALU_DEP_2) | instskip(NEXT) | instid1(VALU_DEP_1)
	v_add_f32_e32 v24, v24, v84
	v_exp_f32_e32 v23, v24
	v_cvt_i32_f32_e32 v24, v85
	s_waitcnt_depctr 0xfff
	v_ldexp_f32 v23, v23, v24
	v_cndmask_b32_e64 v24, 0x7f800000, v22, s6
	v_cndmask_b32_e64 v22, 0x7f800000, v82, s8
	s_delay_alu instid0(VALU_DEP_3) | instskip(SKIP_1) | instid1(VALU_DEP_2)
	v_cndmask_b32_e64 v83, 0, v23, s9
	v_cndmask_b32_e64 v23, 0x7f800000, v21, s4
	;; [unrolled: 1-line block ×3, first 2 shown]
	s_delay_alu instid0(VALU_DEP_2) | instskip(SKIP_1) | instid1(VALU_DEP_1)
	v_cvt_f16_f32_e32 v82, v23
	v_cvt_f16_f32_e32 v83, v24
	v_pack_b32_f16 v88, v83, v82
	v_cvt_f16_f32_e32 v82, v22
	v_cvt_f16_f32_e32 v83, v21
	s_delay_alu instid0(VALU_DEP_1) | instskip(SKIP_1) | instid1(VALU_DEP_1)
	v_pack_b32_f16 v89, v82, v83
	v_sub_f32_e32 v82, v98, v1
	v_mul_f32_e32 v83, 0x3fb8aa3b, v82
	v_cmp_ngt_f32_e32 vcc_lo, 0xc2ce8ed0, v82
	v_cmp_nlt_f32_e64 s4, 0x42b17218, v82
	s_delay_alu instid0(VALU_DEP_3) | instskip(NEXT) | instid1(VALU_DEP_1)
	v_fma_f32 v84, 0x3fb8aa3b, v82, -v83
	v_fmac_f32_e32 v84, 0x32a5705f, v82
	v_sub_f32_e32 v82, v94, v2
	s_delay_alu instid0(VALU_DEP_1) | instskip(SKIP_2) | instid1(VALU_DEP_3)
	v_mul_f32_e32 v85, 0x3fb8aa3b, v82
	v_cmp_ngt_f32_e64 s5, 0xc2ce8ed0, v82
	v_cmp_nlt_f32_e64 s6, 0x42b17218, v82
	v_fma_f32 v93, 0x3fb8aa3b, v82, -v85
	s_delay_alu instid0(VALU_DEP_1) | instskip(NEXT) | instid1(VALU_DEP_1)
	v_dual_fmac_f32 v93, 0x32a5705f, v82 :: v_dual_sub_f32 v82, v91, v3
	v_mul_f32_e32 v91, 0x3fb8aa3b, v82
	v_cmp_ngt_f32_e64 s7, 0xc2ce8ed0, v82
	v_cmp_nlt_f32_e64 s8, 0x42b17218, v82
	s_delay_alu instid0(VALU_DEP_3) | instskip(NEXT) | instid1(VALU_DEP_1)
	v_fma_f32 v94, 0x3fb8aa3b, v82, -v91
	v_fmac_f32_e32 v94, 0x32a5705f, v82
	v_rndne_f32_e32 v82, v83
	s_delay_alu instid0(VALU_DEP_1) | instskip(SKIP_1) | instid1(VALU_DEP_2)
	v_sub_f32_e32 v83, v83, v82
	v_cvt_i32_f32_e32 v82, v82
	v_add_f32_e32 v83, v83, v84
	v_rndne_f32_e32 v84, v85
	s_delay_alu instid0(VALU_DEP_2) | instskip(NEXT) | instid1(VALU_DEP_1)
	v_exp_f32_e32 v83, v83
	v_sub_f32_e32 v85, v85, v84
	v_cvt_i32_f32_e32 v84, v84
	s_delay_alu instid0(VALU_DEP_2) | instskip(SKIP_4) | instid1(VALU_DEP_1)
	v_add_f32_e32 v85, v85, v93
	v_rndne_f32_e32 v93, v91
	s_waitcnt_depctr 0xfff
	v_ldexp_f32 v82, v83, v82
	v_exp_f32_e32 v83, v85
	v_dual_sub_f32 v91, v91, v93 :: v_dual_cndmask_b32 v82, 0, v82
	s_delay_alu instid0(VALU_DEP_1) | instskip(SKIP_3) | instid1(VALU_DEP_2)
	v_add_f32_e32 v91, v91, v94
	s_waitcnt_depctr 0xfff
	v_ldexp_f32 v83, v83, v84
	v_sub_f32_e32 v84, v86, v4
	v_cndmask_b32_e64 v83, 0, v83, s5
	s_delay_alu instid0(VALU_DEP_2) | instskip(NEXT) | instid1(VALU_DEP_1)
	v_mul_f32_e32 v85, 0x3fb8aa3b, v84
	v_fma_f32 v86, 0x3fb8aa3b, v84, -v85
	v_rndne_f32_e32 v94, v85
	s_delay_alu instid0(VALU_DEP_1) | instskip(NEXT) | instid1(VALU_DEP_1)
	v_dual_fmac_f32 v86, 0x32a5705f, v84 :: v_dual_sub_f32 v85, v85, v94
	v_add_f32_e32 v85, v85, v86
	v_exp_f32_e32 v86, v91
	v_cmp_ngt_f32_e64 s9, 0xc2ce8ed0, v84
	v_cmp_nlt_f32_e64 s10, 0x42b17218, v84
	v_cvt_i32_f32_e32 v91, v93
	v_exp_f32_e32 v84, v85
	v_cvt_i32_f32_e32 v85, v94
	s_waitcnt_depctr 0xfff
	v_ldexp_f32 v86, v86, v91
	v_ldexp_f32 v84, v84, v85
	s_delay_alu instid0(VALU_DEP_2) | instskip(SKIP_1) | instid1(VALU_DEP_3)
	v_cndmask_b32_e64 v86, 0, v86, s7
	v_cndmask_b32_e64 v85, 0x7f800000, v82, s4
	;; [unrolled: 1-line block ×4, first 2 shown]
	s_delay_alu instid0(VALU_DEP_4) | instskip(NEXT) | instid1(VALU_DEP_4)
	v_cndmask_b32_e64 v83, 0x7f800000, v86, s8
	v_cvt_f16_f32_e32 v86, v85
	v_cmp_ngt_f32_e64 s9, 0xc2ce8ed0, v87
	v_cndmask_b32_e64 v82, 0x7f800000, v91, s10
	v_cvt_f16_f32_e32 v91, v84
	v_cmp_nlt_f32_e64 s10, 0x42b17218, v87
	v_add_f32_e32 v24, v24, v85
	v_dual_add_f32 v22, v22, v83 :: v_dual_add_f32 v23, v23, v84
	s_delay_alu instid0(VALU_DEP_4) | instskip(SKIP_3) | instid1(VALU_DEP_2)
	v_pack_b32_f16 v93, v86, v91
	v_cvt_f16_f32_e32 v86, v83
	v_cvt_f16_f32_e32 v91, v82
	v_add_f32_e32 v21, v21, v82
	v_pack_b32_f16 v94, v86, v91
	v_sub_f32_e32 v86, v99, v1
	v_add_nc_u32_e32 v98, v67, v37
	s_delay_alu instid0(VALU_DEP_2) | instskip(SKIP_3) | instid1(VALU_DEP_2)
	v_cmp_ngt_f32_e32 vcc_lo, 0xc2ce8ed0, v86
	ds_store_2addr_b64 v98, v[88:89], v[93:94] offset1:32
	v_mul_f32_e32 v88, 0x3fb8aa3b, v86
	v_cmp_nlt_f32_e64 s4, 0x42b17218, v86
	v_fma_f32 v89, 0x3fb8aa3b, v86, -v88
	s_delay_alu instid0(VALU_DEP_1) | instskip(SKIP_1) | instid1(VALU_DEP_1)
	v_fmac_f32_e32 v89, 0x32a5705f, v86
	v_sub_f32_e32 v86, v95, v2
	v_mul_f32_e32 v91, 0x3fb8aa3b, v86
	v_cmp_ngt_f32_e64 s5, 0xc2ce8ed0, v86
	v_cmp_nlt_f32_e64 s6, 0x42b17218, v86
	s_delay_alu instid0(VALU_DEP_3) | instskip(NEXT) | instid1(VALU_DEP_1)
	v_fma_f32 v93, 0x3fb8aa3b, v86, -v91
	v_dual_fmac_f32 v93, 0x32a5705f, v86 :: v_dual_sub_f32 v86, v92, v3
	s_delay_alu instid0(VALU_DEP_1) | instskip(SKIP_2) | instid1(VALU_DEP_3)
	v_mul_f32_e32 v92, 0x3fb8aa3b, v86
	v_cmp_ngt_f32_e64 s7, 0xc2ce8ed0, v86
	v_cmp_nlt_f32_e64 s8, 0x42b17218, v86
	v_fma_f32 v94, 0x3fb8aa3b, v86, -v92
	s_delay_alu instid0(VALU_DEP_1) | instskip(SKIP_1) | instid1(VALU_DEP_1)
	v_fmac_f32_e32 v94, 0x32a5705f, v86
	v_rndne_f32_e32 v86, v88
	v_sub_f32_e32 v88, v88, v86
	v_cvt_i32_f32_e32 v86, v86
	s_delay_alu instid0(VALU_DEP_2) | instskip(SKIP_1) | instid1(VALU_DEP_2)
	v_add_f32_e32 v88, v88, v89
	v_rndne_f32_e32 v89, v91
	v_exp_f32_e32 v88, v88
	s_delay_alu instid0(VALU_DEP_1) | instskip(SKIP_1) | instid1(VALU_DEP_2)
	v_sub_f32_e32 v91, v91, v89
	v_cvt_i32_f32_e32 v89, v89
	v_add_f32_e32 v91, v91, v93
	v_rndne_f32_e32 v93, v92
	s_waitcnt_depctr 0xfff
	v_ldexp_f32 v86, v88, v86
	v_exp_f32_e32 v88, v91
	v_sub_f32_e32 v92, v92, v93
	s_delay_alu instid0(VALU_DEP_2) | instskip(NEXT) | instid1(VALU_DEP_2)
	v_cndmask_b32_e32 v86, 0, v86, vcc_lo
	v_add_f32_e32 v92, v92, v94
	s_waitcnt_depctr 0xfff
	v_ldexp_f32 v88, v88, v89
	v_mul_f32_e32 v89, 0x3fb8aa3b, v87
	s_delay_alu instid0(VALU_DEP_2) | instskip(NEXT) | instid1(VALU_DEP_2)
	v_cndmask_b32_e64 v88, 0, v88, s5
	v_fma_f32 v91, 0x3fb8aa3b, v87, -v89
	v_rndne_f32_e32 v94, v89
	s_delay_alu instid0(VALU_DEP_3) | instskip(NEXT) | instid1(VALU_DEP_3)
	v_cndmask_b32_e64 v88, 0x7f800000, v88, s6
	v_fmac_f32_e32 v91, 0x32a5705f, v87
	s_delay_alu instid0(VALU_DEP_3) | instskip(NEXT) | instid1(VALU_DEP_3)
	v_sub_f32_e32 v89, v89, v94
	v_add_f32_e32 v23, v88, v23
	s_delay_alu instid0(VALU_DEP_2) | instskip(SKIP_2) | instid1(VALU_DEP_2)
	v_add_f32_e32 v89, v89, v91
	v_exp_f32_e32 v91, v92
	v_cvt_i32_f32_e32 v92, v93
	v_exp_f32_e32 v87, v89
	v_cvt_i32_f32_e32 v89, v94
	s_waitcnt_depctr 0xfff
	v_ldexp_f32 v91, v91, v92
	v_ldexp_f32 v87, v87, v89
	s_delay_alu instid0(VALU_DEP_2) | instskip(SKIP_2) | instid1(VALU_DEP_4)
	v_cndmask_b32_e64 v91, 0, v91, s7
	v_cndmask_b32_e64 v89, 0x7f800000, v86, s4
	v_cmp_ngt_f32_e64 s7, 0xc2ce8ed0, v90
	v_cndmask_b32_e64 v92, 0, v87, s9
	s_delay_alu instid0(VALU_DEP_4) | instskip(NEXT) | instid1(VALU_DEP_4)
	v_cndmask_b32_e64 v87, 0x7f800000, v91, s8
	v_cvt_f16_f32_e32 v91, v89
	v_cmp_nlt_f32_e64 s8, 0x42b17218, v90
	s_delay_alu instid0(VALU_DEP_4) | instskip(SKIP_2) | instid1(VALU_DEP_3)
	v_cndmask_b32_e64 v86, 0x7f800000, v92, s10
	v_cvt_f16_f32_e32 v92, v88
	v_add_f32_e32 v24, v89, v24
	v_dual_add_f32 v22, v87, v22 :: v_dual_add_f32 v21, v86, v21
	s_delay_alu instid0(VALU_DEP_3) | instskip(SKIP_2) | instid1(VALU_DEP_1)
	v_pack_b32_f16 v94, v91, v92
	v_cvt_f16_f32_e32 v91, v87
	v_cvt_f16_f32_e32 v92, v86
	v_pack_b32_f16 v95, v91, v92
	v_sub_f32_e32 v91, v100, v1
	s_delay_alu instid0(VALU_DEP_1) | instskip(SKIP_2) | instid1(VALU_DEP_3)
	v_mul_f32_e32 v92, 0x3fb8aa3b, v91
	v_cmp_ngt_f32_e32 vcc_lo, 0xc2ce8ed0, v91
	v_cmp_nlt_f32_e64 s4, 0x42b17218, v91
	v_fma_f32 v93, 0x3fb8aa3b, v91, -v92
	v_rndne_f32_e32 v97, v92
	s_delay_alu instid0(VALU_DEP_1) | instskip(SKIP_1) | instid1(VALU_DEP_2)
	v_dual_fmac_f32 v93, 0x32a5705f, v91 :: v_dual_sub_f32 v92, v92, v97
	v_cvt_i32_f32_e32 v97, v97
	v_add_f32_e32 v92, v92, v93
	v_sub_f32_e32 v93, v96, v2
	s_delay_alu instid0(VALU_DEP_2) | instskip(NEXT) | instid1(VALU_DEP_1)
	v_exp_f32_e32 v92, v92
	v_mul_f32_e32 v96, 0x3fb8aa3b, v93
	v_cmp_ngt_f32_e64 s5, 0xc2ce8ed0, v93
	v_cmp_nlt_f32_e64 s6, 0x42b17218, v93
	s_delay_alu instid0(VALU_DEP_3) | instskip(SKIP_4) | instid1(VALU_DEP_2)
	v_fma_f32 v99, 0x3fb8aa3b, v93, -v96
	v_rndne_f32_e32 v100, v96
	s_waitcnt_depctr 0xfff
	v_ldexp_f32 v92, v92, v97
	v_dual_fmac_f32 v99, 0x32a5705f, v93 :: v_dual_sub_f32 v96, v96, v100
	v_dual_mul_f32 v93, 0x3fb8aa3b, v90 :: v_dual_cndmask_b32 v92, 0, v92
	s_delay_alu instid0(VALU_DEP_2) | instskip(NEXT) | instid1(VALU_DEP_2)
	v_add_f32_e32 v96, v96, v99
	v_rndne_f32_e32 v97, v93
	s_delay_alu instid0(VALU_DEP_2)
	v_exp_f32_e32 v91, v96
	v_cvt_i32_f32_e32 v96, v100
	s_waitcnt_depctr 0xfff
	v_ldexp_f32 v91, v91, v96
	v_fma_f32 v96, 0x3fb8aa3b, v90, -v93
	v_sub_f32_e32 v93, v93, v97
	v_cvt_i32_f32_e32 v97, v97
	s_delay_alu instid0(VALU_DEP_3) | instskip(NEXT) | instid1(VALU_DEP_1)
	v_fmac_f32_e32 v96, 0x32a5705f, v90
	v_add_f32_e32 v93, v93, v96
	v_sub_f32_e32 v96, v106, v4
	s_delay_alu instid0(VALU_DEP_2) | instskip(NEXT) | instid1(VALU_DEP_1)
	v_exp_f32_e32 v93, v93
	v_mul_f32_e32 v99, 0x3fb8aa3b, v96
	v_cmp_ngt_f32_e64 s9, 0xc2ce8ed0, v96
	v_cmp_nlt_f32_e64 s10, 0x42b17218, v96
	s_delay_alu instid0(VALU_DEP_3)
	v_fma_f32 v100, 0x3fb8aa3b, v96, -v99
	v_rndne_f32_e32 v101, v99
	s_waitcnt_depctr 0xfff
	v_ldexp_f32 v93, v93, v97
	v_dual_fmac_f32 v100, 0x32a5705f, v96 :: v_dual_sub_f32 v99, v99, v101
	v_cvt_i32_f32_e32 v97, v101
	v_cndmask_b32_e64 v96, 0, v91, s5
	s_delay_alu instid0(VALU_DEP_4) | instskip(SKIP_2) | instid1(VALU_DEP_2)
	v_cndmask_b32_e64 v93, 0, v93, s7
	s_mul_hi_i32 s5, s12, s13
	v_add_f32_e32 v99, v99, v100
	v_cndmask_b32_e64 v91, 0x7f800000, v93, s8
	v_cndmask_b32_e64 v93, 0x7f800000, v92, s4
	s_delay_alu instid0(VALU_DEP_3)
	v_exp_f32_e32 v90, v99
	v_cndmask_b32_e64 v92, 0x7f800000, v96, s6
	s_mul_i32 s4, s12, s13
	v_cvt_f16_f32_e32 v96, v91
	s_lshl_b64 s[4:5], s[4:5], 2
	v_add_f32_e32 v22, v91, v22
	v_cvt_f16_f32_e32 v99, v92
	s_add_u32 s4, s15, s4
	s_addc_u32 s5, s18, s5
	v_add_f32_e32 v23, v92, v23
	s_waitcnt_depctr 0xfff
	v_ldexp_f32 v90, v90, v97
	s_delay_alu instid0(VALU_DEP_1) | instskip(NEXT) | instid1(VALU_DEP_1)
	v_cndmask_b32_e64 v90, 0, v90, s9
	v_cndmask_b32_e64 v90, 0x7f800000, v90, s10
	s_delay_alu instid0(VALU_DEP_1) | instskip(SKIP_1) | instid1(VALU_DEP_1)
	v_dual_add_f32 v24, v93, v24 :: v_dual_add_f32 v21, v90, v21
	v_cvt_f16_f32_e32 v97, v90
	v_pack_b32_f16 v97, v96, v97
	v_cvt_f16_f32_e32 v96, v93
	s_delay_alu instid0(VALU_DEP_1) | instskip(SKIP_3) | instid1(VALU_DEP_2)
	v_pack_b32_f16 v96, v96, v99
	ds_store_2addr_b64 v98, v[94:95], v[96:97] offset0:64 offset1:96
	v_add_co_u32 v94, vcc_lo, s4, v13
	v_add_co_ci_u32_e32 v95, vcc_lo, s5, v14, vcc_lo
	v_add_co_u32 v94, vcc_lo, v94, v72
	s_delay_alu instid0(VALU_DEP_2)
	v_add_co_ci_u32_e32 v95, vcc_lo, 0, v95, vcc_lo
	global_load_b128 v[94:97], v[94:95], off
	s_waitcnt vmcnt(0)
	ds_store_b128 v65, v[94:97]
	v_add_co_u32 v94, vcc_lo, s4, v15
	v_add_co_ci_u32_e32 v95, vcc_lo, s5, v16, vcc_lo
	s_delay_alu instid0(VALU_DEP_2) | instskip(NEXT) | instid1(VALU_DEP_2)
	v_add_co_u32 v94, vcc_lo, v94, v72
	v_add_co_ci_u32_e32 v95, vcc_lo, 0, v95, vcc_lo
	global_load_b128 v[94:97], v[94:95], off
	s_waitcnt vmcnt(0)
	ds_store_b128 v68, v[94:97]
	v_add_co_u32 v94, vcc_lo, s4, v17
	v_add_co_ci_u32_e32 v95, vcc_lo, s5, v18, vcc_lo
	s_delay_alu instid0(VALU_DEP_2) | instskip(NEXT) | instid1(VALU_DEP_2)
	v_add_co_u32 v94, vcc_lo, v94, v72
	v_add_co_ci_u32_e32 v95, vcc_lo, 0, v95, vcc_lo
	global_load_b128 v[94:97], v[94:95], off
	s_waitcnt vmcnt(0)
	ds_store_b128 v69, v[94:97]
	v_add_co_u32 v94, vcc_lo, s4, v19
	v_add_co_ci_u32_e32 v95, vcc_lo, s5, v20, vcc_lo
	v_cmp_nlt_f32_e64 s4, 0x42b17218, v80
	s_delay_alu instid0(VALU_DEP_3) | instskip(NEXT) | instid1(VALU_DEP_3)
	v_add_co_u32 v94, vcc_lo, v94, v72
	v_add_co_ci_u32_e32 v95, vcc_lo, 0, v95, vcc_lo
	v_cmp_ngt_f32_e32 vcc_lo, 0xc2ce8ed0, v80
	global_load_b128 v[94:97], v[94:95], off
	s_waitcnt vmcnt(0)
	ds_store_b128 v70, v[94:97]
	v_mul_f32_e32 v94, 0x3fb8aa3b, v80
	s_waitcnt lgkmcnt(0)
	s_barrier
	buffer_gl0_inv
	v_fma_f32 v95, 0x3fb8aa3b, v80, -v94
	v_rndne_f32_e32 v96, v94
	s_delay_alu instid0(VALU_DEP_2) | instskip(NEXT) | instid1(VALU_DEP_2)
	v_fmac_f32_e32 v95, 0x32a5705f, v80
	v_sub_f32_e32 v94, v94, v96
	v_mul_f32_e32 v80, 0x3fb8aa3b, v81
	s_delay_alu instid0(VALU_DEP_2) | instskip(SKIP_1) | instid1(VALU_DEP_3)
	v_add_f32_e32 v94, v94, v95
	v_cvt_i32_f32_e32 v95, v96
	v_rndne_f32_e32 v102, v80
	s_delay_alu instid0(VALU_DEP_3)
	v_exp_f32_e32 v94, v94
	s_waitcnt_depctr 0xfff
	v_ldexp_f32 v94, v94, v95
	v_fma_f32 v95, 0x3fb8aa3b, v81, -v80
	v_sub_f32_e32 v80, v80, v102
	v_cvt_i32_f32_e32 v102, v102
	s_delay_alu instid0(VALU_DEP_3) | instskip(NEXT) | instid1(VALU_DEP_1)
	v_fmac_f32_e32 v95, 0x32a5705f, v81
	v_dual_add_f32 v103, v80, v95 :: v_dual_cndmask_b32 v80, 0, v94
	ds_load_2addr_b64 v[94:97], v37 offset1:32
	ds_load_b128 v[98:101], v67
	v_cmp_ngt_f32_e32 vcc_lo, 0xc2ce8ed0, v81
	v_exp_f32_e32 v103, v103
	v_cndmask_b32_e64 v80, 0x7f800000, v80, s4
	v_cmp_nlt_f32_e64 s4, 0x42b17218, v81
	v_sub_f32_e32 v81, v79, v3
	s_delay_alu instid0(VALU_DEP_3) | instskip(NEXT) | instid1(VALU_DEP_2)
	v_cvt_f16_f32_e32 v104, v80
	v_mul_f32_e32 v79, 0x3fb8aa3b, v81
	s_waitcnt_depctr 0xfff
	v_ldexp_f32 v102, v103, v102
	v_pk_mul_f16 v49, v104, v49 op_sel_hi:[0,1]
	v_fma_f32 v103, 0x3fb8aa3b, v81, -v79
	s_waitcnt lgkmcnt(0)
	v_pk_mul_f16 v105, v94, v98 op_sel_hi:[1,0]
	s_delay_alu instid0(VALU_DEP_2) | instskip(SKIP_1) | instid1(VALU_DEP_3)
	v_fmac_f32_e32 v103, 0x32a5705f, v81
	v_pk_fma_f16 v49, v95, v98, v49 op_sel_hi:[1,0,1]
	v_pk_fma_f16 v48, v104, v48, v105 op_sel_hi:[0,1,1]
	v_rndne_f32_e32 v104, v79
	v_pk_mul_f16 v105, v94, v98 op_sel:[0,1]
	s_delay_alu instid0(VALU_DEP_4) | instskip(NEXT) | instid1(VALU_DEP_4)
	v_pk_fma_f16 v49, v97, v100, v49 op_sel_hi:[1,0,1]
	v_pk_fma_f16 v48, v96, v100, v48 op_sel_hi:[1,0,1]
	s_delay_alu instid0(VALU_DEP_4) | instskip(NEXT) | instid1(VALU_DEP_1)
	v_sub_f32_e32 v79, v79, v104
	v_add_f32_e32 v103, v79, v103
	v_cndmask_b32_e32 v79, 0, v102, vcc_lo
	v_cmp_ngt_f32_e32 vcc_lo, 0xc2ce8ed0, v81
	s_delay_alu instid0(VALU_DEP_2) | instskip(SKIP_2) | instid1(VALU_DEP_3)
	v_cndmask_b32_e64 v79, 0x7f800000, v79, s4
	v_cmp_nlt_f32_e64 s4, 0x42b17218, v81
	v_sub_f32_e32 v81, v78, v4
	v_cvt_f16_f32_e32 v102, v79
	s_delay_alu instid0(VALU_DEP_2) | instskip(NEXT) | instid1(VALU_DEP_2)
	v_dual_fmac_f32 v23, v76, v79 :: v_dual_mul_f32 v78, 0x3fb8aa3b, v81
	v_pk_fma_f16 v46, v102, v46, v105 op_sel_hi:[0,1,1]
	v_pk_mul_f16 v47, v102, v47 op_sel_hi:[0,1]
	v_exp_f32_e32 v102, v103
	v_cvt_i32_f32_e32 v103, v104
	v_rndne_f32_e32 v104, v78
	v_pk_mul_f16 v105, v94, v99 op_sel_hi:[1,0]
	v_pk_fma_f16 v47, v95, v98, v47 op_sel:[0,1,0]
	v_pk_fma_f16 v98, v96, v100, v46 op_sel:[0,1,0]
	s_delay_alu instid0(VALU_DEP_2) | instskip(NEXT) | instid1(TRANS32_DEP_1)
	v_pk_fma_f16 v100, v97, v100, v47 op_sel:[0,1,0]
	v_ldexp_f32 v102, v102, v103
	v_fma_f32 v103, 0x3fb8aa3b, v81, -v78
	s_delay_alu instid0(VALU_DEP_1) | instskip(NEXT) | instid1(VALU_DEP_1)
	v_dual_sub_f32 v78, v78, v104 :: v_dual_fmac_f32 v103, 0x32a5705f, v81
	v_dual_add_f32 v103, v78, v103 :: v_dual_cndmask_b32 v78, 0, v102
	v_cmp_ngt_f32_e32 vcc_lo, 0xc2ce8ed0, v81
	s_delay_alu instid0(VALU_DEP_2) | instskip(SKIP_1) | instid1(VALU_DEP_2)
	v_cndmask_b32_e64 v78, 0x7f800000, v78, s4
	v_cmp_nlt_f32_e64 s4, 0x42b17218, v81
	v_cvt_f16_f32_e32 v102, v78
	v_fmac_f32_e32 v22, v75, v78
	s_delay_alu instid0(VALU_DEP_2) | instskip(SKIP_3) | instid1(VALU_DEP_2)
	v_pk_fma_f16 v44, v102, v44, v105 op_sel_hi:[0,1,1]
	v_pk_mul_f16 v45, v102, v45 op_sel_hi:[0,1]
	v_exp_f32_e32 v102, v103
	v_cvt_i32_f32_e32 v103, v104
	v_pk_fma_f16 v45, v95, v99, v45 op_sel_hi:[1,0,1]
	s_waitcnt_depctr 0xfff
	v_ldexp_f32 v102, v102, v103
	s_delay_alu instid0(VALU_DEP_1) | instskip(NEXT) | instid1(VALU_DEP_1)
	v_cndmask_b32_e32 v81, 0, v102, vcc_lo
	v_cndmask_b32_e64 v81, 0x7f800000, v81, s4
	s_or_b32 s4, s12, 64
	v_fmac_f32_e32 v24, v77, v80
	s_mul_hi_i32 s5, s4, s13
	s_mul_i32 s4, s4, s13
	v_fmac_f32_e32 v21, v74, v81
	v_cvt_f16_f32_e32 v102, v81
	s_lshl_b64 s[4:5], s[4:5], 2
	s_delay_alu instid0(SALU_CYCLE_1) | instskip(SKIP_1) | instid1(VALU_DEP_1)
	s_add_u32 s4, s15, s4
	s_addc_u32 s5, s18, s5
	v_pk_mul_f16 v42, v102, v42 op_sel_hi:[0,1]
	v_pk_mul_f16 v41, v102, v41 op_sel_hi:[0,1]
	v_pk_fma_f16 v102, v97, v101, v45 op_sel_hi:[1,0,1]
	s_delay_alu instid0(VALU_DEP_3) | instskip(NEXT) | instid1(VALU_DEP_3)
	v_pk_fma_f16 v42, v94, v99, v42 op_sel:[0,1,0]
	v_pk_fma_f16 v41, v95, v99, v41 op_sel:[0,1,0]
	v_pk_fma_f16 v99, v96, v101, v44 op_sel_hi:[1,0,1]
	s_delay_alu instid0(VALU_DEP_3) | instskip(NEXT) | instid1(VALU_DEP_3)
	v_pk_fma_f16 v42, v96, v101, v42 op_sel:[0,1,0]
	v_pk_fma_f16 v41, v97, v101, v41 op_sel:[0,1,0]
	ds_load_b128 v[44:47], v67 offset:16
	ds_load_2addr_b64 v[94:97], v37 offset0:64 offset1:96
	s_waitcnt lgkmcnt(0)
	v_pk_fma_f16 v48, v94, v44, v48 op_sel_hi:[1,0,1]
	v_pk_fma_f16 v98, v94, v44, v98 op_sel:[0,1,0]
	v_pk_fma_f16 v99, v94, v45, v99 op_sel_hi:[1,0,1]
	v_pk_fma_f16 v42, v94, v45, v42 op_sel:[0,1,0]
	;; [unrolled: 2-line block ×8, first 2 shown]
	ds_load_b128 v[44:47], v67 offset:32
	ds_load_2addr_b64 v[94:97], v37 offset0:128 offset1:160
	s_waitcnt lgkmcnt(0)
	v_pk_fma_f16 v48, v94, v44, v48 op_sel_hi:[1,0,1]
	v_pk_fma_f16 v98, v94, v44, v98 op_sel:[0,1,0]
	v_pk_fma_f16 v99, v94, v45, v99 op_sel_hi:[1,0,1]
	v_pk_fma_f16 v42, v94, v45, v42 op_sel:[0,1,0]
	;; [unrolled: 2-line block ×8, first 2 shown]
	ds_load_b128 v[44:47], v67 offset:48
	ds_load_2addr_b64 v[94:97], v37 offset0:192 offset1:224
	s_waitcnt lgkmcnt(0)
	v_pk_fma_f16 v48, v94, v44, v48 op_sel_hi:[1,0,1]
	v_pk_fma_f16 v98, v94, v44, v98 op_sel:[0,1,0]
	v_pk_fma_f16 v49, v95, v44, v49 op_sel_hi:[1,0,1]
	v_pk_fma_f16 v44, v95, v44, v100 op_sel:[0,1,0]
	;; [unrolled: 2-line block ×6, first 2 shown]
	v_add_nc_u32_e32 v46, 0x800, v37
	v_pk_fma_f16 v102, v96, v47, v99 op_sel_hi:[1,0,1]
	v_pk_fma_f16 v42, v96, v47, v42 op_sel:[0,1,0]
	v_pk_fma_f16 v103, v97, v47, v94 op_sel_hi:[1,0,1]
	v_pk_fma_f16 v41, v97, v47, v41 op_sel:[0,1,0]
	ds_load_2addr_b64 v[94:97], v46 offset1:32
	ds_load_b128 v[98:101], v67 offset:64
	s_waitcnt lgkmcnt(0)
	v_pk_fma_f16 v45, v94, v98, v45 op_sel_hi:[1,0,1]
	v_pk_fma_f16 v47, v94, v98, v48 op_sel:[0,1,0]
	v_pk_fma_f16 v48, v94, v99, v102 op_sel_hi:[1,0,1]
	v_pk_fma_f16 v42, v94, v99, v42 op_sel:[0,1,0]
	v_pk_fma_f16 v49, v95, v98, v49 op_sel_hi:[1,0,1]
	v_pk_fma_f16 v44, v95, v98, v44 op_sel:[0,1,0]
	v_pk_fma_f16 v94, v95, v99, v103 op_sel_hi:[1,0,1]
	v_pk_fma_f16 v41, v95, v99, v41 op_sel:[0,1,0]
	v_pk_fma_f16 v45, v96, v100, v45 op_sel_hi:[1,0,1]
	v_pk_fma_f16 v47, v96, v100, v47 op_sel:[0,1,0]
	v_pk_fma_f16 v48, v96, v101, v48 op_sel_hi:[1,0,1]
	v_pk_fma_f16 v42, v96, v101, v42 op_sel:[0,1,0]
	v_pk_fma_f16 v49, v97, v100, v49 op_sel_hi:[1,0,1]
	v_pk_fma_f16 v44, v97, v100, v44 op_sel:[0,1,0]
	v_pk_fma_f16 v102, v97, v101, v94 op_sel_hi:[1,0,1]
	v_pk_fma_f16 v41, v97, v101, v41 op_sel:[0,1,0]
	ds_load_2addr_b64 v[94:97], v46 offset0:64 offset1:96
	ds_load_b128 v[98:101], v67 offset:80
	s_waitcnt lgkmcnt(0)
	v_pk_fma_f16 v45, v94, v98, v45 op_sel_hi:[1,0,1]
	v_pk_fma_f16 v47, v94, v98, v47 op_sel:[0,1,0]
	v_pk_fma_f16 v48, v94, v99, v48 op_sel_hi:[1,0,1]
	v_pk_fma_f16 v42, v94, v99, v42 op_sel:[0,1,0]
	v_pk_fma_f16 v49, v95, v98, v49 op_sel_hi:[1,0,1]
	v_pk_fma_f16 v44, v95, v98, v44 op_sel:[0,1,0]
	v_pk_fma_f16 v94, v95, v99, v102 op_sel_hi:[1,0,1]
	v_pk_fma_f16 v41, v95, v99, v41 op_sel:[0,1,0]
	v_pk_fma_f16 v45, v96, v100, v45 op_sel_hi:[1,0,1]
	v_pk_fma_f16 v47, v96, v100, v47 op_sel:[0,1,0]
	v_pk_fma_f16 v48, v96, v101, v48 op_sel_hi:[1,0,1]
	v_pk_fma_f16 v42, v96, v101, v42 op_sel:[0,1,0]
	v_pk_fma_f16 v49, v97, v100, v49 op_sel_hi:[1,0,1]
	v_pk_fma_f16 v44, v97, v100, v44 op_sel:[0,1,0]
	v_pk_fma_f16 v102, v97, v101, v94 op_sel_hi:[1,0,1]
	v_pk_fma_f16 v41, v97, v101, v41 op_sel:[0,1,0]
	ds_load_2addr_b64 v[94:97], v46 offset0:128 offset1:160
	;; [unrolled: 19-line block ×3, first 2 shown]
	ds_load_b128 v[98:101], v67 offset:112
	s_waitcnt lgkmcnt(0)
	v_pk_fma_f16 v47, v94, v98, v47 op_sel:[0,1,0]
	v_pk_fma_f16 v45, v94, v98, v45 op_sel_hi:[1,0,1]
	v_pk_fma_f16 v48, v94, v99, v48 op_sel_hi:[1,0,1]
	v_pk_fma_f16 v42, v94, v99, v42 op_sel:[0,1,0]
	v_pk_fma_f16 v49, v95, v98, v49 op_sel_hi:[1,0,1]
	v_pk_fma_f16 v44, v95, v98, v44 op_sel:[0,1,0]
	;; [unrolled: 2-line block ×3, first 2 shown]
	v_pk_fma_f16 v102, v96, v100, v47 op_sel:[0,1,0]
	v_add_nc_u32_e32 v47, 0x1000, v37
	v_pk_fma_f16 v45, v96, v100, v45 op_sel_hi:[1,0,1]
	v_pk_fma_f16 v48, v96, v101, v48 op_sel_hi:[1,0,1]
	v_pk_fma_f16 v42, v96, v101, v42 op_sel:[0,1,0]
	v_pk_fma_f16 v49, v97, v100, v49 op_sel_hi:[1,0,1]
	v_pk_fma_f16 v44, v97, v100, v44 op_sel:[0,1,0]
	;; [unrolled: 2-line block ×3, first 2 shown]
	ds_load_2addr_b64 v[94:97], v47 offset1:32
	ds_load_b128 v[98:101], v67 offset:128
	s_waitcnt lgkmcnt(0)
	v_pk_fma_f16 v45, v94, v98, v45 op_sel_hi:[1,0,1]
	v_pk_fma_f16 v102, v94, v98, v102 op_sel:[0,1,0]
	v_pk_fma_f16 v48, v94, v99, v48 op_sel_hi:[1,0,1]
	v_pk_fma_f16 v42, v94, v99, v42 op_sel:[0,1,0]
	v_pk_fma_f16 v49, v95, v98, v49 op_sel_hi:[1,0,1]
	v_pk_fma_f16 v44, v95, v98, v44 op_sel:[0,1,0]
	v_pk_fma_f16 v94, v95, v99, v103 op_sel_hi:[1,0,1]
	v_pk_fma_f16 v41, v95, v99, v41 op_sel:[0,1,0]
	v_pk_fma_f16 v45, v96, v100, v45 op_sel_hi:[1,0,1]
	v_pk_fma_f16 v102, v96, v100, v102 op_sel:[0,1,0]
	v_pk_fma_f16 v48, v96, v101, v48 op_sel_hi:[1,0,1]
	v_pk_fma_f16 v42, v96, v101, v42 op_sel:[0,1,0]
	v_pk_fma_f16 v49, v97, v100, v49 op_sel_hi:[1,0,1]
	v_pk_fma_f16 v44, v97, v100, v44 op_sel:[0,1,0]
	v_pk_fma_f16 v103, v97, v101, v94 op_sel_hi:[1,0,1]
	v_pk_fma_f16 v41, v97, v101, v41 op_sel:[0,1,0]
	ds_load_2addr_b64 v[94:97], v47 offset0:64 offset1:96
	ds_load_b128 v[98:101], v67 offset:144
	s_waitcnt lgkmcnt(0)
	v_pk_fma_f16 v45, v94, v98, v45 op_sel_hi:[1,0,1]
	v_pk_fma_f16 v102, v94, v98, v102 op_sel:[0,1,0]
	v_pk_fma_f16 v48, v94, v99, v48 op_sel_hi:[1,0,1]
	v_pk_fma_f16 v42, v94, v99, v42 op_sel:[0,1,0]
	v_pk_fma_f16 v49, v95, v98, v49 op_sel_hi:[1,0,1]
	v_pk_fma_f16 v44, v95, v98, v44 op_sel:[0,1,0]
	v_pk_fma_f16 v94, v95, v99, v103 op_sel_hi:[1,0,1]
	v_pk_fma_f16 v41, v95, v99, v41 op_sel:[0,1,0]
	v_pk_fma_f16 v45, v96, v100, v45 op_sel_hi:[1,0,1]
	v_pk_fma_f16 v102, v96, v100, v102 op_sel:[0,1,0]
	v_pk_fma_f16 v48, v96, v101, v48 op_sel_hi:[1,0,1]
	v_pk_fma_f16 v42, v96, v101, v42 op_sel:[0,1,0]
	v_pk_fma_f16 v49, v97, v100, v49 op_sel_hi:[1,0,1]
	v_pk_fma_f16 v44, v97, v100, v44 op_sel:[0,1,0]
	v_pk_fma_f16 v103, v97, v101, v94 op_sel_hi:[1,0,1]
	v_pk_fma_f16 v41, v97, v101, v41 op_sel:[0,1,0]
	ds_load_2addr_b64 v[94:97], v47 offset0:128 offset1:160
	;; [unrolled: 19-line block ×3, first 2 shown]
	ds_load_b128 v[98:101], v67 offset:176
	s_waitcnt lgkmcnt(0)
	v_pk_fma_f16 v48, v94, v99, v48 op_sel_hi:[1,0,1]
	v_pk_fma_f16 v45, v94, v98, v45 op_sel_hi:[1,0,1]
	v_pk_fma_f16 v102, v94, v98, v102 op_sel:[0,1,0]
	v_pk_fma_f16 v42, v94, v99, v42 op_sel:[0,1,0]
	v_pk_fma_f16 v49, v95, v98, v49 op_sel_hi:[1,0,1]
	v_pk_fma_f16 v44, v95, v98, v44 op_sel:[0,1,0]
	v_pk_fma_f16 v94, v95, v99, v103 op_sel_hi:[1,0,1]
	v_pk_fma_f16 v41, v95, v99, v41 op_sel:[0,1,0]
	v_pk_fma_f16 v103, v96, v101, v48 op_sel_hi:[1,0,1]
	v_add_nc_u32_e32 v48, 0x1800, v37
	v_pk_fma_f16 v45, v96, v100, v45 op_sel_hi:[1,0,1]
	v_pk_fma_f16 v102, v96, v100, v102 op_sel:[0,1,0]
	v_pk_fma_f16 v42, v96, v101, v42 op_sel:[0,1,0]
	v_pk_fma_f16 v49, v97, v100, v49 op_sel_hi:[1,0,1]
	v_pk_fma_f16 v44, v97, v100, v44 op_sel:[0,1,0]
	v_pk_fma_f16 v104, v97, v101, v94 op_sel_hi:[1,0,1]
	v_pk_fma_f16 v41, v97, v101, v41 op_sel:[0,1,0]
	ds_load_2addr_b64 v[94:97], v48 offset1:32
	ds_load_b128 v[98:101], v67 offset:192
	s_waitcnt lgkmcnt(0)
	v_pk_fma_f16 v45, v94, v98, v45 op_sel_hi:[1,0,1]
	v_pk_fma_f16 v102, v94, v98, v102 op_sel:[0,1,0]
	v_pk_fma_f16 v103, v94, v99, v103 op_sel_hi:[1,0,1]
	v_pk_fma_f16 v42, v94, v99, v42 op_sel:[0,1,0]
	v_pk_fma_f16 v49, v95, v98, v49 op_sel_hi:[1,0,1]
	v_pk_fma_f16 v44, v95, v98, v44 op_sel:[0,1,0]
	v_pk_fma_f16 v94, v95, v99, v104 op_sel_hi:[1,0,1]
	v_pk_fma_f16 v41, v95, v99, v41 op_sel:[0,1,0]
	v_pk_fma_f16 v45, v96, v100, v45 op_sel_hi:[1,0,1]
	v_pk_fma_f16 v102, v96, v100, v102 op_sel:[0,1,0]
	v_pk_fma_f16 v103, v96, v101, v103 op_sel_hi:[1,0,1]
	v_pk_fma_f16 v42, v96, v101, v42 op_sel:[0,1,0]
	v_pk_fma_f16 v49, v97, v100, v49 op_sel_hi:[1,0,1]
	v_pk_fma_f16 v44, v97, v100, v44 op_sel:[0,1,0]
	v_pk_fma_f16 v104, v97, v101, v94 op_sel_hi:[1,0,1]
	v_pk_fma_f16 v41, v97, v101, v41 op_sel:[0,1,0]
	ds_load_2addr_b64 v[94:97], v48 offset0:64 offset1:96
	ds_load_b128 v[98:101], v67 offset:208
	s_waitcnt lgkmcnt(0)
	v_pk_fma_f16 v45, v94, v98, v45 op_sel_hi:[1,0,1]
	v_pk_fma_f16 v102, v94, v98, v102 op_sel:[0,1,0]
	v_pk_fma_f16 v103, v94, v99, v103 op_sel_hi:[1,0,1]
	v_pk_fma_f16 v42, v94, v99, v42 op_sel:[0,1,0]
	v_pk_fma_f16 v49, v95, v98, v49 op_sel_hi:[1,0,1]
	v_pk_fma_f16 v44, v95, v98, v44 op_sel:[0,1,0]
	v_pk_fma_f16 v94, v95, v99, v104 op_sel_hi:[1,0,1]
	v_pk_fma_f16 v41, v95, v99, v41 op_sel:[0,1,0]
	v_pk_fma_f16 v45, v96, v100, v45 op_sel_hi:[1,0,1]
	v_pk_fma_f16 v102, v96, v100, v102 op_sel:[0,1,0]
	v_pk_fma_f16 v103, v96, v101, v103 op_sel_hi:[1,0,1]
	v_pk_fma_f16 v42, v96, v101, v42 op_sel:[0,1,0]
	v_pk_fma_f16 v49, v97, v100, v49 op_sel_hi:[1,0,1]
	v_pk_fma_f16 v44, v97, v100, v44 op_sel:[0,1,0]
	v_pk_fma_f16 v104, v97, v101, v94 op_sel_hi:[1,0,1]
	v_pk_fma_f16 v41, v97, v101, v41 op_sel:[0,1,0]
	ds_load_2addr_b64 v[94:97], v48 offset0:128 offset1:160
	ds_load_b128 v[98:101], v67 offset:224
	s_waitcnt lgkmcnt(0)
	v_pk_fma_f16 v45, v94, v98, v45 op_sel_hi:[1,0,1]
	v_pk_fma_f16 v102, v94, v98, v102 op_sel:[0,1,0]
	v_pk_fma_f16 v103, v94, v99, v103 op_sel_hi:[1,0,1]
	v_pk_fma_f16 v42, v94, v99, v42 op_sel:[0,1,0]
	v_pk_fma_f16 v49, v95, v98, v49 op_sel_hi:[1,0,1]
	v_pk_fma_f16 v44, v95, v98, v44 op_sel:[0,1,0]
	v_pk_fma_f16 v94, v95, v99, v104 op_sel_hi:[1,0,1]
	v_pk_fma_f16 v41, v95, v99, v41 op_sel:[0,1,0]
	v_pk_fma_f16 v45, v96, v100, v45 op_sel_hi:[1,0,1]
	v_pk_fma_f16 v102, v96, v100, v102 op_sel:[0,1,0]
	v_pk_fma_f16 v103, v96, v101, v103 op_sel_hi:[1,0,1]
	v_pk_fma_f16 v42, v96, v101, v42 op_sel:[0,1,0]
	v_pk_fma_f16 v49, v97, v100, v49 op_sel_hi:[1,0,1]
	v_pk_fma_f16 v44, v97, v100, v44 op_sel:[0,1,0]
	v_pk_fma_f16 v104, v97, v101, v94 op_sel_hi:[1,0,1]
	v_pk_fma_f16 v41, v97, v101, v41 op_sel:[0,1,0]
	ds_load_2addr_b64 v[94:97], v48 offset0:192 offset1:224
	ds_load_b128 v[98:101], v67 offset:240
	s_waitcnt lgkmcnt(0)
	v_pk_fma_f16 v45, v94, v98, v45 op_sel_hi:[1,0,1]
	v_pk_fma_f16 v102, v94, v98, v102 op_sel:[0,1,0]
	v_pk_fma_f16 v103, v94, v99, v103 op_sel_hi:[1,0,1]
	v_pk_fma_f16 v42, v94, v99, v42 op_sel:[0,1,0]
	;; [unrolled: 2-line block ×4, first 2 shown]
	v_pk_fma_f16 v104, v96, v100, v45 op_sel_hi:[1,0,1]
	v_add_nc_u32_e32 v45, 0x2000, v37
	v_pk_fma_f16 v102, v96, v100, v102 op_sel:[0,1,0]
	v_pk_fma_f16 v103, v96, v101, v103 op_sel_hi:[1,0,1]
	v_pk_fma_f16 v42, v96, v101, v42 op_sel:[0,1,0]
	v_pk_fma_f16 v49, v97, v100, v49 op_sel_hi:[1,0,1]
	;; [unrolled: 2-line block ×3, first 2 shown]
	v_pk_fma_f16 v41, v97, v101, v41 op_sel:[0,1,0]
	ds_load_2addr_b64 v[94:97], v45 offset1:32
	ds_load_b128 v[98:101], v67 offset:256
	s_waitcnt lgkmcnt(0)
	v_pk_fma_f16 v104, v94, v98, v104 op_sel_hi:[1,0,1]
	v_pk_fma_f16 v102, v94, v98, v102 op_sel:[0,1,0]
	v_pk_fma_f16 v103, v94, v99, v103 op_sel_hi:[1,0,1]
	v_pk_fma_f16 v42, v94, v99, v42 op_sel:[0,1,0]
	v_pk_fma_f16 v49, v95, v98, v49 op_sel_hi:[1,0,1]
	v_pk_fma_f16 v44, v95, v98, v44 op_sel:[0,1,0]
	v_pk_fma_f16 v94, v95, v99, v105 op_sel_hi:[1,0,1]
	v_pk_fma_f16 v41, v95, v99, v41 op_sel:[0,1,0]
	v_pk_fma_f16 v104, v96, v100, v104 op_sel_hi:[1,0,1]
	v_pk_fma_f16 v102, v96, v100, v102 op_sel:[0,1,0]
	v_pk_fma_f16 v103, v96, v101, v103 op_sel_hi:[1,0,1]
	v_pk_fma_f16 v42, v96, v101, v42 op_sel:[0,1,0]
	v_pk_fma_f16 v49, v97, v100, v49 op_sel_hi:[1,0,1]
	v_pk_fma_f16 v44, v97, v100, v44 op_sel:[0,1,0]
	v_pk_fma_f16 v105, v97, v101, v94 op_sel_hi:[1,0,1]
	v_pk_fma_f16 v41, v97, v101, v41 op_sel:[0,1,0]
	ds_load_2addr_b64 v[94:97], v45 offset0:64 offset1:96
	ds_load_b128 v[98:101], v67 offset:272
	s_waitcnt lgkmcnt(0)
	v_pk_fma_f16 v104, v94, v98, v104 op_sel_hi:[1,0,1]
	v_pk_fma_f16 v102, v94, v98, v102 op_sel:[0,1,0]
	v_pk_fma_f16 v103, v94, v99, v103 op_sel_hi:[1,0,1]
	v_pk_fma_f16 v42, v94, v99, v42 op_sel:[0,1,0]
	v_pk_fma_f16 v49, v95, v98, v49 op_sel_hi:[1,0,1]
	v_pk_fma_f16 v44, v95, v98, v44 op_sel:[0,1,0]
	v_pk_fma_f16 v94, v95, v99, v105 op_sel_hi:[1,0,1]
	v_pk_fma_f16 v41, v95, v99, v41 op_sel:[0,1,0]
	v_pk_fma_f16 v104, v96, v100, v104 op_sel_hi:[1,0,1]
	v_pk_fma_f16 v102, v96, v100, v102 op_sel:[0,1,0]
	v_pk_fma_f16 v103, v96, v101, v103 op_sel_hi:[1,0,1]
	v_pk_fma_f16 v42, v96, v101, v42 op_sel:[0,1,0]
	v_pk_fma_f16 v49, v97, v100, v49 op_sel_hi:[1,0,1]
	v_pk_fma_f16 v44, v97, v100, v44 op_sel:[0,1,0]
	v_pk_fma_f16 v105, v97, v101, v94 op_sel_hi:[1,0,1]
	v_pk_fma_f16 v41, v97, v101, v41 op_sel:[0,1,0]
	ds_load_2addr_b64 v[94:97], v45 offset0:128 offset1:160
	;; [unrolled: 19-line block ×3, first 2 shown]
	ds_load_b128 v[98:101], v67 offset:304
	s_waitcnt lgkmcnt(0)
	v_pk_fma_f16 v44, v95, v98, v44 op_sel:[0,1,0]
	v_pk_fma_f16 v104, v94, v98, v104 op_sel_hi:[1,0,1]
	v_pk_fma_f16 v102, v94, v98, v102 op_sel:[0,1,0]
	v_pk_fma_f16 v103, v94, v99, v103 op_sel_hi:[1,0,1]
	;; [unrolled: 2-line block ×3, first 2 shown]
	v_pk_fma_f16 v94, v95, v99, v105 op_sel_hi:[1,0,1]
	v_pk_fma_f16 v41, v95, v99, v41 op_sel:[0,1,0]
	v_pk_fma_f16 v105, v97, v100, v44 op_sel:[0,1,0]
	v_add_nc_u32_e32 v44, 0x2800, v37
	v_pk_fma_f16 v104, v96, v100, v104 op_sel_hi:[1,0,1]
	v_pk_fma_f16 v102, v96, v100, v102 op_sel:[0,1,0]
	v_pk_fma_f16 v103, v96, v101, v103 op_sel_hi:[1,0,1]
	v_pk_fma_f16 v42, v96, v101, v42 op_sel:[0,1,0]
	v_pk_fma_f16 v49, v97, v100, v49 op_sel_hi:[1,0,1]
	v_pk_fma_f16 v106, v97, v101, v94 op_sel_hi:[1,0,1]
	v_pk_fma_f16 v41, v97, v101, v41 op_sel:[0,1,0]
	ds_load_2addr_b64 v[94:97], v44 offset1:32
	ds_load_b128 v[98:101], v67 offset:320
	s_waitcnt lgkmcnt(0)
	v_pk_fma_f16 v104, v94, v98, v104 op_sel_hi:[1,0,1]
	v_pk_fma_f16 v102, v94, v98, v102 op_sel:[0,1,0]
	v_pk_fma_f16 v103, v94, v99, v103 op_sel_hi:[1,0,1]
	v_pk_fma_f16 v42, v94, v99, v42 op_sel:[0,1,0]
	v_pk_fma_f16 v49, v95, v98, v49 op_sel_hi:[1,0,1]
	v_pk_fma_f16 v94, v95, v98, v105 op_sel:[0,1,0]
	v_pk_fma_f16 v98, v95, v99, v106 op_sel_hi:[1,0,1]
	v_pk_fma_f16 v41, v95, v99, v41 op_sel:[0,1,0]
	v_pk_fma_f16 v104, v96, v100, v104 op_sel_hi:[1,0,1]
	v_pk_fma_f16 v102, v96, v100, v102 op_sel:[0,1,0]
	v_pk_fma_f16 v103, v96, v101, v103 op_sel_hi:[1,0,1]
	v_pk_fma_f16 v42, v96, v101, v42 op_sel:[0,1,0]
	v_pk_fma_f16 v49, v97, v100, v49 op_sel_hi:[1,0,1]
	v_pk_fma_f16 v105, v97, v100, v94 op_sel:[0,1,0]
	v_pk_fma_f16 v106, v97, v101, v98 op_sel_hi:[1,0,1]
	v_pk_fma_f16 v41, v97, v101, v41 op_sel:[0,1,0]
	ds_load_2addr_b64 v[94:97], v44 offset0:64 offset1:96
	ds_load_b128 v[98:101], v67 offset:336
	s_waitcnt lgkmcnt(0)
	v_pk_fma_f16 v104, v94, v98, v104 op_sel_hi:[1,0,1]
	v_pk_fma_f16 v102, v94, v98, v102 op_sel:[0,1,0]
	v_pk_fma_f16 v103, v94, v99, v103 op_sel_hi:[1,0,1]
	v_pk_fma_f16 v42, v94, v99, v42 op_sel:[0,1,0]
	v_pk_fma_f16 v49, v95, v98, v49 op_sel_hi:[1,0,1]
	v_pk_fma_f16 v94, v95, v98, v105 op_sel:[0,1,0]
	v_pk_fma_f16 v98, v95, v99, v106 op_sel_hi:[1,0,1]
	v_pk_fma_f16 v41, v95, v99, v41 op_sel:[0,1,0]
	v_pk_fma_f16 v104, v96, v100, v104 op_sel_hi:[1,0,1]
	v_pk_fma_f16 v102, v96, v100, v102 op_sel:[0,1,0]
	v_pk_fma_f16 v103, v96, v101, v103 op_sel_hi:[1,0,1]
	v_pk_fma_f16 v42, v96, v101, v42 op_sel:[0,1,0]
	v_pk_fma_f16 v49, v97, v100, v49 op_sel_hi:[1,0,1]
	v_pk_fma_f16 v105, v97, v100, v94 op_sel:[0,1,0]
	v_pk_fma_f16 v106, v97, v101, v98 op_sel_hi:[1,0,1]
	v_pk_fma_f16 v41, v97, v101, v41 op_sel:[0,1,0]
	ds_load_2addr_b64 v[94:97], v44 offset0:128 offset1:160
	;; [unrolled: 19-line block ×3, first 2 shown]
	ds_load_b128 v[98:101], v67 offset:368
	s_waitcnt lgkmcnt(0)
	v_pk_fma_f16 v42, v94, v99, v42 op_sel:[0,1,0]
	v_pk_fma_f16 v104, v94, v98, v104 op_sel_hi:[1,0,1]
	v_pk_fma_f16 v102, v94, v98, v102 op_sel:[0,1,0]
	v_pk_fma_f16 v103, v94, v99, v103 op_sel_hi:[1,0,1]
	v_pk_fma_f16 v49, v95, v98, v49 op_sel_hi:[1,0,1]
	v_pk_fma_f16 v94, v95, v98, v105 op_sel:[0,1,0]
	v_pk_fma_f16 v98, v95, v99, v106 op_sel_hi:[1,0,1]
	v_pk_fma_f16 v41, v95, v99, v41 op_sel:[0,1,0]
	v_pk_fma_f16 v105, v96, v101, v42 op_sel:[0,1,0]
	v_add_nc_u32_e32 v42, 0x3000, v37
	v_pk_fma_f16 v104, v96, v100, v104 op_sel_hi:[1,0,1]
	v_pk_fma_f16 v102, v96, v100, v102 op_sel:[0,1,0]
	v_pk_fma_f16 v103, v96, v101, v103 op_sel_hi:[1,0,1]
	v_pk_fma_f16 v49, v97, v100, v49 op_sel_hi:[1,0,1]
	v_pk_fma_f16 v106, v97, v100, v94 op_sel:[0,1,0]
	v_pk_fma_f16 v107, v97, v101, v98 op_sel_hi:[1,0,1]
	v_pk_fma_f16 v41, v97, v101, v41 op_sel:[0,1,0]
	ds_load_2addr_b64 v[94:97], v42 offset1:32
	ds_load_b128 v[98:101], v67 offset:384
	s_waitcnt lgkmcnt(0)
	v_pk_fma_f16 v104, v94, v98, v104 op_sel_hi:[1,0,1]
	v_pk_fma_f16 v102, v94, v98, v102 op_sel:[0,1,0]
	v_pk_fma_f16 v103, v94, v99, v103 op_sel_hi:[1,0,1]
	v_pk_fma_f16 v94, v94, v99, v105 op_sel:[0,1,0]
	v_pk_fma_f16 v49, v95, v98, v49 op_sel_hi:[1,0,1]
	v_pk_fma_f16 v98, v95, v98, v106 op_sel:[0,1,0]
	v_pk_fma_f16 v105, v95, v99, v107 op_sel_hi:[1,0,1]
	v_pk_fma_f16 v41, v95, v99, v41 op_sel:[0,1,0]
	v_pk_fma_f16 v104, v96, v100, v104 op_sel_hi:[1,0,1]
	v_pk_fma_f16 v102, v96, v100, v102 op_sel:[0,1,0]
	v_pk_fma_f16 v103, v96, v101, v103 op_sel_hi:[1,0,1]
	v_pk_fma_f16 v106, v96, v101, v94 op_sel:[0,1,0]
	v_pk_fma_f16 v49, v97, v100, v49 op_sel_hi:[1,0,1]
	v_pk_fma_f16 v107, v97, v100, v98 op_sel:[0,1,0]
	v_pk_fma_f16 v105, v97, v101, v105 op_sel_hi:[1,0,1]
	v_pk_fma_f16 v41, v97, v101, v41 op_sel:[0,1,0]
	ds_load_2addr_b64 v[94:97], v42 offset0:64 offset1:96
	ds_load_b128 v[98:101], v67 offset:400
	s_waitcnt lgkmcnt(0)
	v_pk_fma_f16 v104, v94, v98, v104 op_sel_hi:[1,0,1]
	v_pk_fma_f16 v102, v94, v98, v102 op_sel:[0,1,0]
	v_pk_fma_f16 v103, v94, v99, v103 op_sel_hi:[1,0,1]
	v_pk_fma_f16 v94, v94, v99, v106 op_sel:[0,1,0]
	v_pk_fma_f16 v49, v95, v98, v49 op_sel_hi:[1,0,1]
	v_pk_fma_f16 v98, v95, v98, v107 op_sel:[0,1,0]
	v_pk_fma_f16 v105, v95, v99, v105 op_sel_hi:[1,0,1]
	v_pk_fma_f16 v41, v95, v99, v41 op_sel:[0,1,0]
	v_pk_fma_f16 v104, v96, v100, v104 op_sel_hi:[1,0,1]
	v_pk_fma_f16 v102, v96, v100, v102 op_sel:[0,1,0]
	v_pk_fma_f16 v103, v96, v101, v103 op_sel_hi:[1,0,1]
	v_pk_fma_f16 v106, v96, v101, v94 op_sel:[0,1,0]
	v_pk_fma_f16 v49, v97, v100, v49 op_sel_hi:[1,0,1]
	v_pk_fma_f16 v107, v97, v100, v98 op_sel:[0,1,0]
	v_pk_fma_f16 v105, v97, v101, v105 op_sel_hi:[1,0,1]
	v_pk_fma_f16 v41, v97, v101, v41 op_sel:[0,1,0]
	ds_load_2addr_b64 v[94:97], v42 offset0:128 offset1:160
	;; [unrolled: 19-line block ×3, first 2 shown]
	ds_load_b128 v[98:101], v67 offset:432
	s_waitcnt lgkmcnt(0)
	v_pk_fma_f16 v41, v95, v99, v41 op_sel:[0,1,0]
	v_pk_fma_f16 v104, v94, v98, v104 op_sel_hi:[1,0,1]
	v_pk_fma_f16 v102, v94, v98, v102 op_sel:[0,1,0]
	v_pk_fma_f16 v103, v94, v99, v103 op_sel_hi:[1,0,1]
	;; [unrolled: 2-line block ×4, first 2 shown]
	v_pk_fma_f16 v108, v97, v101, v41 op_sel:[0,1,0]
	v_add_nc_u32_e32 v41, 0x3800, v37
	v_pk_fma_f16 v104, v96, v100, v104 op_sel_hi:[1,0,1]
	v_pk_fma_f16 v102, v96, v100, v102 op_sel:[0,1,0]
	v_pk_fma_f16 v103, v96, v101, v103 op_sel_hi:[1,0,1]
	v_pk_fma_f16 v106, v96, v101, v94 op_sel:[0,1,0]
	;; [unrolled: 2-line block ×3, first 2 shown]
	v_pk_fma_f16 v105, v97, v101, v105 op_sel_hi:[1,0,1]
	ds_load_2addr_b64 v[94:97], v41 offset1:32
	ds_load_b128 v[98:101], v67 offset:448
	s_waitcnt lgkmcnt(0)
	v_pk_fma_f16 v104, v94, v98, v104 op_sel_hi:[1,0,1]
	v_pk_fma_f16 v102, v94, v98, v102 op_sel:[0,1,0]
	v_pk_fma_f16 v103, v94, v99, v103 op_sel_hi:[1,0,1]
	v_pk_fma_f16 v94, v94, v99, v106 op_sel:[0,1,0]
	v_pk_fma_f16 v49, v95, v98, v49 op_sel_hi:[1,0,1]
	v_pk_fma_f16 v98, v95, v98, v107 op_sel:[0,1,0]
	v_pk_fma_f16 v105, v95, v99, v105 op_sel_hi:[1,0,1]
	v_pk_fma_f16 v95, v95, v99, v108 op_sel:[0,1,0]
	v_pk_fma_f16 v104, v96, v100, v104 op_sel_hi:[1,0,1]
	v_pk_fma_f16 v102, v96, v100, v102 op_sel:[0,1,0]
	v_pk_fma_f16 v103, v96, v101, v103 op_sel_hi:[1,0,1]
	v_pk_fma_f16 v106, v96, v101, v94 op_sel:[0,1,0]
	v_pk_fma_f16 v49, v97, v100, v49 op_sel_hi:[1,0,1]
	v_pk_fma_f16 v107, v97, v100, v98 op_sel:[0,1,0]
	v_pk_fma_f16 v105, v97, v101, v105 op_sel_hi:[1,0,1]
	v_pk_fma_f16 v108, v97, v101, v95 op_sel:[0,1,0]
	ds_load_2addr_b64 v[94:97], v41 offset0:64 offset1:96
	ds_load_b128 v[98:101], v67 offset:464
	s_waitcnt lgkmcnt(0)
	v_pk_fma_f16 v104, v94, v98, v104 op_sel_hi:[1,0,1]
	v_pk_fma_f16 v102, v94, v98, v102 op_sel:[0,1,0]
	v_pk_fma_f16 v103, v94, v99, v103 op_sel_hi:[1,0,1]
	v_pk_fma_f16 v94, v94, v99, v106 op_sel:[0,1,0]
	v_pk_fma_f16 v49, v95, v98, v49 op_sel_hi:[1,0,1]
	v_pk_fma_f16 v98, v95, v98, v107 op_sel:[0,1,0]
	v_pk_fma_f16 v105, v95, v99, v105 op_sel_hi:[1,0,1]
	v_pk_fma_f16 v95, v95, v99, v108 op_sel:[0,1,0]
	v_pk_fma_f16 v104, v96, v100, v104 op_sel_hi:[1,0,1]
	v_pk_fma_f16 v102, v96, v100, v102 op_sel:[0,1,0]
	v_pk_fma_f16 v103, v96, v101, v103 op_sel_hi:[1,0,1]
	v_pk_fma_f16 v106, v96, v101, v94 op_sel:[0,1,0]
	v_pk_fma_f16 v49, v97, v100, v49 op_sel_hi:[1,0,1]
	v_pk_fma_f16 v107, v97, v100, v98 op_sel:[0,1,0]
	v_pk_fma_f16 v105, v97, v101, v105 op_sel_hi:[1,0,1]
	v_pk_fma_f16 v108, v97, v101, v95 op_sel:[0,1,0]
	ds_load_2addr_b64 v[94:97], v41 offset0:128 offset1:160
	;; [unrolled: 19-line block ×3, first 2 shown]
	ds_load_b128 v[98:101], v67 offset:496
	s_waitcnt lgkmcnt(0)
	s_barrier
	buffer_gl0_inv
	v_pk_fma_f16 v104, v94, v98, v104 op_sel_hi:[1,0,1]
	v_pk_fma_f16 v102, v94, v98, v102 op_sel:[0,1,0]
	v_pk_fma_f16 v103, v94, v99, v103 op_sel_hi:[1,0,1]
	v_pk_fma_f16 v94, v94, v99, v106 op_sel:[0,1,0]
	;; [unrolled: 2-line block ×4, first 2 shown]
	v_pk_fma_f16 v106, v96, v101, v94 op_sel:[0,1,0]
	v_add_co_u32 v94, vcc_lo, s4, v13
	v_pk_fma_f16 v104, v96, v100, v104 op_sel_hi:[1,0,1]
	s_delay_alu instid0(VALU_DEP_4) | instskip(SKIP_1) | instid1(VALU_DEP_4)
	v_pk_fma_f16 v108, v97, v101, v95 op_sel:[0,1,0]
	v_add_co_ci_u32_e32 v95, vcc_lo, s5, v14, vcc_lo
	v_add_co_u32 v94, vcc_lo, v94, v72
	v_pk_fma_f16 v102, v96, v100, v102 op_sel:[0,1,0]
	s_delay_alu instid0(VALU_DEP_3)
	v_add_co_ci_u32_e32 v95, vcc_lo, 0, v95, vcc_lo
	v_pk_fma_f16 v103, v96, v101, v103 op_sel_hi:[1,0,1]
	v_pk_fma_f16 v49, v97, v100, v49 op_sel_hi:[1,0,1]
	v_pk_fma_f16 v107, v97, v100, v98 op_sel:[0,1,0]
	v_pk_fma_f16 v105, v97, v101, v105 op_sel_hi:[1,0,1]
	global_load_b128 v[94:97], v[94:95], off
	s_waitcnt vmcnt(0)
	ds_store_b128 v65, v[94:97]
	v_add_co_u32 v94, vcc_lo, s4, v15
	v_add_co_ci_u32_e32 v95, vcc_lo, s5, v16, vcc_lo
	s_delay_alu instid0(VALU_DEP_2) | instskip(NEXT) | instid1(VALU_DEP_2)
	v_add_co_u32 v94, vcc_lo, v94, v72
	v_add_co_ci_u32_e32 v95, vcc_lo, 0, v95, vcc_lo
	global_load_b128 v[94:97], v[94:95], off
	s_waitcnt vmcnt(0)
	ds_store_b128 v68, v[94:97]
	v_add_co_u32 v94, vcc_lo, s4, v17
	v_add_co_ci_u32_e32 v95, vcc_lo, s5, v18, vcc_lo
	s_delay_alu instid0(VALU_DEP_2) | instskip(NEXT) | instid1(VALU_DEP_2)
	v_add_co_u32 v94, vcc_lo, v94, v72
	v_add_co_ci_u32_e32 v95, vcc_lo, 0, v95, vcc_lo
	;; [unrolled: 8-line block ×3, first 2 shown]
	global_load_b128 v[94:97], v[94:95], off
	s_waitcnt vmcnt(0)
	ds_store_b128 v70, v[94:97]
	s_waitcnt lgkmcnt(0)
	s_barrier
	buffer_gl0_inv
	ds_load_2addr_b64 v[94:97], v37 offset1:32
	ds_load_b128 v[98:101], v67 offset:512
	s_waitcnt lgkmcnt(0)
	v_pk_fma_f16 v104, v94, v98, v104 op_sel_hi:[1,0,1]
	v_pk_fma_f16 v102, v94, v98, v102 op_sel:[0,1,0]
	v_pk_fma_f16 v103, v94, v99, v103 op_sel_hi:[1,0,1]
	v_pk_fma_f16 v94, v94, v99, v106 op_sel:[0,1,0]
	v_pk_fma_f16 v49, v95, v98, v49 op_sel_hi:[1,0,1]
	v_pk_fma_f16 v98, v95, v98, v107 op_sel:[0,1,0]
	v_pk_fma_f16 v105, v95, v99, v105 op_sel_hi:[1,0,1]
	v_pk_fma_f16 v95, v95, v99, v108 op_sel:[0,1,0]
	v_pk_fma_f16 v104, v96, v100, v104 op_sel_hi:[1,0,1]
	v_pk_fma_f16 v102, v96, v100, v102 op_sel:[0,1,0]
	v_pk_fma_f16 v103, v96, v101, v103 op_sel_hi:[1,0,1]
	v_pk_fma_f16 v106, v96, v101, v94 op_sel:[0,1,0]
	v_pk_fma_f16 v49, v97, v100, v49 op_sel_hi:[1,0,1]
	v_pk_fma_f16 v107, v97, v100, v98 op_sel:[0,1,0]
	v_pk_fma_f16 v105, v97, v101, v105 op_sel_hi:[1,0,1]
	v_pk_fma_f16 v108, v97, v101, v95 op_sel:[0,1,0]
	ds_load_b128 v[94:97], v67 offset:528
	ds_load_2addr_b64 v[98:101], v37 offset0:64 offset1:96
	s_waitcnt lgkmcnt(0)
	v_pk_fma_f16 v104, v98, v94, v104 op_sel_hi:[1,0,1]
	v_pk_fma_f16 v102, v98, v94, v102 op_sel:[0,1,0]
	v_pk_fma_f16 v103, v98, v95, v103 op_sel_hi:[1,0,1]
	v_pk_fma_f16 v98, v98, v95, v106 op_sel:[0,1,0]
	v_pk_fma_f16 v49, v99, v94, v49 op_sel_hi:[1,0,1]
	v_pk_fma_f16 v94, v99, v94, v107 op_sel:[0,1,0]
	v_pk_fma_f16 v105, v99, v95, v105 op_sel_hi:[1,0,1]
	v_pk_fma_f16 v95, v99, v95, v108 op_sel:[0,1,0]
	v_pk_fma_f16 v104, v100, v96, v104 op_sel_hi:[1,0,1]
	v_pk_fma_f16 v102, v100, v96, v102 op_sel:[0,1,0]
	v_pk_fma_f16 v103, v100, v97, v103 op_sel_hi:[1,0,1]
	v_pk_fma_f16 v106, v100, v97, v98 op_sel:[0,1,0]
	v_pk_fma_f16 v49, v101, v96, v49 op_sel_hi:[1,0,1]
	v_pk_fma_f16 v107, v101, v96, v94 op_sel:[0,1,0]
	v_pk_fma_f16 v105, v101, v97, v105 op_sel_hi:[1,0,1]
	v_pk_fma_f16 v108, v101, v97, v95 op_sel:[0,1,0]
	ds_load_b128 v[94:97], v67 offset:544
	ds_load_2addr_b64 v[98:101], v37 offset0:128 offset1:160
	;; [unrolled: 19-line block ×3, first 2 shown]
	s_waitcnt lgkmcnt(0)
	v_pk_fma_f16 v104, v98, v94, v104 op_sel_hi:[1,0,1]
	v_pk_fma_f16 v102, v98, v94, v102 op_sel:[0,1,0]
	v_pk_fma_f16 v103, v98, v95, v103 op_sel_hi:[1,0,1]
	v_pk_fma_f16 v98, v98, v95, v106 op_sel:[0,1,0]
	;; [unrolled: 2-line block ×8, first 2 shown]
	ds_load_2addr_b64 v[94:97], v46 offset1:32
	ds_load_b128 v[98:101], v67 offset:576
	s_waitcnt lgkmcnt(0)
	v_pk_fma_f16 v104, v94, v98, v104 op_sel_hi:[1,0,1]
	v_pk_fma_f16 v102, v94, v98, v102 op_sel:[0,1,0]
	v_pk_fma_f16 v103, v94, v99, v103 op_sel_hi:[1,0,1]
	v_pk_fma_f16 v94, v94, v99, v106 op_sel:[0,1,0]
	v_pk_fma_f16 v49, v95, v98, v49 op_sel_hi:[1,0,1]
	v_pk_fma_f16 v98, v95, v98, v107 op_sel:[0,1,0]
	v_pk_fma_f16 v105, v95, v99, v105 op_sel_hi:[1,0,1]
	v_pk_fma_f16 v95, v95, v99, v108 op_sel:[0,1,0]
	v_pk_fma_f16 v104, v96, v100, v104 op_sel_hi:[1,0,1]
	v_pk_fma_f16 v102, v96, v100, v102 op_sel:[0,1,0]
	v_pk_fma_f16 v103, v96, v101, v103 op_sel_hi:[1,0,1]
	v_pk_fma_f16 v106, v96, v101, v94 op_sel:[0,1,0]
	v_pk_fma_f16 v49, v97, v100, v49 op_sel_hi:[1,0,1]
	v_pk_fma_f16 v107, v97, v100, v98 op_sel:[0,1,0]
	v_pk_fma_f16 v105, v97, v101, v105 op_sel_hi:[1,0,1]
	v_pk_fma_f16 v108, v97, v101, v95 op_sel:[0,1,0]
	ds_load_2addr_b64 v[94:97], v46 offset0:64 offset1:96
	ds_load_b128 v[98:101], v67 offset:592
	s_waitcnt lgkmcnt(0)
	v_pk_fma_f16 v104, v94, v98, v104 op_sel_hi:[1,0,1]
	v_pk_fma_f16 v102, v94, v98, v102 op_sel:[0,1,0]
	v_pk_fma_f16 v103, v94, v99, v103 op_sel_hi:[1,0,1]
	v_pk_fma_f16 v94, v94, v99, v106 op_sel:[0,1,0]
	v_pk_fma_f16 v49, v95, v98, v49 op_sel_hi:[1,0,1]
	v_pk_fma_f16 v98, v95, v98, v107 op_sel:[0,1,0]
	v_pk_fma_f16 v105, v95, v99, v105 op_sel_hi:[1,0,1]
	v_pk_fma_f16 v95, v95, v99, v108 op_sel:[0,1,0]
	v_pk_fma_f16 v104, v96, v100, v104 op_sel_hi:[1,0,1]
	v_pk_fma_f16 v102, v96, v100, v102 op_sel:[0,1,0]
	v_pk_fma_f16 v103, v96, v101, v103 op_sel_hi:[1,0,1]
	v_pk_fma_f16 v106, v96, v101, v94 op_sel:[0,1,0]
	v_pk_fma_f16 v49, v97, v100, v49 op_sel_hi:[1,0,1]
	v_pk_fma_f16 v107, v97, v100, v98 op_sel:[0,1,0]
	v_pk_fma_f16 v105, v97, v101, v105 op_sel_hi:[1,0,1]
	v_pk_fma_f16 v108, v97, v101, v95 op_sel:[0,1,0]
	ds_load_2addr_b64 v[94:97], v46 offset0:128 offset1:160
	;; [unrolled: 19-line block ×3, first 2 shown]
	ds_load_b128 v[98:101], v67 offset:624
	s_waitcnt lgkmcnt(0)
	v_pk_fma_f16 v46, v94, v98, v104 op_sel_hi:[1,0,1]
	v_pk_fma_f16 v102, v94, v98, v102 op_sel:[0,1,0]
	v_pk_fma_f16 v103, v94, v99, v103 op_sel_hi:[1,0,1]
	v_pk_fma_f16 v94, v94, v99, v106 op_sel:[0,1,0]
	;; [unrolled: 2-line block ×8, first 2 shown]
	ds_load_2addr_b64 v[94:97], v47 offset1:32
	ds_load_b128 v[98:101], v67 offset:640
	s_waitcnt lgkmcnt(0)
	v_pk_fma_f16 v46, v94, v98, v46 op_sel_hi:[1,0,1]
	v_pk_fma_f16 v102, v94, v98, v102 op_sel:[0,1,0]
	v_pk_fma_f16 v103, v94, v99, v103 op_sel_hi:[1,0,1]
	v_pk_fma_f16 v94, v94, v99, v105 op_sel:[0,1,0]
	v_pk_fma_f16 v49, v95, v98, v49 op_sel_hi:[1,0,1]
	v_pk_fma_f16 v98, v95, v98, v106 op_sel:[0,1,0]
	v_pk_fma_f16 v104, v95, v99, v104 op_sel_hi:[1,0,1]
	v_pk_fma_f16 v95, v95, v99, v107 op_sel:[0,1,0]
	v_pk_fma_f16 v46, v96, v100, v46 op_sel_hi:[1,0,1]
	v_pk_fma_f16 v102, v96, v100, v102 op_sel:[0,1,0]
	v_pk_fma_f16 v103, v96, v101, v103 op_sel_hi:[1,0,1]
	v_pk_fma_f16 v105, v96, v101, v94 op_sel:[0,1,0]
	v_pk_fma_f16 v49, v97, v100, v49 op_sel_hi:[1,0,1]
	v_pk_fma_f16 v106, v97, v100, v98 op_sel:[0,1,0]
	v_pk_fma_f16 v104, v97, v101, v104 op_sel_hi:[1,0,1]
	v_pk_fma_f16 v107, v97, v101, v95 op_sel:[0,1,0]
	ds_load_2addr_b64 v[94:97], v47 offset0:64 offset1:96
	ds_load_b128 v[98:101], v67 offset:656
	s_waitcnt lgkmcnt(0)
	v_pk_fma_f16 v46, v94, v98, v46 op_sel_hi:[1,0,1]
	v_pk_fma_f16 v102, v94, v98, v102 op_sel:[0,1,0]
	v_pk_fma_f16 v103, v94, v99, v103 op_sel_hi:[1,0,1]
	v_pk_fma_f16 v94, v94, v99, v105 op_sel:[0,1,0]
	v_pk_fma_f16 v49, v95, v98, v49 op_sel_hi:[1,0,1]
	v_pk_fma_f16 v98, v95, v98, v106 op_sel:[0,1,0]
	v_pk_fma_f16 v104, v95, v99, v104 op_sel_hi:[1,0,1]
	v_pk_fma_f16 v95, v95, v99, v107 op_sel:[0,1,0]
	v_pk_fma_f16 v46, v96, v100, v46 op_sel_hi:[1,0,1]
	v_pk_fma_f16 v102, v96, v100, v102 op_sel:[0,1,0]
	v_pk_fma_f16 v103, v96, v101, v103 op_sel_hi:[1,0,1]
	v_pk_fma_f16 v105, v96, v101, v94 op_sel:[0,1,0]
	v_pk_fma_f16 v49, v97, v100, v49 op_sel_hi:[1,0,1]
	v_pk_fma_f16 v106, v97, v100, v98 op_sel:[0,1,0]
	v_pk_fma_f16 v104, v97, v101, v104 op_sel_hi:[1,0,1]
	v_pk_fma_f16 v107, v97, v101, v95 op_sel:[0,1,0]
	ds_load_2addr_b64 v[94:97], v47 offset0:128 offset1:160
	;; [unrolled: 19-line block ×3, first 2 shown]
	ds_load_b128 v[98:101], v67 offset:688
	s_waitcnt lgkmcnt(0)
	v_pk_fma_f16 v46, v94, v98, v46 op_sel_hi:[1,0,1]
	v_pk_fma_f16 v47, v94, v98, v102 op_sel:[0,1,0]
	v_pk_fma_f16 v102, v94, v99, v103 op_sel_hi:[1,0,1]
	v_pk_fma_f16 v94, v94, v99, v105 op_sel:[0,1,0]
	;; [unrolled: 2-line block ×8, first 2 shown]
	ds_load_2addr_b64 v[94:97], v48 offset1:32
	ds_load_b128 v[98:101], v67 offset:704
	s_waitcnt lgkmcnt(0)
	v_pk_fma_f16 v46, v94, v98, v46 op_sel_hi:[1,0,1]
	v_pk_fma_f16 v47, v94, v98, v47 op_sel:[0,1,0]
	v_pk_fma_f16 v102, v94, v99, v102 op_sel_hi:[1,0,1]
	v_pk_fma_f16 v94, v94, v99, v104 op_sel:[0,1,0]
	v_pk_fma_f16 v49, v95, v98, v49 op_sel_hi:[1,0,1]
	v_pk_fma_f16 v98, v95, v98, v105 op_sel:[0,1,0]
	v_pk_fma_f16 v103, v95, v99, v103 op_sel_hi:[1,0,1]
	v_pk_fma_f16 v95, v95, v99, v106 op_sel:[0,1,0]
	v_pk_fma_f16 v46, v96, v100, v46 op_sel_hi:[1,0,1]
	v_pk_fma_f16 v47, v96, v100, v47 op_sel:[0,1,0]
	v_pk_fma_f16 v102, v96, v101, v102 op_sel_hi:[1,0,1]
	v_pk_fma_f16 v104, v96, v101, v94 op_sel:[0,1,0]
	v_pk_fma_f16 v49, v97, v100, v49 op_sel_hi:[1,0,1]
	v_pk_fma_f16 v105, v97, v100, v98 op_sel:[0,1,0]
	v_pk_fma_f16 v103, v97, v101, v103 op_sel_hi:[1,0,1]
	v_pk_fma_f16 v106, v97, v101, v95 op_sel:[0,1,0]
	ds_load_2addr_b64 v[94:97], v48 offset0:64 offset1:96
	ds_load_b128 v[98:101], v67 offset:720
	s_waitcnt lgkmcnt(0)
	v_pk_fma_f16 v46, v94, v98, v46 op_sel_hi:[1,0,1]
	v_pk_fma_f16 v47, v94, v98, v47 op_sel:[0,1,0]
	v_pk_fma_f16 v102, v94, v99, v102 op_sel_hi:[1,0,1]
	v_pk_fma_f16 v94, v94, v99, v104 op_sel:[0,1,0]
	v_pk_fma_f16 v49, v95, v98, v49 op_sel_hi:[1,0,1]
	v_pk_fma_f16 v98, v95, v98, v105 op_sel:[0,1,0]
	v_pk_fma_f16 v103, v95, v99, v103 op_sel_hi:[1,0,1]
	v_pk_fma_f16 v95, v95, v99, v106 op_sel:[0,1,0]
	v_pk_fma_f16 v46, v96, v100, v46 op_sel_hi:[1,0,1]
	v_pk_fma_f16 v47, v96, v100, v47 op_sel:[0,1,0]
	v_pk_fma_f16 v102, v96, v101, v102 op_sel_hi:[1,0,1]
	v_pk_fma_f16 v104, v96, v101, v94 op_sel:[0,1,0]
	v_pk_fma_f16 v49, v97, v100, v49 op_sel_hi:[1,0,1]
	v_pk_fma_f16 v105, v97, v100, v98 op_sel:[0,1,0]
	v_pk_fma_f16 v103, v97, v101, v103 op_sel_hi:[1,0,1]
	v_pk_fma_f16 v106, v97, v101, v95 op_sel:[0,1,0]
	ds_load_2addr_b64 v[94:97], v48 offset0:128 offset1:160
	;; [unrolled: 19-line block ×3, first 2 shown]
	ds_load_b128 v[94:97], v67 offset:752
	s_waitcnt lgkmcnt(0)
	v_pk_fma_f16 v99, v46, v94, v99 op_sel_hi:[1,0,1]
	v_pk_fma_f16 v103, v46, v94, v104 op_sel:[0,1,0]
	v_pk_fma_f16 v102, v46, v95, v102 op_sel_hi:[1,0,1]
	v_pk_fma_f16 v46, v46, v95, v105 op_sel:[0,1,0]
	;; [unrolled: 2-line block ×8, first 2 shown]
	ds_load_2addr_b64 v[46:49], v45 offset1:32
	ds_load_b128 v[94:97], v67 offset:768
	s_waitcnt lgkmcnt(0)
	v_pk_fma_f16 v99, v46, v94, v99 op_sel_hi:[1,0,1]
	v_pk_fma_f16 v100, v46, v94, v100 op_sel:[0,1,0]
	v_pk_fma_f16 v101, v46, v95, v101 op_sel_hi:[1,0,1]
	v_pk_fma_f16 v46, v46, v95, v102 op_sel:[0,1,0]
	v_pk_fma_f16 v102, v47, v94, v103 op_sel_hi:[1,0,1]
	v_pk_fma_f16 v94, v47, v94, v104 op_sel:[0,1,0]
	v_pk_fma_f16 v98, v47, v95, v98 op_sel_hi:[1,0,1]
	v_pk_fma_f16 v47, v47, v95, v105 op_sel:[0,1,0]
	v_pk_fma_f16 v99, v48, v96, v99 op_sel_hi:[1,0,1]
	v_pk_fma_f16 v100, v48, v96, v100 op_sel:[0,1,0]
	v_pk_fma_f16 v101, v48, v97, v101 op_sel_hi:[1,0,1]
	v_pk_fma_f16 v103, v48, v97, v46 op_sel:[0,1,0]
	v_pk_fma_f16 v102, v49, v96, v102 op_sel_hi:[1,0,1]
	v_pk_fma_f16 v104, v49, v96, v94 op_sel:[0,1,0]
	v_pk_fma_f16 v98, v49, v97, v98 op_sel_hi:[1,0,1]
	v_pk_fma_f16 v105, v49, v97, v47 op_sel:[0,1,0]
	ds_load_2addr_b64 v[46:49], v45 offset0:64 offset1:96
	ds_load_b128 v[94:97], v67 offset:784
	s_waitcnt lgkmcnt(0)
	v_pk_fma_f16 v99, v46, v94, v99 op_sel_hi:[1,0,1]
	v_pk_fma_f16 v100, v46, v94, v100 op_sel:[0,1,0]
	v_pk_fma_f16 v101, v46, v95, v101 op_sel_hi:[1,0,1]
	v_pk_fma_f16 v46, v46, v95, v103 op_sel:[0,1,0]
	v_pk_fma_f16 v102, v47, v94, v102 op_sel_hi:[1,0,1]
	v_pk_fma_f16 v94, v47, v94, v104 op_sel:[0,1,0]
	v_pk_fma_f16 v98, v47, v95, v98 op_sel_hi:[1,0,1]
	v_pk_fma_f16 v47, v47, v95, v105 op_sel:[0,1,0]
	v_pk_fma_f16 v99, v48, v96, v99 op_sel_hi:[1,0,1]
	v_pk_fma_f16 v100, v48, v96, v100 op_sel:[0,1,0]
	v_pk_fma_f16 v101, v48, v97, v101 op_sel_hi:[1,0,1]
	v_pk_fma_f16 v103, v48, v97, v46 op_sel:[0,1,0]
	v_pk_fma_f16 v102, v49, v96, v102 op_sel_hi:[1,0,1]
	v_pk_fma_f16 v104, v49, v96, v94 op_sel:[0,1,0]
	v_pk_fma_f16 v98, v49, v97, v98 op_sel_hi:[1,0,1]
	v_pk_fma_f16 v105, v49, v97, v47 op_sel:[0,1,0]
	ds_load_2addr_b64 v[46:49], v45 offset0:128 offset1:160
	ds_load_b128 v[94:97], v67 offset:800
	s_waitcnt lgkmcnt(0)
	v_pk_fma_f16 v99, v46, v94, v99 op_sel_hi:[1,0,1]
	v_pk_fma_f16 v100, v46, v94, v100 op_sel:[0,1,0]
	v_pk_fma_f16 v101, v46, v95, v101 op_sel_hi:[1,0,1]
	v_pk_fma_f16 v46, v46, v95, v103 op_sel:[0,1,0]
	v_pk_fma_f16 v102, v47, v94, v102 op_sel_hi:[1,0,1]
	v_pk_fma_f16 v94, v47, v94, v104 op_sel:[0,1,0]
	v_pk_fma_f16 v98, v47, v95, v98 op_sel_hi:[1,0,1]
	v_pk_fma_f16 v47, v47, v95, v105 op_sel:[0,1,0]
	v_pk_fma_f16 v99, v48, v96, v99 op_sel_hi:[1,0,1]
	v_pk_fma_f16 v100, v48, v96, v100 op_sel:[0,1,0]
	v_pk_fma_f16 v101, v48, v97, v101 op_sel_hi:[1,0,1]
	v_pk_fma_f16 v103, v48, v97, v46 op_sel:[0,1,0]
	v_pk_fma_f16 v102, v49, v96, v102 op_sel_hi:[1,0,1]
	v_pk_fma_f16 v104, v49, v96, v94 op_sel:[0,1,0]
	v_pk_fma_f16 v98, v49, v97, v98 op_sel_hi:[1,0,1]
	v_pk_fma_f16 v49, v49, v97, v47 op_sel:[0,1,0]
	ds_load_2addr_b64 v[45:48], v45 offset0:192 offset1:224
	ds_load_b128 v[94:97], v67 offset:816
	s_waitcnt lgkmcnt(0)
	v_pk_fma_f16 v99, v45, v94, v99 op_sel_hi:[1,0,1]
	v_pk_fma_f16 v100, v45, v94, v100 op_sel:[0,1,0]
	v_pk_fma_f16 v101, v45, v95, v101 op_sel_hi:[1,0,1]
	v_pk_fma_f16 v45, v45, v95, v103 op_sel:[0,1,0]
	;; [unrolled: 2-line block ×8, first 2 shown]
	ds_load_2addr_b64 v[45:48], v44 offset1:32
	ds_load_b128 v[94:97], v67 offset:832
	s_waitcnt lgkmcnt(0)
	v_pk_fma_f16 v49, v45, v94, v49 op_sel_hi:[1,0,1]
	v_pk_fma_f16 v99, v45, v94, v99 op_sel:[0,1,0]
	v_pk_fma_f16 v100, v45, v95, v100 op_sel_hi:[1,0,1]
	v_pk_fma_f16 v45, v45, v95, v101 op_sel:[0,1,0]
	v_pk_fma_f16 v101, v46, v94, v102 op_sel_hi:[1,0,1]
	v_pk_fma_f16 v94, v46, v94, v103 op_sel:[0,1,0]
	v_pk_fma_f16 v98, v46, v95, v98 op_sel_hi:[1,0,1]
	v_pk_fma_f16 v46, v46, v95, v104 op_sel:[0,1,0]
	v_pk_fma_f16 v49, v47, v96, v49 op_sel_hi:[1,0,1]
	v_pk_fma_f16 v99, v47, v96, v99 op_sel:[0,1,0]
	v_pk_fma_f16 v100, v47, v97, v100 op_sel_hi:[1,0,1]
	v_pk_fma_f16 v102, v47, v97, v45 op_sel:[0,1,0]
	v_pk_fma_f16 v101, v48, v96, v101 op_sel_hi:[1,0,1]
	v_pk_fma_f16 v103, v48, v96, v94 op_sel:[0,1,0]
	v_pk_fma_f16 v98, v48, v97, v98 op_sel_hi:[1,0,1]
	v_pk_fma_f16 v104, v48, v97, v46 op_sel:[0,1,0]
	ds_load_2addr_b64 v[45:48], v44 offset0:64 offset1:96
	ds_load_b128 v[94:97], v67 offset:848
	s_waitcnt lgkmcnt(0)
	v_pk_fma_f16 v49, v45, v94, v49 op_sel_hi:[1,0,1]
	v_pk_fma_f16 v99, v45, v94, v99 op_sel:[0,1,0]
	v_pk_fma_f16 v100, v45, v95, v100 op_sel_hi:[1,0,1]
	v_pk_fma_f16 v45, v45, v95, v102 op_sel:[0,1,0]
	v_pk_fma_f16 v101, v46, v94, v101 op_sel_hi:[1,0,1]
	v_pk_fma_f16 v94, v46, v94, v103 op_sel:[0,1,0]
	v_pk_fma_f16 v98, v46, v95, v98 op_sel_hi:[1,0,1]
	v_pk_fma_f16 v46, v46, v95, v104 op_sel:[0,1,0]
	v_pk_fma_f16 v49, v47, v96, v49 op_sel_hi:[1,0,1]
	v_pk_fma_f16 v99, v47, v96, v99 op_sel:[0,1,0]
	v_pk_fma_f16 v100, v47, v97, v100 op_sel_hi:[1,0,1]
	v_pk_fma_f16 v102, v47, v97, v45 op_sel:[0,1,0]
	v_pk_fma_f16 v101, v48, v96, v101 op_sel_hi:[1,0,1]
	v_pk_fma_f16 v103, v48, v96, v94 op_sel:[0,1,0]
	v_pk_fma_f16 v98, v48, v97, v98 op_sel_hi:[1,0,1]
	v_pk_fma_f16 v104, v48, v97, v46 op_sel:[0,1,0]
	ds_load_2addr_b64 v[45:48], v44 offset0:128 offset1:160
	ds_load_b128 v[94:97], v67 offset:864
	s_waitcnt lgkmcnt(0)
	v_pk_fma_f16 v49, v45, v94, v49 op_sel_hi:[1,0,1]
	v_pk_fma_f16 v99, v45, v94, v99 op_sel:[0,1,0]
	v_pk_fma_f16 v100, v45, v95, v100 op_sel_hi:[1,0,1]
	v_pk_fma_f16 v45, v45, v95, v102 op_sel:[0,1,0]
	v_pk_fma_f16 v101, v46, v94, v101 op_sel_hi:[1,0,1]
	v_pk_fma_f16 v94, v46, v94, v103 op_sel:[0,1,0]
	v_pk_fma_f16 v98, v46, v95, v98 op_sel_hi:[1,0,1]
	v_pk_fma_f16 v46, v46, v95, v104 op_sel:[0,1,0]
	v_pk_fma_f16 v49, v47, v96, v49 op_sel_hi:[1,0,1]
	v_pk_fma_f16 v99, v47, v96, v99 op_sel:[0,1,0]
	v_pk_fma_f16 v100, v47, v97, v100 op_sel_hi:[1,0,1]
	v_pk_fma_f16 v102, v47, v97, v45 op_sel:[0,1,0]
	v_pk_fma_f16 v101, v48, v96, v101 op_sel_hi:[1,0,1]
	v_pk_fma_f16 v103, v48, v96, v94 op_sel:[0,1,0]
	v_pk_fma_f16 v98, v48, v97, v98 op_sel_hi:[1,0,1]
	v_pk_fma_f16 v48, v48, v97, v46 op_sel:[0,1,0]
	ds_load_2addr_b64 v[44:47], v44 offset0:192 offset1:224
	ds_load_b128 v[94:97], v67 offset:880
	s_waitcnt lgkmcnt(0)
	v_pk_fma_f16 v49, v44, v94, v49 op_sel_hi:[1,0,1]
	v_pk_fma_f16 v99, v44, v94, v99 op_sel:[0,1,0]
	v_pk_fma_f16 v100, v44, v95, v100 op_sel_hi:[1,0,1]
	v_pk_fma_f16 v44, v44, v95, v102 op_sel:[0,1,0]
	;; [unrolled: 2-line block ×8, first 2 shown]
	ds_load_2addr_b64 v[44:47], v42 offset1:32
	ds_load_b128 v[94:97], v67 offset:896
	s_waitcnt lgkmcnt(0)
	v_pk_fma_f16 v48, v44, v94, v48 op_sel_hi:[1,0,1]
	v_pk_fma_f16 v49, v44, v94, v49 op_sel:[0,1,0]
	v_pk_fma_f16 v99, v44, v95, v99 op_sel_hi:[1,0,1]
	v_pk_fma_f16 v44, v44, v95, v100 op_sel:[0,1,0]
	v_pk_fma_f16 v100, v45, v94, v101 op_sel_hi:[1,0,1]
	v_pk_fma_f16 v94, v45, v94, v102 op_sel:[0,1,0]
	v_pk_fma_f16 v98, v45, v95, v98 op_sel_hi:[1,0,1]
	v_pk_fma_f16 v45, v45, v95, v103 op_sel:[0,1,0]
	v_pk_fma_f16 v48, v46, v96, v48 op_sel_hi:[1,0,1]
	v_pk_fma_f16 v49, v46, v96, v49 op_sel:[0,1,0]
	v_pk_fma_f16 v99, v46, v97, v99 op_sel_hi:[1,0,1]
	v_pk_fma_f16 v101, v46, v97, v44 op_sel:[0,1,0]
	v_pk_fma_f16 v100, v47, v96, v100 op_sel_hi:[1,0,1]
	v_pk_fma_f16 v102, v47, v96, v94 op_sel:[0,1,0]
	v_pk_fma_f16 v98, v47, v97, v98 op_sel_hi:[1,0,1]
	v_pk_fma_f16 v103, v47, v97, v45 op_sel:[0,1,0]
	ds_load_2addr_b64 v[44:47], v42 offset0:64 offset1:96
	ds_load_b128 v[94:97], v67 offset:912
	s_waitcnt lgkmcnt(0)
	v_pk_fma_f16 v48, v44, v94, v48 op_sel_hi:[1,0,1]
	v_pk_fma_f16 v49, v44, v94, v49 op_sel:[0,1,0]
	v_pk_fma_f16 v99, v44, v95, v99 op_sel_hi:[1,0,1]
	v_pk_fma_f16 v44, v44, v95, v101 op_sel:[0,1,0]
	v_pk_fma_f16 v100, v45, v94, v100 op_sel_hi:[1,0,1]
	v_pk_fma_f16 v94, v45, v94, v102 op_sel:[0,1,0]
	v_pk_fma_f16 v98, v45, v95, v98 op_sel_hi:[1,0,1]
	v_pk_fma_f16 v45, v45, v95, v103 op_sel:[0,1,0]
	v_pk_fma_f16 v48, v46, v96, v48 op_sel_hi:[1,0,1]
	v_pk_fma_f16 v49, v46, v96, v49 op_sel:[0,1,0]
	v_pk_fma_f16 v99, v46, v97, v99 op_sel_hi:[1,0,1]
	v_pk_fma_f16 v101, v46, v97, v44 op_sel:[0,1,0]
	v_pk_fma_f16 v100, v47, v96, v100 op_sel_hi:[1,0,1]
	v_pk_fma_f16 v102, v47, v96, v94 op_sel:[0,1,0]
	v_pk_fma_f16 v98, v47, v97, v98 op_sel_hi:[1,0,1]
	v_pk_fma_f16 v103, v47, v97, v45 op_sel:[0,1,0]
	ds_load_2addr_b64 v[44:47], v42 offset0:128 offset1:160
	;; [unrolled: 19-line block ×3, first 2 shown]
	ds_load_b128 v[94:97], v67 offset:944
	s_waitcnt lgkmcnt(0)
	v_pk_fma_f16 v42, v44, v94, v48 op_sel_hi:[1,0,1]
	v_pk_fma_f16 v48, v44, v94, v49 op_sel:[0,1,0]
	v_pk_fma_f16 v49, v44, v95, v99 op_sel_hi:[1,0,1]
	v_pk_fma_f16 v44, v44, v95, v101 op_sel:[0,1,0]
	;; [unrolled: 2-line block ×8, first 2 shown]
	ds_load_2addr_b64 v[44:47], v41 offset1:32
	ds_load_b128 v[94:97], v67 offset:960
	s_waitcnt lgkmcnt(0)
	v_pk_fma_f16 v42, v44, v94, v42 op_sel_hi:[1,0,1]
	v_pk_fma_f16 v48, v44, v94, v48 op_sel:[0,1,0]
	v_pk_fma_f16 v49, v44, v95, v49 op_sel_hi:[1,0,1]
	v_pk_fma_f16 v44, v44, v95, v100 op_sel:[0,1,0]
	v_pk_fma_f16 v99, v45, v94, v99 op_sel_hi:[1,0,1]
	v_pk_fma_f16 v94, v45, v94, v101 op_sel:[0,1,0]
	v_pk_fma_f16 v98, v45, v95, v98 op_sel_hi:[1,0,1]
	v_pk_fma_f16 v45, v45, v95, v102 op_sel:[0,1,0]
	v_pk_fma_f16 v42, v46, v96, v42 op_sel_hi:[1,0,1]
	v_pk_fma_f16 v48, v46, v96, v48 op_sel:[0,1,0]
	v_pk_fma_f16 v49, v46, v97, v49 op_sel_hi:[1,0,1]
	v_pk_fma_f16 v100, v46, v97, v44 op_sel:[0,1,0]
	v_pk_fma_f16 v99, v47, v96, v99 op_sel_hi:[1,0,1]
	v_pk_fma_f16 v101, v47, v96, v94 op_sel:[0,1,0]
	v_pk_fma_f16 v98, v47, v97, v98 op_sel_hi:[1,0,1]
	v_pk_fma_f16 v102, v47, v97, v45 op_sel:[0,1,0]
	ds_load_2addr_b64 v[44:47], v41 offset0:64 offset1:96
	ds_load_b128 v[94:97], v67 offset:976
	s_waitcnt lgkmcnt(0)
	v_pk_fma_f16 v42, v44, v94, v42 op_sel_hi:[1,0,1]
	v_pk_fma_f16 v48, v44, v94, v48 op_sel:[0,1,0]
	v_pk_fma_f16 v49, v44, v95, v49 op_sel_hi:[1,0,1]
	v_pk_fma_f16 v44, v44, v95, v100 op_sel:[0,1,0]
	v_pk_fma_f16 v99, v45, v94, v99 op_sel_hi:[1,0,1]
	v_pk_fma_f16 v94, v45, v94, v101 op_sel:[0,1,0]
	v_pk_fma_f16 v98, v45, v95, v98 op_sel_hi:[1,0,1]
	v_pk_fma_f16 v45, v45, v95, v102 op_sel:[0,1,0]
	v_pk_fma_f16 v42, v46, v96, v42 op_sel_hi:[1,0,1]
	v_pk_fma_f16 v48, v46, v96, v48 op_sel:[0,1,0]
	v_pk_fma_f16 v49, v46, v97, v49 op_sel_hi:[1,0,1]
	v_pk_fma_f16 v100, v46, v97, v44 op_sel:[0,1,0]
	v_pk_fma_f16 v99, v47, v96, v99 op_sel_hi:[1,0,1]
	v_pk_fma_f16 v101, v47, v96, v94 op_sel:[0,1,0]
	v_pk_fma_f16 v98, v47, v97, v98 op_sel_hi:[1,0,1]
	v_pk_fma_f16 v102, v47, v97, v45 op_sel:[0,1,0]
	ds_load_2addr_b64 v[44:47], v41 offset0:128 offset1:160
	;; [unrolled: 19-line block ×3, first 2 shown]
	ds_load_b128 v[98:101], v67 offset:1008
	s_waitcnt lgkmcnt(0)
	s_barrier
	buffer_gl0_inv
	s_load_b32 s4, s[16:17], 0x4
	v_pk_fma_f16 v41, v94, v98, v42 op_sel_hi:[1,0,1]
	v_pk_fma_f16 v42, v94, v98, v48 op_sel:[0,1,0]
	v_pk_fma_f16 v47, v94, v99, v49 op_sel_hi:[1,0,1]
	v_pk_fma_f16 v49, v94, v99, v44 op_sel:[0,1,0]
	v_pk_fma_f16 v94, v95, v98, v46 op_sel_hi:[1,0,1]
	v_pk_fma_f16 v98, v95, v98, v102 op_sel:[0,1,0]
	v_pk_fma_f16 v102, v95, v99, v103 op_sel_hi:[1,0,1]
	v_pk_fma_f16 v95, v95, v99, v45 op_sel:[0,1,0]
	s_waitcnt lgkmcnt(0)
	s_lshl_b32 s4, s4, 7
	v_pk_fma_f16 v48, v96, v100, v41 op_sel_hi:[1,0,1]
	v_pk_fma_f16 v46, v96, v100, v42 op_sel:[0,1,0]
	v_pk_fma_f16 v44, v96, v101, v47 op_sel_hi:[1,0,1]
	v_pk_fma_f16 v42, v96, v101, v49 op_sel:[0,1,0]
	;; [unrolled: 2-line block ×4, first 2 shown]
	s_add_i32 s12, s4, s12
	s_delay_alu instid0(SALU_CYCLE_1)
	s_cmp_lt_i32 s12, s20
	s_cbranch_scc0 .LBB87_111
; %bb.105:                              ;   in Loop: Header=BB87_8 Depth=1
	v_dual_mov_b32 v80, v1 :: v_dual_mov_b32 v81, v2
	v_dual_mov_b32 v79, v3 :: v_dual_mov_b32 v78, v4
	;; [unrolled: 1-line block ×4, first 2 shown]
	s_branch .LBB87_8
.LBB87_106:                             ;   in Loop: Header=BB87_8 Depth=1
	v_mov_b32_e32 v21, 0
	v_cmp_ngt_f32_e64 s4, 0x3f200000, |v95|
                                        ; implicit-def: $vgpr22
	s_delay_alu instid0(VALU_DEP_1) | instskip(NEXT) | instid1(SALU_CYCLE_1)
	s_and_saveexec_b32 s5, s4
	s_xor_b32 s4, exec_lo, s5
	s_cbranch_execz .LBB87_15
	s_branch .LBB87_14
.LBB87_107:                             ;   in Loop: Header=BB87_8 Depth=1
	v_mov_b32_e32 v101, 0
	v_cmp_ngt_f32_e64 s4, 0x3f200000, |v91|
                                        ; implicit-def: $vgpr105
	s_delay_alu instid0(VALU_DEP_1) | instskip(NEXT) | instid1(SALU_CYCLE_1)
	s_and_saveexec_b32 s5, s4
	s_xor_b32 s4, exec_lo, s5
	s_cbranch_execz .LBB87_39
	s_branch .LBB87_38
.LBB87_108:                             ;   in Loop: Header=BB87_8 Depth=1
	v_mov_b32_e32 v93, 0
	v_cmp_ngt_f32_e64 s4, 0x3f200000, |v87|
                                        ; implicit-def: $vgpr107
	s_delay_alu instid0(VALU_DEP_1) | instskip(NEXT) | instid1(SALU_CYCLE_1)
	s_and_saveexec_b32 s5, s4
	s_xor_b32 s4, exec_lo, s5
	s_cbranch_execz .LBB87_63
	s_branch .LBB87_62
.LBB87_109:                             ;   in Loop: Header=BB87_8 Depth=1
	v_mov_b32_e32 v88, 0
	v_cmp_ngt_f32_e64 s4, 0x3f200000, |v83|
                                        ; implicit-def: $vgpr3
	s_delay_alu instid0(VALU_DEP_1) | instskip(NEXT) | instid1(SALU_CYCLE_1)
	s_and_saveexec_b32 s5, s4
	s_xor_b32 s4, exec_lo, s5
	s_cbranch_execz .LBB87_87
	s_branch .LBB87_86
.LBB87_110:
	s_mov_b32 s45, s44
	s_mov_b32 s46, s44
	;; [unrolled: 1-line block ×3, first 2 shown]
	v_dual_mov_b32 v1, s44 :: v_dual_mov_b32 v2, s45
	v_dual_mov_b32 v3, s46 :: v_dual_mov_b32 v4, s47
	;; [unrolled: 1-line block ×7, first 2 shown]
.LBB87_111:
	s_cmp_gt_i32 s42, s12
	s_cbranch_scc1 .LBB87_113
; %bb.112:
	v_mbcnt_lo_u32_b32 v5, -1, 0
	v_mov_b32_e32 v17, 32
	s_delay_alu instid0(VALU_DEP_2)
	v_xor_b32_e32 v58, 16, v5
	v_xor_b32_e32 v57, 8, v5
	;; [unrolled: 1-line block ×5, first 2 shown]
	s_cbranch_execz .LBB87_114
	s_branch .LBB87_259
.LBB87_113:
                                        ; implicit-def: $vgpr5
                                        ; implicit-def: $vgpr17
                                        ; implicit-def: $vgpr58
                                        ; implicit-def: $vgpr57
                                        ; implicit-def: $vgpr20
                                        ; implicit-def: $vgpr19
                                        ; implicit-def: $vgpr18
.LBB87_114:
	s_load_b64 s[0:1], s[0:1], 0x4
	s_mov_b64 s[6:7], src_shared_base
	v_add_nc_u32_e32 v18, v56, v31
	v_bfe_u32 v0, v0, 20, 10
	s_mul_hi_i32 s5, s12, s26
	s_mul_i32 s4, s12, s26
	s_sub_i32 s9, s42, s12
	v_mul_lo_u32 v5, s26, v18
	s_lshl_b64 s[4:5], s[4:5], 2
	v_dual_mov_b32 v62, 0 :: v_dual_lshlrev_b32 v19, 2, v55
	v_dual_mov_b32 v61, 0 :: v_dual_mov_b32 v56, 0
	v_dual_mov_b32 v55, 0 :: v_dual_mov_b32 v60, 0
	s_delay_alu instid0(VALU_DEP_4)
	v_ashrrev_i32_e32 v6, 31, v5
	v_mov_b32_e32 v59, 0
	s_waitcnt lgkmcnt(0)
	s_lshr_b32 s0, s0, 16
	v_mul_u32_u24_e32 v9, s1, v38
	s_mul_i32 s0, s0, s1
	v_lshlrev_b64 v[6:7], 2, v[5:6]
	v_mul_lo_u32 v8, s0, v34
	s_add_u32 s1, s19, s4
	s_addc_u32 s5, s27, s5
	v_cmp_gt_i32_e64 s4, s9, v18
	s_lshl_b32 s6, s26, 5
	v_add_co_u32 v6, vcc_lo, s1, v6
	v_add_co_ci_u32_e32 v7, vcc_lo, s5, v7, vcc_lo
	s_delay_alu instid0(VALU_DEP_4) | instskip(NEXT) | instid1(VALU_DEP_3)
	v_add3_u32 v0, v8, v9, v0
	v_add_co_u32 v65, vcc_lo, v6, v19
	v_mov_b32_e32 v6, 0
	s_delay_alu instid0(VALU_DEP_4) | instskip(NEXT) | instid1(VALU_DEP_4)
	v_add_co_ci_u32_e32 v66, vcc_lo, 0, v7, vcc_lo
	v_lshlrev_b32_e32 v0, 4, v0
	s_delay_alu instid0(VALU_DEP_2) | instskip(NEXT) | instid1(VALU_DEP_2)
	v_cndmask_b32_e64 v10, s7, v66, s4
	v_add_nc_u32_e32 v7, 0x8800, v0
	v_add_nc_u32_e32 v8, 0x8804, v0
	ds_store_b32 v0, v6 offset:34816
	ds_store_2addr_b32 v8, v6, v6 offset1:1
	ds_store_b32 v0, v6 offset:34828
	v_cndmask_b32_e64 v9, v7, v65, s4
	v_add_nc_u32_e32 v15, s6, v5
	flat_load_b128 v[11:14], v[9:10]
	v_ashrrev_i32_e32 v16, 31, v15
	s_delay_alu instid0(VALU_DEP_1) | instskip(SKIP_1) | instid1(VALU_DEP_2)
	v_lshlrev_b64 v[9:10], 2, v[15:16]
	v_add_nc_u32_e32 v16, 32, v18
	v_add_co_u32 v5, vcc_lo, s1, v9
	s_delay_alu instid0(VALU_DEP_3) | instskip(NEXT) | instid1(VALU_DEP_2)
	v_add_co_ci_u32_e32 v9, vcc_lo, s5, v10, vcc_lo
	v_add_co_u32 v10, vcc_lo, v5, v19
	s_delay_alu instid0(VALU_DEP_2) | instskip(SKIP_1) | instid1(VALU_DEP_2)
	v_add_co_ci_u32_e32 v20, vcc_lo, 0, v9, vcc_lo
	v_cmp_gt_i32_e32 vcc_lo, s9, v16
	v_cndmask_b32_e32 v17, s7, v20, vcc_lo
	s_delay_alu instid0(VALU_DEP_4)
	v_cndmask_b32_e32 v16, v7, v10, vcc_lo
	v_mad_u32_u24 v9, 0x90, v18, v19
	ds_store_b32 v0, v6 offset:34816
	ds_store_2addr_b32 v8, v6, v6 offset1:1
	ds_store_b32 v0, v6 offset:34828
	s_waitcnt vmcnt(0) lgkmcnt(3)
	ds_store_b128 v9, v[11:14]
	flat_load_b128 v[11:14], v[16:17]
	v_add_nc_u32_e32 v15, s6, v15
	ds_store_b32 v0, v6 offset:34816
	ds_store_2addr_b32 v8, v6, v6 offset1:1
	ds_store_b32 v0, v6 offset:34828
	s_waitcnt vmcnt(0) lgkmcnt(3)
	ds_store_b128 v9, v[11:14] offset:4608
	v_ashrrev_i32_e32 v16, 31, v15
	s_delay_alu instid0(VALU_DEP_1) | instskip(SKIP_1) | instid1(VALU_DEP_2)
	v_lshlrev_b64 v[16:17], 2, v[15:16]
	v_add_nc_u32_e32 v15, s6, v15
	v_add_co_u32 v5, s0, s1, v16
	s_delay_alu instid0(VALU_DEP_1) | instskip(SKIP_1) | instid1(VALU_DEP_3)
	v_add_co_ci_u32_e64 v16, s0, s5, v17, s0
	v_add_nc_u32_e32 v17, 64, v18
	v_add_co_u32 v57, s0, v5, v19
	s_delay_alu instid0(VALU_DEP_1) | instskip(NEXT) | instid1(VALU_DEP_3)
	v_add_co_ci_u32_e64 v58, s0, 0, v16, s0
	v_cmp_gt_i32_e64 s0, s9, v17
	s_delay_alu instid0(VALU_DEP_1) | instskip(NEXT) | instid1(VALU_DEP_4)
	v_cndmask_b32_e64 v17, s7, v58, s0
	v_cndmask_b32_e64 v16, v7, v57, s0
	flat_load_b128 v[11:14], v[16:17]
	v_ashrrev_i32_e32 v16, 31, v15
	v_mov_b32_e32 v17, 0
	s_delay_alu instid0(VALU_DEP_2) | instskip(NEXT) | instid1(VALU_DEP_1)
	v_lshlrev_b64 v[15:16], 2, v[15:16]
	v_add_co_u32 v5, s1, s1, v15
	s_delay_alu instid0(VALU_DEP_1) | instskip(SKIP_1) | instid1(VALU_DEP_3)
	v_add_co_ci_u32_e64 v15, s1, s5, v16, s1
	v_add_nc_u32_e32 v16, 0x60, v18
	v_add_co_u32 v63, s1, v5, v19
	s_delay_alu instid0(VALU_DEP_1) | instskip(NEXT) | instid1(VALU_DEP_3)
	v_add_co_ci_u32_e64 v64, s1, 0, v15, s1
	v_cmp_gt_i32_e64 s1, s9, v16
	v_mov_b32_e32 v5, 0
	v_mov_b32_e32 v19, 0
	ds_store_b32 v0, v6 offset:34816
	ds_store_2addr_b32 v8, v6, v6 offset1:1
	ds_store_b32 v0, v6 offset:34828
	s_waitcnt vmcnt(0) lgkmcnt(3)
	ds_store_b128 v9, v[11:14] offset:9216
	v_cndmask_b32_e64 v16, s7, v64, s1
	v_cndmask_b32_e64 v15, v7, v63, s1
	v_mov_b32_e32 v18, 0
	v_add_co_u32 v65, s5, 0x80, v65
	s_delay_alu instid0(VALU_DEP_1)
	v_add_co_ci_u32_e64 v66, s5, 0, v66, s5
	flat_load_b128 v[11:14], v[15:16]
	v_mov_b32_e32 v16, 0
	v_cndmask_b32_e64 v65, v7, v65, s4
	v_cndmask_b32_e64 v66, s7, v66, s4
	v_add_co_u32 v10, s4, 0x80, v10
	s_delay_alu instid0(VALU_DEP_1)
	v_add_co_ci_u32_e64 v20, s4, 0, v20, s4
	v_mov_b32_e32 v15, 0
	s_waitcnt vmcnt(0) lgkmcnt(0)
	ds_store_b128 v9, v[11:14] offset:13824
	s_waitcnt lgkmcnt(0)
	s_barrier
	buffer_gl0_inv
	ds_load_b128 v[67:70], v54
	ds_load_b128 v[71:74], v36 offset:26624
	ds_load_b128 v[75:78], v36 offset:26880
	;; [unrolled: 1-line block ×7, first 2 shown]
	s_waitcnt lgkmcnt(6)
	;;#ASMSTART
	v_dot2_f32_f16 v5, v67, v71, v5
	;;#ASMEND
	;;#ASMSTART
	v_dot2_f32_f16 v5, v68, v72, v5
	;;#ASMEND
	;; [unrolled: 3-line block ×4, first 2 shown]
	s_waitcnt lgkmcnt(5)
	;;#ASMSTART
	v_dot2_f32_f16 v62, v67, v75, v62
	;;#ASMEND
	;;#ASMSTART
	v_dot2_f32_f16 v62, v68, v76, v62
	;;#ASMEND
	;; [unrolled: 3-line block ×4, first 2 shown]
	s_waitcnt lgkmcnt(4)
	;;#ASMSTART
	v_dot2_f32_f16 v56, v67, v79, v56
	;;#ASMEND
	;;#ASMSTART
	v_dot2_f32_f16 v56, v68, v80, v56
	;;#ASMEND
	v_mov_b32_e32 v14, 0
	;;#ASMSTART
	v_dot2_f32_f16 v56, v69, v81, v56
	;;#ASMEND
	;;#ASMSTART
	v_dot2_f32_f16 v56, v70, v82, v56
	;;#ASMEND
	s_waitcnt lgkmcnt(3)
	;;#ASMSTART
	v_dot2_f32_f16 v14, v67, v83, v14
	;;#ASMEND
	;;#ASMSTART
	v_dot2_f32_f16 v14, v68, v84, v14
	;;#ASMEND
	;;#ASMSTART
	v_dot2_f32_f16 v14, v69, v85, v14
	;;#ASMEND
	;;#ASMSTART
	v_dot2_f32_f16 v14, v70, v86, v14
	;;#ASMEND
	s_waitcnt lgkmcnt(2)
	;;#ASMSTART
	v_dot2_f32_f16 v19, v87, v71, v19
	;;#ASMEND
	;;#ASMSTART
	v_dot2_f32_f16 v19, v88, v72, v19
	;;#ASMEND
	;;#ASMSTART
	v_dot2_f32_f16 v19, v89, v73, v19
	;;#ASMEND
	;;#ASMSTART
	v_dot2_f32_f16 v19, v90, v74, v19
	;;#ASMEND
	;;#ASMSTART
	v_dot2_f32_f16 v61, v87, v75, v61
	;;#ASMEND
	;;#ASMSTART
	v_dot2_f32_f16 v61, v88, v76, v61
	;;#ASMEND
	;;#ASMSTART
	v_dot2_f32_f16 v61, v89, v77, v61
	;;#ASMEND
	;;#ASMSTART
	v_dot2_f32_f16 v61, v90, v78, v61
	;;#ASMEND
	;;#ASMSTART
	v_dot2_f32_f16 v55, v87, v79, v55
	;;#ASMEND
	;;#ASMSTART
	v_dot2_f32_f16 v55, v88, v80, v55
	;;#ASMEND
	v_mov_b32_e32 v13, 0
	;;#ASMSTART
	v_dot2_f32_f16 v55, v89, v81, v55
	;;#ASMEND
	;;#ASMSTART
	v_dot2_f32_f16 v55, v90, v82, v55
	;;#ASMEND
	;;#ASMSTART
	v_dot2_f32_f16 v13, v87, v83, v13
	;;#ASMEND
	;;#ASMSTART
	v_dot2_f32_f16 v13, v88, v84, v13
	;;#ASMEND
	;;#ASMSTART
	v_dot2_f32_f16 v13, v89, v85, v13
	;;#ASMEND
	;;#ASMSTART
	v_dot2_f32_f16 v13, v90, v86, v13
	;;#ASMEND
	s_waitcnt lgkmcnt(1)
	;;#ASMSTART
	v_dot2_f32_f16 v18, v91, v71, v18
	;;#ASMEND
	;;#ASMSTART
	v_dot2_f32_f16 v18, v92, v72, v18
	;;#ASMEND
	;;#ASMSTART
	v_dot2_f32_f16 v18, v93, v73, v18
	;;#ASMEND
	;;#ASMSTART
	v_dot2_f32_f16 v18, v94, v74, v18
	;;#ASMEND
	;;#ASMSTART
	v_dot2_f32_f16 v60, v91, v75, v60
	;;#ASMEND
	;;#ASMSTART
	v_dot2_f32_f16 v60, v92, v76, v60
	;;#ASMEND
	;;#ASMSTART
	v_dot2_f32_f16 v60, v93, v77, v60
	;;#ASMEND
	;;#ASMSTART
	v_dot2_f32_f16 v60, v94, v78, v60
	;;#ASMEND
	;;#ASMSTART
	v_dot2_f32_f16 v16, v91, v79, v16
	;;#ASMEND
	;;#ASMSTART
	v_dot2_f32_f16 v16, v92, v80, v16
	;;#ASMEND
	v_mov_b32_e32 v12, 0
	;;#ASMSTART
	v_dot2_f32_f16 v16, v93, v81, v16
	;;#ASMEND
	;;#ASMSTART
	v_dot2_f32_f16 v16, v94, v82, v16
	;;#ASMEND
	;; [unrolled: 50-line block ×3, first 2 shown]
	;;#ASMSTART
	v_dot2_f32_f16 v11, v95, v83, v11
	;;#ASMEND
	;;#ASMSTART
	v_dot2_f32_f16 v11, v96, v84, v11
	;;#ASMEND
	;; [unrolled: 3-line block ×4, first 2 shown]
	ds_load_b128 v[67:70], v54 offset:16
	ds_load_b128 v[71:74], v36 offset:26640
	;; [unrolled: 1-line block ×8, first 2 shown]
	s_waitcnt lgkmcnt(6)
	;;#ASMSTART
	v_dot2_f32_f16 v5, v67, v71, v5
	;;#ASMEND
	;;#ASMSTART
	v_dot2_f32_f16 v5, v68, v72, v5
	;;#ASMEND
	;;#ASMSTART
	v_dot2_f32_f16 v5, v69, v73, v5
	;;#ASMEND
	;;#ASMSTART
	v_dot2_f32_f16 v5, v70, v74, v5
	;;#ASMEND
	s_waitcnt lgkmcnt(5)
	;;#ASMSTART
	v_dot2_f32_f16 v62, v67, v75, v62
	;;#ASMEND
	;;#ASMSTART
	v_dot2_f32_f16 v62, v68, v76, v62
	;;#ASMEND
	;;#ASMSTART
	v_dot2_f32_f16 v62, v69, v77, v62
	;;#ASMEND
	;;#ASMSTART
	v_dot2_f32_f16 v62, v70, v78, v62
	;;#ASMEND
	;; [unrolled: 13-line block ×5, first 2 shown]
	;;#ASMSTART
	v_dot2_f32_f16 v61, v87, v75, v61
	;;#ASMEND
	;;#ASMSTART
	v_dot2_f32_f16 v61, v88, v76, v61
	;;#ASMEND
	;; [unrolled: 3-line block ×12, first 2 shown]
	s_waitcnt lgkmcnt(1)
	;;#ASMSTART
	v_dot2_f32_f16 v18, v91, v71, v18
	;;#ASMEND
	;;#ASMSTART
	v_dot2_f32_f16 v18, v92, v72, v18
	;;#ASMEND
	;; [unrolled: 3-line block ×16, first 2 shown]
	s_waitcnt lgkmcnt(0)
	;;#ASMSTART
	v_dot2_f32_f16 v17, v95, v71, v17
	;;#ASMEND
	;;#ASMSTART
	v_dot2_f32_f16 v17, v96, v72, v17
	;;#ASMEND
	;; [unrolled: 3-line block ×16, first 2 shown]
	ds_load_b128 v[67:70], v54 offset:32
	ds_load_b128 v[71:74], v36 offset:26656
	;; [unrolled: 1-line block ×8, first 2 shown]
	s_waitcnt lgkmcnt(6)
	;;#ASMSTART
	v_dot2_f32_f16 v5, v67, v71, v5
	;;#ASMEND
	;;#ASMSTART
	v_dot2_f32_f16 v5, v68, v72, v5
	;;#ASMEND
	;;#ASMSTART
	v_dot2_f32_f16 v5, v69, v73, v5
	;;#ASMEND
	;;#ASMSTART
	v_dot2_f32_f16 v5, v70, v74, v5
	;;#ASMEND
	s_waitcnt lgkmcnt(5)
	;;#ASMSTART
	v_dot2_f32_f16 v62, v67, v75, v62
	;;#ASMEND
	;;#ASMSTART
	v_dot2_f32_f16 v62, v68, v76, v62
	;;#ASMEND
	;;#ASMSTART
	v_dot2_f32_f16 v62, v69, v77, v62
	;;#ASMEND
	;;#ASMSTART
	v_dot2_f32_f16 v62, v70, v78, v62
	;;#ASMEND
	;; [unrolled: 13-line block ×5, first 2 shown]
	;;#ASMSTART
	v_dot2_f32_f16 v61, v87, v75, v61
	;;#ASMEND
	;;#ASMSTART
	v_dot2_f32_f16 v61, v88, v76, v61
	;;#ASMEND
	;; [unrolled: 3-line block ×12, first 2 shown]
	s_waitcnt lgkmcnt(1)
	;;#ASMSTART
	v_dot2_f32_f16 v18, v91, v71, v18
	;;#ASMEND
	;;#ASMSTART
	v_dot2_f32_f16 v18, v92, v72, v18
	;;#ASMEND
	;; [unrolled: 3-line block ×16, first 2 shown]
	s_waitcnt lgkmcnt(0)
	;;#ASMSTART
	v_dot2_f32_f16 v17, v95, v71, v17
	;;#ASMEND
	;;#ASMSTART
	v_dot2_f32_f16 v17, v96, v72, v17
	;;#ASMEND
	;; [unrolled: 3-line block ×16, first 2 shown]
	ds_load_b128 v[67:70], v54 offset:48
	ds_load_b128 v[71:74], v36 offset:26672
	;; [unrolled: 1-line block ×8, first 2 shown]
	s_waitcnt lgkmcnt(6)
	;;#ASMSTART
	v_dot2_f32_f16 v5, v67, v71, v5
	;;#ASMEND
	;;#ASMSTART
	v_dot2_f32_f16 v5, v68, v72, v5
	;;#ASMEND
	;;#ASMSTART
	v_dot2_f32_f16 v5, v69, v73, v5
	;;#ASMEND
	;;#ASMSTART
	v_dot2_f32_f16 v5, v70, v74, v5
	;;#ASMEND
	s_waitcnt lgkmcnt(5)
	;;#ASMSTART
	v_dot2_f32_f16 v62, v67, v75, v62
	;;#ASMEND
	;;#ASMSTART
	v_dot2_f32_f16 v62, v68, v76, v62
	;;#ASMEND
	;;#ASMSTART
	v_dot2_f32_f16 v62, v69, v77, v62
	;;#ASMEND
	;;#ASMSTART
	v_dot2_f32_f16 v62, v70, v78, v62
	;;#ASMEND
	;; [unrolled: 13-line block ×5, first 2 shown]
	;;#ASMSTART
	v_dot2_f32_f16 v61, v87, v75, v61
	;;#ASMEND
	;;#ASMSTART
	v_dot2_f32_f16 v61, v88, v76, v61
	;;#ASMEND
	;;#ASMSTART
	v_dot2_f32_f16 v61, v89, v77, v61
	;;#ASMEND
	;;#ASMSTART
	v_dot2_f32_f16 v61, v90, v78, v61
	;;#ASMEND
	;;#ASMSTART
	v_dot2_f32_f16 v55, v87, v79, v55
	;;#ASMEND
	;;#ASMSTART
	v_dot2_f32_f16 v55, v88, v80, v55
	;;#ASMEND
	;;#ASMSTART
	v_dot2_f32_f16 v55, v89, v81, v55
	;;#ASMEND
	;;#ASMSTART
	v_dot2_f32_f16 v55, v90, v82, v55
	;;#ASMEND
	;;#ASMSTART
	v_dot2_f32_f16 v13, v87, v83, v13
	;;#ASMEND
	;;#ASMSTART
	v_dot2_f32_f16 v13, v88, v84, v13
	;;#ASMEND
	;;#ASMSTART
	v_dot2_f32_f16 v13, v89, v85, v13
	;;#ASMEND
	;;#ASMSTART
	v_dot2_f32_f16 v13, v90, v86, v13
	;;#ASMEND
	s_waitcnt lgkmcnt(1)
	;;#ASMSTART
	v_dot2_f32_f16 v18, v91, v71, v18
	;;#ASMEND
	;;#ASMSTART
	v_dot2_f32_f16 v18, v92, v72, v18
	;;#ASMEND
	;; [unrolled: 3-line block ×16, first 2 shown]
	s_waitcnt lgkmcnt(0)
	;;#ASMSTART
	v_dot2_f32_f16 v17, v95, v71, v17
	;;#ASMEND
	;;#ASMSTART
	v_dot2_f32_f16 v17, v96, v72, v17
	;;#ASMEND
	;; [unrolled: 3-line block ×16, first 2 shown]
	ds_load_b128 v[67:70], v54 offset:64
	ds_load_b128 v[71:74], v36 offset:26688
	;; [unrolled: 1-line block ×8, first 2 shown]
	s_waitcnt lgkmcnt(6)
	;;#ASMSTART
	v_dot2_f32_f16 v5, v67, v71, v5
	;;#ASMEND
	;;#ASMSTART
	v_dot2_f32_f16 v5, v68, v72, v5
	;;#ASMEND
	;;#ASMSTART
	v_dot2_f32_f16 v5, v69, v73, v5
	;;#ASMEND
	;;#ASMSTART
	v_dot2_f32_f16 v5, v70, v74, v5
	;;#ASMEND
	s_waitcnt lgkmcnt(5)
	;;#ASMSTART
	v_dot2_f32_f16 v62, v67, v75, v62
	;;#ASMEND
	;;#ASMSTART
	v_dot2_f32_f16 v62, v68, v76, v62
	;;#ASMEND
	;;#ASMSTART
	v_dot2_f32_f16 v62, v69, v77, v62
	;;#ASMEND
	;;#ASMSTART
	v_dot2_f32_f16 v62, v70, v78, v62
	;;#ASMEND
	s_waitcnt lgkmcnt(4)
	;;#ASMSTART
	v_dot2_f32_f16 v56, v67, v79, v56
	;;#ASMEND
	;;#ASMSTART
	v_dot2_f32_f16 v56, v68, v80, v56
	;;#ASMEND
	;;#ASMSTART
	v_dot2_f32_f16 v56, v69, v81, v56
	;;#ASMEND
	;;#ASMSTART
	v_dot2_f32_f16 v56, v70, v82, v56
	;;#ASMEND
	s_waitcnt lgkmcnt(3)
	;;#ASMSTART
	v_dot2_f32_f16 v14, v67, v83, v14
	;;#ASMEND
	;;#ASMSTART
	v_dot2_f32_f16 v14, v68, v84, v14
	;;#ASMEND
	;;#ASMSTART
	v_dot2_f32_f16 v14, v69, v85, v14
	;;#ASMEND
	;;#ASMSTART
	v_dot2_f32_f16 v14, v70, v86, v14
	;;#ASMEND
	s_waitcnt lgkmcnt(2)
	;;#ASMSTART
	v_dot2_f32_f16 v19, v87, v71, v19
	;;#ASMEND
	;;#ASMSTART
	v_dot2_f32_f16 v19, v88, v72, v19
	;;#ASMEND
	;;#ASMSTART
	v_dot2_f32_f16 v19, v89, v73, v19
	;;#ASMEND
	;;#ASMSTART
	v_dot2_f32_f16 v19, v90, v74, v19
	;;#ASMEND
	;;#ASMSTART
	v_dot2_f32_f16 v61, v87, v75, v61
	;;#ASMEND
	;;#ASMSTART
	v_dot2_f32_f16 v61, v88, v76, v61
	;;#ASMEND
	;; [unrolled: 3-line block ×12, first 2 shown]
	s_waitcnt lgkmcnt(1)
	;;#ASMSTART
	v_dot2_f32_f16 v18, v91, v71, v18
	;;#ASMEND
	;;#ASMSTART
	v_dot2_f32_f16 v18, v92, v72, v18
	;;#ASMEND
	;;#ASMSTART
	v_dot2_f32_f16 v18, v93, v73, v18
	;;#ASMEND
	;;#ASMSTART
	v_dot2_f32_f16 v18, v94, v74, v18
	;;#ASMEND
	;;#ASMSTART
	v_dot2_f32_f16 v60, v91, v75, v60
	;;#ASMEND
	;;#ASMSTART
	v_dot2_f32_f16 v60, v92, v76, v60
	;;#ASMEND
	;;#ASMSTART
	v_dot2_f32_f16 v60, v93, v77, v60
	;;#ASMEND
	;;#ASMSTART
	v_dot2_f32_f16 v60, v94, v78, v60
	;;#ASMEND
	;;#ASMSTART
	v_dot2_f32_f16 v16, v91, v79, v16
	;;#ASMEND
	;;#ASMSTART
	v_dot2_f32_f16 v16, v92, v80, v16
	;;#ASMEND
	;;#ASMSTART
	v_dot2_f32_f16 v16, v93, v81, v16
	;;#ASMEND
	;;#ASMSTART
	v_dot2_f32_f16 v16, v94, v82, v16
	;;#ASMEND
	;;#ASMSTART
	v_dot2_f32_f16 v12, v91, v83, v12
	;;#ASMEND
	;;#ASMSTART
	v_dot2_f32_f16 v12, v92, v84, v12
	;;#ASMEND
	;;#ASMSTART
	v_dot2_f32_f16 v12, v93, v85, v12
	;;#ASMEND
	;;#ASMSTART
	v_dot2_f32_f16 v12, v94, v86, v12
	;;#ASMEND
	s_waitcnt lgkmcnt(0)
	;;#ASMSTART
	v_dot2_f32_f16 v17, v95, v71, v17
	;;#ASMEND
	;;#ASMSTART
	v_dot2_f32_f16 v17, v96, v72, v17
	;;#ASMEND
	;; [unrolled: 3-line block ×16, first 2 shown]
	ds_load_b128 v[67:70], v54 offset:80
	ds_load_b128 v[71:74], v36 offset:26704
	ds_load_b128 v[75:78], v36 offset:26960
	ds_load_b128 v[79:82], v36 offset:27216
	ds_load_b128 v[83:86], v36 offset:27472
	ds_load_b128 v[87:90], v54 offset:4688
	ds_load_b128 v[91:94], v54 offset:9296
	ds_load_b128 v[95:98], v54 offset:13904
	s_waitcnt lgkmcnt(6)
	;;#ASMSTART
	v_dot2_f32_f16 v5, v67, v71, v5
	;;#ASMEND
	;;#ASMSTART
	v_dot2_f32_f16 v5, v68, v72, v5
	;;#ASMEND
	;;#ASMSTART
	v_dot2_f32_f16 v5, v69, v73, v5
	;;#ASMEND
	;;#ASMSTART
	v_dot2_f32_f16 v5, v70, v74, v5
	;;#ASMEND
	s_waitcnt lgkmcnt(5)
	;;#ASMSTART
	v_dot2_f32_f16 v62, v67, v75, v62
	;;#ASMEND
	;;#ASMSTART
	v_dot2_f32_f16 v62, v68, v76, v62
	;;#ASMEND
	;;#ASMSTART
	v_dot2_f32_f16 v62, v69, v77, v62
	;;#ASMEND
	;;#ASMSTART
	v_dot2_f32_f16 v62, v70, v78, v62
	;;#ASMEND
	;; [unrolled: 13-line block ×5, first 2 shown]
	;;#ASMSTART
	v_dot2_f32_f16 v61, v87, v75, v61
	;;#ASMEND
	;;#ASMSTART
	v_dot2_f32_f16 v61, v88, v76, v61
	;;#ASMEND
	;; [unrolled: 3-line block ×12, first 2 shown]
	s_waitcnt lgkmcnt(1)
	;;#ASMSTART
	v_dot2_f32_f16 v18, v91, v71, v18
	;;#ASMEND
	;;#ASMSTART
	v_dot2_f32_f16 v18, v92, v72, v18
	;;#ASMEND
	;; [unrolled: 3-line block ×16, first 2 shown]
	s_waitcnt lgkmcnt(0)
	;;#ASMSTART
	v_dot2_f32_f16 v17, v95, v71, v17
	;;#ASMEND
	;;#ASMSTART
	v_dot2_f32_f16 v17, v96, v72, v17
	;;#ASMEND
	;; [unrolled: 3-line block ×16, first 2 shown]
	ds_load_b128 v[67:70], v54 offset:96
	ds_load_b128 v[71:74], v36 offset:26720
	;; [unrolled: 1-line block ×8, first 2 shown]
	s_waitcnt lgkmcnt(6)
	;;#ASMSTART
	v_dot2_f32_f16 v5, v67, v71, v5
	;;#ASMEND
	;;#ASMSTART
	v_dot2_f32_f16 v5, v68, v72, v5
	;;#ASMEND
	;;#ASMSTART
	v_dot2_f32_f16 v5, v69, v73, v5
	;;#ASMEND
	;;#ASMSTART
	v_dot2_f32_f16 v5, v70, v74, v5
	;;#ASMEND
	s_waitcnt lgkmcnt(5)
	;;#ASMSTART
	v_dot2_f32_f16 v62, v67, v75, v62
	;;#ASMEND
	;;#ASMSTART
	v_dot2_f32_f16 v62, v68, v76, v62
	;;#ASMEND
	;;#ASMSTART
	v_dot2_f32_f16 v62, v69, v77, v62
	;;#ASMEND
	;;#ASMSTART
	v_dot2_f32_f16 v62, v70, v78, v62
	;;#ASMEND
	;; [unrolled: 13-line block ×5, first 2 shown]
	;;#ASMSTART
	v_dot2_f32_f16 v61, v87, v75, v61
	;;#ASMEND
	;;#ASMSTART
	v_dot2_f32_f16 v61, v88, v76, v61
	;;#ASMEND
	;; [unrolled: 3-line block ×12, first 2 shown]
	s_waitcnt lgkmcnt(1)
	;;#ASMSTART
	v_dot2_f32_f16 v18, v91, v71, v18
	;;#ASMEND
	;;#ASMSTART
	v_dot2_f32_f16 v18, v92, v72, v18
	;;#ASMEND
	;; [unrolled: 3-line block ×16, first 2 shown]
	s_waitcnt lgkmcnt(0)
	;;#ASMSTART
	v_dot2_f32_f16 v17, v95, v71, v17
	;;#ASMEND
	;;#ASMSTART
	v_dot2_f32_f16 v17, v96, v72, v17
	;;#ASMEND
	;; [unrolled: 3-line block ×16, first 2 shown]
	ds_load_b128 v[67:70], v54 offset:112
	ds_load_b128 v[71:74], v36 offset:26736
	ds_load_b128 v[75:78], v36 offset:26992
	ds_load_b128 v[79:82], v36 offset:27248
	ds_load_b128 v[83:86], v36 offset:27504
	ds_load_b128 v[87:90], v54 offset:4720
	ds_load_b128 v[91:94], v54 offset:9328
	ds_load_b128 v[95:98], v54 offset:13936
	s_waitcnt lgkmcnt(6)
	;;#ASMSTART
	v_dot2_f32_f16 v5, v67, v71, v5
	;;#ASMEND
	;;#ASMSTART
	v_dot2_f32_f16 v5, v68, v72, v5
	;;#ASMEND
	;;#ASMSTART
	v_dot2_f32_f16 v5, v69, v73, v5
	;;#ASMEND
	;;#ASMSTART
	v_dot2_f32_f16 v5, v70, v74, v5
	;;#ASMEND
	s_waitcnt lgkmcnt(5)
	;;#ASMSTART
	v_dot2_f32_f16 v62, v67, v75, v62
	;;#ASMEND
	;;#ASMSTART
	v_dot2_f32_f16 v62, v68, v76, v62
	;;#ASMEND
	;;#ASMSTART
	v_dot2_f32_f16 v62, v69, v77, v62
	;;#ASMEND
	;;#ASMSTART
	v_dot2_f32_f16 v62, v70, v78, v62
	;;#ASMEND
	;; [unrolled: 13-line block ×5, first 2 shown]
	;;#ASMSTART
	v_dot2_f32_f16 v61, v87, v75, v61
	;;#ASMEND
	;;#ASMSTART
	v_dot2_f32_f16 v61, v88, v76, v61
	;;#ASMEND
	;; [unrolled: 3-line block ×12, first 2 shown]
	s_waitcnt lgkmcnt(1)
	;;#ASMSTART
	v_dot2_f32_f16 v18, v91, v71, v18
	;;#ASMEND
	;;#ASMSTART
	v_dot2_f32_f16 v18, v92, v72, v18
	;;#ASMEND
	;; [unrolled: 3-line block ×16, first 2 shown]
	s_waitcnt lgkmcnt(0)
	;;#ASMSTART
	v_dot2_f32_f16 v17, v95, v71, v17
	;;#ASMEND
	;;#ASMSTART
	v_dot2_f32_f16 v17, v96, v72, v17
	;;#ASMEND
	;; [unrolled: 3-line block ×16, first 2 shown]
	s_barrier
	buffer_gl0_inv
	ds_store_b32 v0, v6 offset:34816
	ds_store_2addr_b32 v8, v6, v6 offset1:1
	ds_store_b32 v0, v6 offset:34828
	flat_load_b128 v[65:68], v[65:66]
	v_cndmask_b32_e32 v70, s7, v20, vcc_lo
	v_cndmask_b32_e32 v69, v7, v10, vcc_lo
	v_add_co_u32 v10, vcc_lo, 0x80, v57
	v_add_co_ci_u32_e32 v20, vcc_lo, 0, v58, vcc_lo
	ds_store_b32 v0, v6 offset:34816
	ds_store_2addr_b32 v8, v6, v6 offset1:1
	ds_store_b32 v0, v6 offset:34828
	s_waitcnt vmcnt(0) lgkmcnt(3)
	ds_store_b128 v9, v[65:68]
	flat_load_b128 v[65:68], v[69:70]
	v_cndmask_b32_e64 v58, s7, v20, s0
	v_cndmask_b32_e64 v57, v7, v10, s0
	v_add_co_u32 v10, vcc_lo, 0x80, v63
	v_add_co_ci_u32_e32 v20, vcc_lo, 0, v64, vcc_lo
	ds_store_b32 v0, v6 offset:34816
	ds_store_2addr_b32 v8, v6, v6 offset1:1
	ds_store_b32 v0, v6 offset:34828
	s_waitcnt vmcnt(0) lgkmcnt(3)
	ds_store_b128 v9, v[65:68] offset:4608
	flat_load_b128 v[65:68], v[57:58]
	v_cndmask_b32_e64 v58, s7, v20, s1
	v_cndmask_b32_e64 v57, v7, v10, s1
	ds_store_b32 v0, v6 offset:34816
	ds_store_2addr_b32 v8, v6, v6 offset1:1
	ds_store_b32 v0, v6 offset:34828
	s_waitcnt vmcnt(0) lgkmcnt(3)
	ds_store_b128 v9, v[65:68] offset:9216
	flat_load_b128 v[63:66], v[57:58]
	s_waitcnt vmcnt(0) lgkmcnt(0)
	ds_store_b128 v9, v[63:66] offset:13824
	s_waitcnt lgkmcnt(0)
	s_barrier
	buffer_gl0_inv
	ds_load_b128 v[6:9], v54
	ds_load_b128 v[63:66], v36 offset:26752
	ds_load_b128 v[67:70], v36 offset:27008
	;; [unrolled: 1-line block ×7, first 2 shown]
	s_waitcnt lgkmcnt(6)
	;;#ASMSTART
	v_dot2_f32_f16 v5, v6, v63, v5
	;;#ASMEND
	;;#ASMSTART
	v_dot2_f32_f16 v5, v7, v64, v5
	;;#ASMEND
	;;#ASMSTART
	v_dot2_f32_f16 v5, v8, v65, v5
	;;#ASMEND
	;;#ASMSTART
	v_dot2_f32_f16 v5, v9, v66, v5
	;;#ASMEND
	s_waitcnt lgkmcnt(5)
	;;#ASMSTART
	v_dot2_f32_f16 v62, v6, v67, v62
	;;#ASMEND
	;;#ASMSTART
	v_dot2_f32_f16 v62, v7, v68, v62
	;;#ASMEND
	;;#ASMSTART
	v_dot2_f32_f16 v62, v8, v69, v62
	;;#ASMEND
	;;#ASMSTART
	v_dot2_f32_f16 v62, v9, v70, v62
	;;#ASMEND
	s_waitcnt lgkmcnt(4)
	;;#ASMSTART
	v_dot2_f32_f16 v56, v6, v71, v56
	;;#ASMEND
	;;#ASMSTART
	v_dot2_f32_f16 v56, v7, v72, v56
	;;#ASMEND
	;;#ASMSTART
	v_dot2_f32_f16 v56, v8, v73, v56
	;;#ASMEND
	;;#ASMSTART
	v_dot2_f32_f16 v56, v9, v74, v56
	;;#ASMEND
	s_waitcnt lgkmcnt(3)
	;;#ASMSTART
	v_dot2_f32_f16 v14, v6, v75, v14
	;;#ASMEND
	;;#ASMSTART
	v_dot2_f32_f16 v14, v7, v76, v14
	;;#ASMEND
	;;#ASMSTART
	v_dot2_f32_f16 v14, v8, v77, v14
	;;#ASMEND
	;;#ASMSTART
	v_dot2_f32_f16 v14, v9, v78, v14
	;;#ASMEND
	s_waitcnt lgkmcnt(2)
	;;#ASMSTART
	v_dot2_f32_f16 v19, v79, v63, v19
	;;#ASMEND
	;;#ASMSTART
	v_dot2_f32_f16 v19, v80, v64, v19
	;;#ASMEND
	;;#ASMSTART
	v_dot2_f32_f16 v19, v81, v65, v19
	;;#ASMEND
	;;#ASMSTART
	v_dot2_f32_f16 v19, v82, v66, v19
	;;#ASMEND
	;;#ASMSTART
	v_dot2_f32_f16 v61, v79, v67, v61
	;;#ASMEND
	;;#ASMSTART
	v_dot2_f32_f16 v61, v80, v68, v61
	;;#ASMEND
	;; [unrolled: 3-line block ×12, first 2 shown]
	s_waitcnt lgkmcnt(1)
	;;#ASMSTART
	v_dot2_f32_f16 v18, v83, v63, v18
	;;#ASMEND
	;;#ASMSTART
	v_dot2_f32_f16 v18, v84, v64, v18
	;;#ASMEND
	;; [unrolled: 3-line block ×16, first 2 shown]
	s_waitcnt lgkmcnt(0)
	;;#ASMSTART
	v_dot2_f32_f16 v17, v87, v63, v17
	;;#ASMEND
	;;#ASMSTART
	v_dot2_f32_f16 v17, v88, v64, v17
	;;#ASMEND
	;; [unrolled: 3-line block ×16, first 2 shown]
	ds_load_b128 v[6:9], v54 offset:16
	ds_load_b128 v[63:66], v36 offset:26768
	;; [unrolled: 1-line block ×8, first 2 shown]
	s_waitcnt lgkmcnt(6)
	;;#ASMSTART
	v_dot2_f32_f16 v5, v6, v63, v5
	;;#ASMEND
	;;#ASMSTART
	v_dot2_f32_f16 v5, v7, v64, v5
	;;#ASMEND
	;;#ASMSTART
	v_dot2_f32_f16 v5, v8, v65, v5
	;;#ASMEND
	;;#ASMSTART
	v_dot2_f32_f16 v5, v9, v66, v5
	;;#ASMEND
	s_waitcnt lgkmcnt(5)
	;;#ASMSTART
	v_dot2_f32_f16 v62, v6, v67, v62
	;;#ASMEND
	;;#ASMSTART
	v_dot2_f32_f16 v62, v7, v68, v62
	;;#ASMEND
	;;#ASMSTART
	v_dot2_f32_f16 v62, v8, v69, v62
	;;#ASMEND
	;;#ASMSTART
	v_dot2_f32_f16 v62, v9, v70, v62
	;;#ASMEND
	;; [unrolled: 13-line block ×5, first 2 shown]
	;;#ASMSTART
	v_dot2_f32_f16 v61, v79, v67, v61
	;;#ASMEND
	;;#ASMSTART
	v_dot2_f32_f16 v61, v80, v68, v61
	;;#ASMEND
	;; [unrolled: 3-line block ×12, first 2 shown]
	s_waitcnt lgkmcnt(1)
	;;#ASMSTART
	v_dot2_f32_f16 v18, v83, v63, v18
	;;#ASMEND
	;;#ASMSTART
	v_dot2_f32_f16 v18, v84, v64, v18
	;;#ASMEND
	;; [unrolled: 3-line block ×16, first 2 shown]
	s_waitcnt lgkmcnt(0)
	;;#ASMSTART
	v_dot2_f32_f16 v17, v87, v63, v17
	;;#ASMEND
	;;#ASMSTART
	v_dot2_f32_f16 v17, v88, v64, v17
	;;#ASMEND
	;; [unrolled: 3-line block ×16, first 2 shown]
	ds_load_b128 v[6:9], v54 offset:32
	ds_load_b128 v[63:66], v36 offset:26784
	;; [unrolled: 1-line block ×8, first 2 shown]
	s_waitcnt lgkmcnt(6)
	;;#ASMSTART
	v_dot2_f32_f16 v5, v6, v63, v5
	;;#ASMEND
	;;#ASMSTART
	v_dot2_f32_f16 v5, v7, v64, v5
	;;#ASMEND
	;;#ASMSTART
	v_dot2_f32_f16 v5, v8, v65, v5
	;;#ASMEND
	;;#ASMSTART
	v_dot2_f32_f16 v5, v9, v66, v5
	;;#ASMEND
	s_waitcnt lgkmcnt(5)
	;;#ASMSTART
	v_dot2_f32_f16 v62, v6, v67, v62
	;;#ASMEND
	;;#ASMSTART
	v_dot2_f32_f16 v62, v7, v68, v62
	;;#ASMEND
	;;#ASMSTART
	v_dot2_f32_f16 v62, v8, v69, v62
	;;#ASMEND
	;;#ASMSTART
	v_dot2_f32_f16 v62, v9, v70, v62
	;;#ASMEND
	;; [unrolled: 13-line block ×5, first 2 shown]
	;;#ASMSTART
	v_dot2_f32_f16 v61, v79, v67, v61
	;;#ASMEND
	;;#ASMSTART
	v_dot2_f32_f16 v61, v80, v68, v61
	;;#ASMEND
	;; [unrolled: 3-line block ×12, first 2 shown]
	s_waitcnt lgkmcnt(1)
	;;#ASMSTART
	v_dot2_f32_f16 v18, v83, v63, v18
	;;#ASMEND
	;;#ASMSTART
	v_dot2_f32_f16 v18, v84, v64, v18
	;;#ASMEND
	;; [unrolled: 3-line block ×16, first 2 shown]
	s_waitcnt lgkmcnt(0)
	;;#ASMSTART
	v_dot2_f32_f16 v17, v87, v63, v17
	;;#ASMEND
	;;#ASMSTART
	v_dot2_f32_f16 v17, v88, v64, v17
	;;#ASMEND
	;; [unrolled: 3-line block ×16, first 2 shown]
	ds_load_b128 v[6:9], v54 offset:48
	ds_load_b128 v[63:66], v36 offset:26800
	;; [unrolled: 1-line block ×8, first 2 shown]
	s_waitcnt lgkmcnt(6)
	;;#ASMSTART
	v_dot2_f32_f16 v5, v6, v63, v5
	;;#ASMEND
	;;#ASMSTART
	v_dot2_f32_f16 v5, v7, v64, v5
	;;#ASMEND
	;;#ASMSTART
	v_dot2_f32_f16 v5, v8, v65, v5
	;;#ASMEND
	;;#ASMSTART
	v_dot2_f32_f16 v5, v9, v66, v5
	;;#ASMEND
	s_waitcnt lgkmcnt(5)
	;;#ASMSTART
	v_dot2_f32_f16 v62, v6, v67, v62
	;;#ASMEND
	;;#ASMSTART
	v_dot2_f32_f16 v62, v7, v68, v62
	;;#ASMEND
	;;#ASMSTART
	v_dot2_f32_f16 v62, v8, v69, v62
	;;#ASMEND
	;;#ASMSTART
	v_dot2_f32_f16 v62, v9, v70, v62
	;;#ASMEND
	;; [unrolled: 13-line block ×5, first 2 shown]
	;;#ASMSTART
	v_dot2_f32_f16 v61, v79, v67, v61
	;;#ASMEND
	;;#ASMSTART
	v_dot2_f32_f16 v61, v80, v68, v61
	;;#ASMEND
	;; [unrolled: 3-line block ×12, first 2 shown]
	s_waitcnt lgkmcnt(1)
	;;#ASMSTART
	v_dot2_f32_f16 v18, v83, v63, v18
	;;#ASMEND
	;;#ASMSTART
	v_dot2_f32_f16 v18, v84, v64, v18
	;;#ASMEND
	;; [unrolled: 3-line block ×16, first 2 shown]
	s_waitcnt lgkmcnt(0)
	;;#ASMSTART
	v_dot2_f32_f16 v17, v87, v63, v17
	;;#ASMEND
	;;#ASMSTART
	v_dot2_f32_f16 v17, v88, v64, v17
	;;#ASMEND
	;; [unrolled: 3-line block ×16, first 2 shown]
	ds_load_b128 v[6:9], v54 offset:64
	ds_load_b128 v[63:66], v36 offset:26816
	;; [unrolled: 1-line block ×8, first 2 shown]
	s_waitcnt lgkmcnt(6)
	;;#ASMSTART
	v_dot2_f32_f16 v5, v6, v63, v5
	;;#ASMEND
	;;#ASMSTART
	v_dot2_f32_f16 v5, v7, v64, v5
	;;#ASMEND
	;;#ASMSTART
	v_dot2_f32_f16 v5, v8, v65, v5
	;;#ASMEND
	;;#ASMSTART
	v_dot2_f32_f16 v5, v9, v66, v5
	;;#ASMEND
	s_waitcnt lgkmcnt(5)
	;;#ASMSTART
	v_dot2_f32_f16 v62, v6, v67, v62
	;;#ASMEND
	;;#ASMSTART
	v_dot2_f32_f16 v62, v7, v68, v62
	;;#ASMEND
	;;#ASMSTART
	v_dot2_f32_f16 v62, v8, v69, v62
	;;#ASMEND
	;;#ASMSTART
	v_dot2_f32_f16 v62, v9, v70, v62
	;;#ASMEND
	;; [unrolled: 13-line block ×5, first 2 shown]
	;;#ASMSTART
	v_dot2_f32_f16 v61, v79, v67, v61
	;;#ASMEND
	;;#ASMSTART
	v_dot2_f32_f16 v61, v80, v68, v61
	;;#ASMEND
	;;#ASMSTART
	v_dot2_f32_f16 v61, v81, v69, v61
	;;#ASMEND
	;;#ASMSTART
	v_dot2_f32_f16 v61, v82, v70, v61
	;;#ASMEND
	;;#ASMSTART
	v_dot2_f32_f16 v55, v79, v71, v55
	;;#ASMEND
	;;#ASMSTART
	v_dot2_f32_f16 v55, v80, v72, v55
	;;#ASMEND
	;;#ASMSTART
	v_dot2_f32_f16 v55, v81, v73, v55
	;;#ASMEND
	;;#ASMSTART
	v_dot2_f32_f16 v55, v82, v74, v55
	;;#ASMEND
	;;#ASMSTART
	v_dot2_f32_f16 v13, v79, v75, v13
	;;#ASMEND
	;;#ASMSTART
	v_dot2_f32_f16 v13, v80, v76, v13
	;;#ASMEND
	;;#ASMSTART
	v_dot2_f32_f16 v13, v81, v77, v13
	;;#ASMEND
	;;#ASMSTART
	v_dot2_f32_f16 v13, v82, v78, v13
	;;#ASMEND
	s_waitcnt lgkmcnt(1)
	;;#ASMSTART
	v_dot2_f32_f16 v18, v83, v63, v18
	;;#ASMEND
	;;#ASMSTART
	v_dot2_f32_f16 v18, v84, v64, v18
	;;#ASMEND
	;; [unrolled: 3-line block ×16, first 2 shown]
	s_waitcnt lgkmcnt(0)
	;;#ASMSTART
	v_dot2_f32_f16 v17, v87, v63, v17
	;;#ASMEND
	;;#ASMSTART
	v_dot2_f32_f16 v17, v88, v64, v17
	;;#ASMEND
	;; [unrolled: 3-line block ×16, first 2 shown]
	ds_load_b128 v[6:9], v54 offset:80
	ds_load_b128 v[63:66], v36 offset:26832
	;; [unrolled: 1-line block ×8, first 2 shown]
	s_waitcnt lgkmcnt(6)
	;;#ASMSTART
	v_dot2_f32_f16 v5, v6, v63, v5
	;;#ASMEND
	;;#ASMSTART
	v_dot2_f32_f16 v5, v7, v64, v5
	;;#ASMEND
	;;#ASMSTART
	v_dot2_f32_f16 v5, v8, v65, v5
	;;#ASMEND
	;;#ASMSTART
	v_dot2_f32_f16 v5, v9, v66, v5
	;;#ASMEND
	s_waitcnt lgkmcnt(5)
	;;#ASMSTART
	v_dot2_f32_f16 v62, v6, v67, v62
	;;#ASMEND
	;;#ASMSTART
	v_dot2_f32_f16 v62, v7, v68, v62
	;;#ASMEND
	;;#ASMSTART
	v_dot2_f32_f16 v62, v8, v69, v62
	;;#ASMEND
	;;#ASMSTART
	v_dot2_f32_f16 v62, v9, v70, v62
	;;#ASMEND
	;; [unrolled: 13-line block ×5, first 2 shown]
	;;#ASMSTART
	v_dot2_f32_f16 v61, v79, v67, v61
	;;#ASMEND
	;;#ASMSTART
	v_dot2_f32_f16 v61, v80, v68, v61
	;;#ASMEND
	;; [unrolled: 3-line block ×12, first 2 shown]
	s_waitcnt lgkmcnt(1)
	;;#ASMSTART
	v_dot2_f32_f16 v18, v83, v63, v18
	;;#ASMEND
	;;#ASMSTART
	v_dot2_f32_f16 v18, v84, v64, v18
	;;#ASMEND
	;; [unrolled: 3-line block ×16, first 2 shown]
	s_waitcnt lgkmcnt(0)
	;;#ASMSTART
	v_dot2_f32_f16 v17, v87, v63, v17
	;;#ASMEND
	;;#ASMSTART
	v_dot2_f32_f16 v17, v88, v64, v17
	;;#ASMEND
	;; [unrolled: 3-line block ×16, first 2 shown]
	ds_load_b128 v[6:9], v54 offset:96
	ds_load_b128 v[63:66], v36 offset:26848
	;; [unrolled: 1-line block ×8, first 2 shown]
	s_waitcnt lgkmcnt(6)
	;;#ASMSTART
	v_dot2_f32_f16 v5, v6, v63, v5
	;;#ASMEND
	;;#ASMSTART
	v_dot2_f32_f16 v5, v7, v64, v5
	;;#ASMEND
	;;#ASMSTART
	v_dot2_f32_f16 v5, v8, v65, v5
	;;#ASMEND
	;;#ASMSTART
	v_dot2_f32_f16 v5, v9, v66, v5
	;;#ASMEND
	s_waitcnt lgkmcnt(5)
	;;#ASMSTART
	v_dot2_f32_f16 v62, v6, v67, v62
	;;#ASMEND
	;;#ASMSTART
	v_dot2_f32_f16 v62, v7, v68, v62
	;;#ASMEND
	;;#ASMSTART
	v_dot2_f32_f16 v62, v8, v69, v62
	;;#ASMEND
	;;#ASMSTART
	v_dot2_f32_f16 v62, v9, v70, v62
	;;#ASMEND
	;; [unrolled: 13-line block ×5, first 2 shown]
	;;#ASMSTART
	v_dot2_f32_f16 v61, v79, v67, v61
	;;#ASMEND
	;;#ASMSTART
	v_dot2_f32_f16 v61, v80, v68, v61
	;;#ASMEND
	;; [unrolled: 3-line block ×12, first 2 shown]
	s_waitcnt lgkmcnt(1)
	;;#ASMSTART
	v_dot2_f32_f16 v18, v83, v63, v18
	;;#ASMEND
	;;#ASMSTART
	v_dot2_f32_f16 v18, v84, v64, v18
	;;#ASMEND
	;;#ASMSTART
	v_dot2_f32_f16 v18, v85, v65, v18
	;;#ASMEND
	;;#ASMSTART
	v_dot2_f32_f16 v18, v86, v66, v18
	;;#ASMEND
	;;#ASMSTART
	v_dot2_f32_f16 v60, v83, v67, v60
	;;#ASMEND
	;;#ASMSTART
	v_dot2_f32_f16 v60, v84, v68, v60
	;;#ASMEND
	;;#ASMSTART
	v_dot2_f32_f16 v60, v85, v69, v60
	;;#ASMEND
	;;#ASMSTART
	v_dot2_f32_f16 v60, v86, v70, v60
	;;#ASMEND
	;;#ASMSTART
	v_dot2_f32_f16 v16, v83, v71, v16
	;;#ASMEND
	;;#ASMSTART
	v_dot2_f32_f16 v16, v84, v72, v16
	;;#ASMEND
	;;#ASMSTART
	v_dot2_f32_f16 v16, v85, v73, v16
	;;#ASMEND
	;;#ASMSTART
	v_dot2_f32_f16 v16, v86, v74, v16
	;;#ASMEND
	;;#ASMSTART
	v_dot2_f32_f16 v12, v83, v75, v12
	;;#ASMEND
	;;#ASMSTART
	v_dot2_f32_f16 v12, v84, v76, v12
	;;#ASMEND
	;;#ASMSTART
	v_dot2_f32_f16 v12, v85, v77, v12
	;;#ASMEND
	;;#ASMSTART
	v_dot2_f32_f16 v12, v86, v78, v12
	;;#ASMEND
	s_waitcnt lgkmcnt(0)
	;;#ASMSTART
	v_dot2_f32_f16 v17, v87, v63, v17
	;;#ASMEND
	;;#ASMSTART
	v_dot2_f32_f16 v17, v88, v64, v17
	;;#ASMEND
	;; [unrolled: 3-line block ×16, first 2 shown]
	ds_load_b128 v[6:9], v54 offset:112
	ds_load_b128 v[63:66], v36 offset:26864
	;; [unrolled: 1-line block ×8, first 2 shown]
	s_waitcnt lgkmcnt(6)
	;;#ASMSTART
	v_dot2_f32_f16 v5, v6, v63, v5
	;;#ASMEND
	;;#ASMSTART
	v_dot2_f32_f16 v5, v7, v64, v5
	;;#ASMEND
	;;#ASMSTART
	v_dot2_f32_f16 v5, v8, v65, v5
	;;#ASMEND
	;;#ASMSTART
	v_dot2_f32_f16 v5, v9, v66, v5
	;;#ASMEND
	s_waitcnt lgkmcnt(5)
	;;#ASMSTART
	v_dot2_f32_f16 v62, v6, v67, v62
	;;#ASMEND
	;;#ASMSTART
	v_dot2_f32_f16 v62, v7, v68, v62
	;;#ASMEND
	;;#ASMSTART
	v_dot2_f32_f16 v62, v8, v69, v62
	;;#ASMEND
	;;#ASMSTART
	v_dot2_f32_f16 v62, v9, v70, v62
	;;#ASMEND
	;; [unrolled: 13-line block ×5, first 2 shown]
	;;#ASMSTART
	v_dot2_f32_f16 v61, v79, v67, v61
	;;#ASMEND
	;;#ASMSTART
	v_dot2_f32_f16 v61, v80, v68, v61
	;;#ASMEND
	;; [unrolled: 3-line block ×12, first 2 shown]
	s_waitcnt lgkmcnt(1)
	;;#ASMSTART
	v_dot2_f32_f16 v18, v83, v63, v18
	;;#ASMEND
	;;#ASMSTART
	v_dot2_f32_f16 v18, v84, v64, v18
	;;#ASMEND
	;; [unrolled: 3-line block ×16, first 2 shown]
	s_waitcnt lgkmcnt(0)
	;;#ASMSTART
	v_dot2_f32_f16 v17, v87, v63, v17
	;;#ASMEND
	;;#ASMSTART
	v_dot2_f32_f16 v17, v88, v64, v17
	;;#ASMEND
	;; [unrolled: 3-line block ×9, first 2 shown]
	v_cmp_ngt_f32_e64 s0, 0x3f200000, |v5|
	;;#ASMSTART
	v_dot2_f32_f16 v15, v88, v72, v15
	;;#ASMEND
	;;#ASMSTART
	v_dot2_f32_f16 v15, v89, v73, v15
	;;#ASMEND
	;; [unrolled: 3-line block ×7, first 2 shown]
                                        ; implicit-def: $vgpr6
	s_and_saveexec_b32 s1, s0
	s_delay_alu instid0(SALU_CYCLE_1)
	s_xor_b32 s0, exec_lo, s1
	s_cbranch_execz .LBB87_116
; %bb.115:
	v_add_f32_e64 v6, |v5|, |v5|
	s_delay_alu instid0(VALU_DEP_1) | instskip(SKIP_1) | instid1(VALU_DEP_2)
	v_mul_f32_e32 v7, 0x3fb8aa3b, v6
	v_cmp_ngt_f32_e32 vcc_lo, 0xc2ce8ed0, v6
	v_rndne_f32_e32 v8, v7
	v_fma_f32 v9, 0x3fb8aa3b, v6, -v7
	s_delay_alu instid0(VALU_DEP_2) | instskip(NEXT) | instid1(VALU_DEP_2)
	v_sub_f32_e32 v7, v7, v8
	v_fmamk_f32 v9, v6, 0x32a5705f, v9
	v_cvt_i32_f32_e32 v8, v8
	s_delay_alu instid0(VALU_DEP_2) | instskip(NEXT) | instid1(VALU_DEP_1)
	v_add_f32_e32 v7, v7, v9
	v_exp_f32_e32 v7, v7
	s_waitcnt_depctr 0xfff
	v_ldexp_f32 v7, v7, v8
	s_delay_alu instid0(VALU_DEP_1) | instskip(SKIP_1) | instid1(VALU_DEP_2)
	v_cndmask_b32_e32 v7, 0, v7, vcc_lo
	v_cmp_nlt_f32_e32 vcc_lo, 0x42b17218, v6
	v_cndmask_b32_e32 v6, 0x7f800000, v7, vcc_lo
	s_delay_alu instid0(VALU_DEP_1) | instskip(NEXT) | instid1(VALU_DEP_1)
	v_add_f32_e32 v6, 1.0, v6
	v_rcp_f32_e32 v6, v6
	s_waitcnt_depctr 0xfff
	v_fma_f32 v6, v6, -2.0, 1.0
.LBB87_116:
	s_and_not1_saveexec_b32 s0, s0
; %bb.117:
	v_mul_f32_e32 v6, v5, v5
	s_mov_b32 s1, 0xbbbac73d
	s_delay_alu instid0(VALU_DEP_1) | instid1(SALU_CYCLE_1)
	v_fmaak_f32 v7, s1, v6, 0x3ca908c9
	s_delay_alu instid0(VALU_DEP_1) | instskip(NEXT) | instid1(VALU_DEP_1)
	v_fmaak_f32 v7, v6, v7, 0xbd5c1c4e
	v_fmaak_f32 v7, v6, v7, 0x3e088382
	s_delay_alu instid0(VALU_DEP_1) | instskip(NEXT) | instid1(VALU_DEP_1)
	v_fmaak_f32 v7, v6, v7, 0xbeaaaa99
	v_mul_f32_e64 v7, |v5|, v7
	s_delay_alu instid0(VALU_DEP_1)
	v_fma_f32 v6, v6, v7, |v5|
; %bb.118:
	s_or_b32 exec_lo, exec_lo, s0
	s_delay_alu instid0(VALU_DEP_1) | instskip(SKIP_3) | instid1(VALU_DEP_2)
	v_bfi_b32 v5, 0x7fffffff, v6, v5
	s_cmp_lg_u64 s[40:41], 0
	v_mad_u64_u32 v[9:10], null, v53, s22, s[12:13]
	s_cselect_b32 s4, -1, 0
	v_dual_mul_f32 v69, s23, v5 :: v_dual_mov_b32 v8, v4
	v_cmp_gt_i32_e64 s0, s9, v34
	v_cndmask_b32_e64 v70, 0, 1, s4
	v_dual_mov_b32 v7, v3 :: v_dual_mov_b32 v6, v2
	v_mov_b32_e32 v5, v1
	s_delay_alu instid0(VALU_DEP_4)
	s_and_saveexec_b32 s1, s0
	s_cbranch_execz .LBB87_123
; %bb.119:
	s_and_not1_b32 vcc_lo, exec_lo, s4
	s_cbranch_vccnz .LBB87_121
; %bb.120:
	v_add_nc_u32_e32 v5, v9, v34
	s_delay_alu instid0(VALU_DEP_1) | instskip(NEXT) | instid1(VALU_DEP_1)
	v_ashrrev_i32_e32 v6, 31, v5
	v_lshlrev_b64 v[5:6], 1, v[5:6]
	s_delay_alu instid0(VALU_DEP_1) | instskip(NEXT) | instid1(VALU_DEP_2)
	v_add_co_u32 v5, vcc_lo, s40, v5
	v_add_co_ci_u32_e32 v6, vcc_lo, s41, v6, vcc_lo
	flat_load_u16 v5, v[5:6]
	s_waitcnt vmcnt(0) lgkmcnt(0)
	v_cvt_f32_f16_e32 v5, v5
	s_delay_alu instid0(VALU_DEP_1)
	v_mul_f32_e32 v5, v43, v5
	s_branch .LBB87_122
.LBB87_121:
	v_mov_b32_e32 v5, 0
.LBB87_122:
	s_delay_alu instid0(VALU_DEP_1) | instskip(SKIP_1) | instid1(VALU_DEP_2)
	v_add_f32_e32 v69, v69, v5
	v_max_f32_e32 v6, v1, v1
	v_add_f32_e32 v5, 0x40051340, v69
	s_delay_alu instid0(VALU_DEP_1) | instskip(SKIP_2) | instid1(VALU_DEP_3)
	v_max_f32_e32 v10, v6, v5
	v_dual_mov_b32 v8, v4 :: v_dual_mov_b32 v5, v1
	v_dual_mov_b32 v7, v3 :: v_dual_mov_b32 v6, v2
	v_mov_b32_e32 v5, v10
.LBB87_123:
	s_or_b32 exec_lo, exec_lo, s1
	v_cmp_ngt_f32_e64 s1, 0x3f200000, |v19|
                                        ; implicit-def: $vgpr10
	s_delay_alu instid0(VALU_DEP_1) | instskip(NEXT) | instid1(SALU_CYCLE_1)
	s_and_saveexec_b32 s4, s1
	s_xor_b32 s1, exec_lo, s4
	s_cbranch_execz .LBB87_125
; %bb.124:
	v_add_f32_e64 v10, |v19|, |v19|
	s_delay_alu instid0(VALU_DEP_1) | instskip(SKIP_1) | instid1(VALU_DEP_2)
	v_mul_f32_e32 v20, 0x3fb8aa3b, v10
	v_cmp_ngt_f32_e32 vcc_lo, 0xc2ce8ed0, v10
	v_rndne_f32_e32 v53, v20
	v_fma_f32 v54, 0x3fb8aa3b, v10, -v20
	s_delay_alu instid0(VALU_DEP_2) | instskip(NEXT) | instid1(VALU_DEP_2)
	v_sub_f32_e32 v20, v20, v53
	v_fmamk_f32 v54, v10, 0x32a5705f, v54
	v_cvt_i32_f32_e32 v53, v53
	s_delay_alu instid0(VALU_DEP_2) | instskip(NEXT) | instid1(VALU_DEP_1)
	v_add_f32_e32 v20, v20, v54
	v_exp_f32_e32 v20, v20
	s_waitcnt_depctr 0xfff
	v_ldexp_f32 v20, v20, v53
	s_delay_alu instid0(VALU_DEP_1) | instskip(SKIP_1) | instid1(VALU_DEP_2)
	v_cndmask_b32_e32 v20, 0, v20, vcc_lo
	v_cmp_nlt_f32_e32 vcc_lo, 0x42b17218, v10
	v_cndmask_b32_e32 v10, 0x7f800000, v20, vcc_lo
	s_delay_alu instid0(VALU_DEP_1) | instskip(NEXT) | instid1(VALU_DEP_1)
	v_add_f32_e32 v10, 1.0, v10
	v_rcp_f32_e32 v10, v10
	s_waitcnt_depctr 0xfff
	v_fma_f32 v10, v10, -2.0, 1.0
.LBB87_125:
	s_and_not1_saveexec_b32 s1, s1
; %bb.126:
	v_mul_f32_e32 v10, v19, v19
	s_mov_b32 s4, 0xbbbac73d
	s_delay_alu instid0(VALU_DEP_1) | instid1(SALU_CYCLE_1)
	v_fmaak_f32 v20, s4, v10, 0x3ca908c9
	s_delay_alu instid0(VALU_DEP_1) | instskip(NEXT) | instid1(VALU_DEP_1)
	v_fmaak_f32 v20, v10, v20, 0xbd5c1c4e
	v_fmaak_f32 v20, v10, v20, 0x3e088382
	s_delay_alu instid0(VALU_DEP_1) | instskip(NEXT) | instid1(VALU_DEP_1)
	v_fmaak_f32 v20, v10, v20, 0xbeaaaa99
	v_mul_f32_e64 v20, |v19|, v20
	s_delay_alu instid0(VALU_DEP_1)
	v_fma_f32 v10, v10, v20, |v19|
; %bb.127:
	s_or_b32 exec_lo, exec_lo, s1
	s_delay_alu instid0(VALU_DEP_1) | instskip(SKIP_1) | instid1(VALU_DEP_2)
	v_bfi_b32 v10, 0x7fffffff, v10, v19
	v_add_nc_u32_e32 v63, 32, v34
	v_mul_f32_e32 v53, s23, v10
	s_delay_alu instid0(VALU_DEP_2) | instskip(NEXT) | instid1(VALU_DEP_1)
	v_cmp_gt_i32_e64 s1, s9, v63
	s_and_saveexec_b32 s4, s1
	s_cbranch_execz .LBB87_132
; %bb.128:
	v_cmp_ne_u32_e32 vcc_lo, 1, v70
	s_cbranch_vccnz .LBB87_130
; %bb.129:
	v_ashrrev_i32_e32 v10, 31, v9
	v_add_co_u32 v19, vcc_lo, v9, v34
	s_delay_alu instid0(VALU_DEP_2) | instskip(NEXT) | instid1(VALU_DEP_1)
	v_add_co_ci_u32_e32 v20, vcc_lo, 0, v10, vcc_lo
	v_lshlrev_b64 v[19:20], 1, v[19:20]
	s_delay_alu instid0(VALU_DEP_1) | instskip(NEXT) | instid1(VALU_DEP_2)
	v_add_co_u32 v19, vcc_lo, s40, v19
	v_add_co_ci_u32_e32 v20, vcc_lo, s41, v20, vcc_lo
	flat_load_u16 v10, v[19:20] offset:64
	s_waitcnt vmcnt(0) lgkmcnt(0)
	v_cvt_f32_f16_e32 v10, v10
	s_delay_alu instid0(VALU_DEP_1)
	v_mul_f32_e32 v10, v43, v10
	s_branch .LBB87_131
.LBB87_130:
	v_mov_b32_e32 v10, 0
.LBB87_131:
	s_delay_alu instid0(VALU_DEP_1) | instskip(SKIP_1) | instid1(VALU_DEP_2)
	v_add_f32_e32 v53, v53, v10
	v_max_f32_e32 v5, v5, v5
	v_add_f32_e32 v10, 0x40051340, v53
	s_delay_alu instid0(VALU_DEP_1)
	v_max_f32_e32 v5, v5, v10
.LBB87_132:
	s_or_b32 exec_lo, exec_lo, s4
	v_cmp_ngt_f32_e64 s4, 0x3f200000, |v18|
                                        ; implicit-def: $vgpr10
	s_delay_alu instid0(VALU_DEP_1) | instskip(NEXT) | instid1(SALU_CYCLE_1)
	s_and_saveexec_b32 s5, s4
	s_xor_b32 s4, exec_lo, s5
	s_cbranch_execz .LBB87_134
; %bb.133:
	v_add_f32_e64 v10, |v18|, |v18|
	s_delay_alu instid0(VALU_DEP_1) | instskip(SKIP_1) | instid1(VALU_DEP_2)
	v_mul_f32_e32 v19, 0x3fb8aa3b, v10
	v_cmp_ngt_f32_e32 vcc_lo, 0xc2ce8ed0, v10
	v_rndne_f32_e32 v20, v19
	v_fma_f32 v54, 0x3fb8aa3b, v10, -v19
	s_delay_alu instid0(VALU_DEP_1) | instskip(SKIP_1) | instid1(VALU_DEP_2)
	v_dual_sub_f32 v19, v19, v20 :: v_dual_fmamk_f32 v54, v10, 0x32a5705f, v54
	v_cvt_i32_f32_e32 v20, v20
	v_add_f32_e32 v19, v19, v54
	s_delay_alu instid0(VALU_DEP_1) | instskip(SKIP_2) | instid1(VALU_DEP_1)
	v_exp_f32_e32 v19, v19
	s_waitcnt_depctr 0xfff
	v_ldexp_f32 v19, v19, v20
	v_cndmask_b32_e32 v19, 0, v19, vcc_lo
	v_cmp_nlt_f32_e32 vcc_lo, 0x42b17218, v10
	s_delay_alu instid0(VALU_DEP_2) | instskip(NEXT) | instid1(VALU_DEP_1)
	v_cndmask_b32_e32 v10, 0x7f800000, v19, vcc_lo
	v_add_f32_e32 v10, 1.0, v10
	s_delay_alu instid0(VALU_DEP_1)
	v_rcp_f32_e32 v10, v10
	s_waitcnt_depctr 0xfff
	v_fma_f32 v10, v10, -2.0, 1.0
.LBB87_134:
	s_and_not1_saveexec_b32 s4, s4
; %bb.135:
	v_mul_f32_e32 v10, v18, v18
	s_mov_b32 s5, 0xbbbac73d
	s_delay_alu instid0(VALU_DEP_1) | instid1(SALU_CYCLE_1)
	v_fmaak_f32 v19, s5, v10, 0x3ca908c9
	s_delay_alu instid0(VALU_DEP_1) | instskip(NEXT) | instid1(VALU_DEP_1)
	v_fmaak_f32 v19, v10, v19, 0xbd5c1c4e
	v_fmaak_f32 v19, v10, v19, 0x3e088382
	s_delay_alu instid0(VALU_DEP_1) | instskip(NEXT) | instid1(VALU_DEP_1)
	v_fmaak_f32 v19, v10, v19, 0xbeaaaa99
	v_mul_f32_e64 v19, |v18|, v19
	s_delay_alu instid0(VALU_DEP_1)
	v_fma_f32 v10, v10, v19, |v18|
; %bb.136:
	s_or_b32 exec_lo, exec_lo, s4
	s_delay_alu instid0(VALU_DEP_1) | instskip(SKIP_1) | instid1(VALU_DEP_2)
	v_bfi_b32 v10, 0x7fffffff, v10, v18
	v_add_nc_u32_e32 v64, 64, v34
	v_mul_f32_e32 v65, s23, v10
	s_delay_alu instid0(VALU_DEP_2) | instskip(NEXT) | instid1(VALU_DEP_1)
	v_cmp_gt_i32_e64 s4, s9, v64
	s_and_saveexec_b32 s5, s4
	s_cbranch_execz .LBB87_141
; %bb.137:
	v_cmp_ne_u32_e32 vcc_lo, 1, v70
	s_cbranch_vccnz .LBB87_139
; %bb.138:
	v_ashrrev_i32_e32 v10, 31, v9
	v_add_co_u32 v18, vcc_lo, v9, v34
	s_delay_alu instid0(VALU_DEP_2) | instskip(NEXT) | instid1(VALU_DEP_1)
	v_add_co_ci_u32_e32 v19, vcc_lo, 0, v10, vcc_lo
	v_lshlrev_b64 v[18:19], 1, v[18:19]
	s_delay_alu instid0(VALU_DEP_1) | instskip(NEXT) | instid1(VALU_DEP_2)
	v_add_co_u32 v18, vcc_lo, s40, v18
	v_add_co_ci_u32_e32 v19, vcc_lo, s41, v19, vcc_lo
	flat_load_u16 v10, v[18:19] offset:128
	s_waitcnt vmcnt(0) lgkmcnt(0)
	v_cvt_f32_f16_e32 v10, v10
	s_delay_alu instid0(VALU_DEP_1)
	v_mul_f32_e32 v10, v43, v10
	s_branch .LBB87_140
.LBB87_139:
	v_mov_b32_e32 v10, 0
.LBB87_140:
	s_delay_alu instid0(VALU_DEP_1) | instskip(SKIP_1) | instid1(VALU_DEP_2)
	v_add_f32_e32 v65, v65, v10
	v_max_f32_e32 v5, v5, v5
	v_add_f32_e32 v10, 0x40051340, v65
	s_delay_alu instid0(VALU_DEP_1)
	v_max_f32_e32 v5, v5, v10
.LBB87_141:
	s_or_b32 exec_lo, exec_lo, s5
	v_cmp_ngt_f32_e64 s5, 0x3f200000, |v17|
                                        ; implicit-def: $vgpr10
	s_delay_alu instid0(VALU_DEP_1) | instskip(NEXT) | instid1(SALU_CYCLE_1)
	s_and_saveexec_b32 s6, s5
	s_xor_b32 s5, exec_lo, s6
	s_cbranch_execz .LBB87_143
; %bb.142:
	v_add_f32_e64 v10, |v17|, |v17|
	s_delay_alu instid0(VALU_DEP_1) | instskip(SKIP_1) | instid1(VALU_DEP_2)
	v_mul_f32_e32 v18, 0x3fb8aa3b, v10
	v_cmp_ngt_f32_e32 vcc_lo, 0xc2ce8ed0, v10
	v_rndne_f32_e32 v19, v18
	v_fma_f32 v20, 0x3fb8aa3b, v10, -v18
	s_delay_alu instid0(VALU_DEP_2) | instskip(NEXT) | instid1(VALU_DEP_2)
	v_sub_f32_e32 v18, v18, v19
	v_fmamk_f32 v20, v10, 0x32a5705f, v20
	v_cvt_i32_f32_e32 v19, v19
	s_delay_alu instid0(VALU_DEP_2) | instskip(NEXT) | instid1(VALU_DEP_1)
	v_add_f32_e32 v18, v18, v20
	v_exp_f32_e32 v18, v18
	s_waitcnt_depctr 0xfff
	v_ldexp_f32 v18, v18, v19
	s_delay_alu instid0(VALU_DEP_1) | instskip(SKIP_1) | instid1(VALU_DEP_2)
	v_cndmask_b32_e32 v18, 0, v18, vcc_lo
	v_cmp_nlt_f32_e32 vcc_lo, 0x42b17218, v10
	v_cndmask_b32_e32 v10, 0x7f800000, v18, vcc_lo
	s_delay_alu instid0(VALU_DEP_1) | instskip(NEXT) | instid1(VALU_DEP_1)
	v_add_f32_e32 v10, 1.0, v10
	v_rcp_f32_e32 v10, v10
	s_waitcnt_depctr 0xfff
	v_fma_f32 v10, v10, -2.0, 1.0
.LBB87_143:
	s_and_not1_saveexec_b32 s5, s5
; %bb.144:
	v_mul_f32_e32 v10, v17, v17
	s_mov_b32 s6, 0xbbbac73d
	s_delay_alu instid0(VALU_DEP_1) | instid1(SALU_CYCLE_1)
	v_fmaak_f32 v18, s6, v10, 0x3ca908c9
	s_delay_alu instid0(VALU_DEP_1) | instskip(NEXT) | instid1(VALU_DEP_1)
	v_fmaak_f32 v18, v10, v18, 0xbd5c1c4e
	v_fmaak_f32 v18, v10, v18, 0x3e088382
	s_delay_alu instid0(VALU_DEP_1) | instskip(NEXT) | instid1(VALU_DEP_1)
	v_fmaak_f32 v18, v10, v18, 0xbeaaaa99
	v_mul_f32_e64 v18, |v17|, v18
	s_delay_alu instid0(VALU_DEP_1)
	v_fma_f32 v10, v10, v18, |v17|
; %bb.145:
	s_or_b32 exec_lo, exec_lo, s5
	s_delay_alu instid0(VALU_DEP_1) | instskip(SKIP_1) | instid1(VALU_DEP_2)
	v_bfi_b32 v10, 0x7fffffff, v10, v17
	v_add_nc_u32_e32 v67, 0x60, v34
	v_mul_f32_e32 v66, s23, v10
	s_delay_alu instid0(VALU_DEP_2) | instskip(NEXT) | instid1(VALU_DEP_1)
	v_cmp_gt_i32_e64 s5, s9, v67
	s_and_saveexec_b32 s6, s5
	s_cbranch_execz .LBB87_150
; %bb.146:
	v_cmp_ne_u32_e32 vcc_lo, 1, v70
	s_cbranch_vccnz .LBB87_148
; %bb.147:
	v_ashrrev_i32_e32 v10, 31, v9
	v_add_co_u32 v9, vcc_lo, v9, v34
	s_delay_alu instid0(VALU_DEP_2) | instskip(NEXT) | instid1(VALU_DEP_1)
	v_add_co_ci_u32_e32 v10, vcc_lo, 0, v10, vcc_lo
	v_lshlrev_b64 v[9:10], 1, v[9:10]
	s_delay_alu instid0(VALU_DEP_1) | instskip(NEXT) | instid1(VALU_DEP_2)
	v_add_co_u32 v9, vcc_lo, s40, v9
	v_add_co_ci_u32_e32 v10, vcc_lo, s41, v10, vcc_lo
	flat_load_u16 v9, v[9:10] offset:192
	s_waitcnt vmcnt(0) lgkmcnt(0)
	v_cvt_f32_f16_e32 v9, v9
	s_delay_alu instid0(VALU_DEP_1)
	v_mul_f32_e32 v9, v43, v9
	s_branch .LBB87_149
.LBB87_148:
	v_mov_b32_e32 v9, 0
.LBB87_149:
	s_delay_alu instid0(VALU_DEP_1) | instskip(SKIP_1) | instid1(VALU_DEP_2)
	v_add_f32_e32 v66, v66, v9
	v_max_f32_e32 v5, v5, v5
	v_add_f32_e32 v9, 0x40051340, v66
	s_delay_alu instid0(VALU_DEP_1)
	v_max_f32_e32 v5, v5, v9
.LBB87_150:
	s_or_b32 exec_lo, exec_lo, s6
	v_xor_b32_e32 v58, 16, v35
	v_xor_b32_e32 v57, 8, v35
	;; [unrolled: 1-line block ×5, first 2 shown]
	v_cmp_gt_i32_e32 vcc_lo, 32, v58
	v_cmp_ngt_f32_e64 s6, 0x3f200000, |v62|
	v_mov_b32_e32 v17, 32
	v_cndmask_b32_e32 v9, v35, v58, vcc_lo
	v_cmp_gt_i32_e32 vcc_lo, 32, v57
	v_cndmask_b32_e32 v10, v35, v57, vcc_lo
	v_cmp_gt_i32_e32 vcc_lo, 32, v20
	s_delay_alu instid0(VALU_DEP_4) | instskip(NEXT) | instid1(VALU_DEP_3)
	v_lshlrev_b32_e32 v71, 2, v9
	v_lshlrev_b32_e32 v72, 2, v10
	v_cndmask_b32_e32 v10, v35, v20, vcc_lo
	ds_bpermute_b32 v9, v71, v5
	v_cmp_gt_i32_e32 vcc_lo, 32, v19
	v_dual_cndmask_b32 v10, v35, v19 :: v_dual_lshlrev_b32 v73, 2, v10
	v_max_f32_e32 v5, v5, v5
	v_cmp_gt_i32_e32 vcc_lo, 32, v18
	s_delay_alu instid0(VALU_DEP_3) | instskip(SKIP_1) | instid1(VALU_DEP_1)
	v_lshlrev_b32_e32 v74, 2, v10
	v_cndmask_b32_e32 v10, v35, v18, vcc_lo
	v_lshlrev_b32_e32 v75, 2, v10
                                        ; implicit-def: $vgpr10
	s_waitcnt lgkmcnt(0)
	v_max_f32_e32 v9, v9, v9
	s_delay_alu instid0(VALU_DEP_1) | instskip(SKIP_3) | instid1(VALU_DEP_1)
	v_max_f32_e32 v5, v5, v9
	ds_bpermute_b32 v9, v72, v5
	s_waitcnt lgkmcnt(0)
	v_max_f32_e32 v9, v9, v9
	v_max_f32_e32 v5, v5, v9
	ds_bpermute_b32 v9, v73, v5
	s_waitcnt lgkmcnt(0)
	v_max_f32_e32 v9, v9, v9
	s_delay_alu instid0(VALU_DEP_1) | instskip(SKIP_3) | instid1(VALU_DEP_1)
	v_max_f32_e32 v5, v5, v9
	ds_bpermute_b32 v9, v74, v5
	s_waitcnt lgkmcnt(0)
	v_max_f32_e32 v9, v9, v9
	v_max_f32_e32 v5, v5, v9
	ds_bpermute_b32 v9, v75, v5
	s_and_saveexec_b32 s7, s6
	s_delay_alu instid0(SALU_CYCLE_1)
	s_xor_b32 s6, exec_lo, s7
	s_cbranch_execz .LBB87_152
; %bb.151:
	v_add_f32_e64 v10, |v62|, |v62|
	s_delay_alu instid0(VALU_DEP_1) | instskip(SKIP_1) | instid1(VALU_DEP_2)
	v_mul_f32_e32 v54, 0x3fb8aa3b, v10
	v_cmp_ngt_f32_e32 vcc_lo, 0xc2ce8ed0, v10
	v_rndne_f32_e32 v68, v54
	v_fma_f32 v76, 0x3fb8aa3b, v10, -v54
	s_delay_alu instid0(VALU_DEP_2) | instskip(NEXT) | instid1(VALU_DEP_2)
	v_sub_f32_e32 v54, v54, v68
	v_fmamk_f32 v76, v10, 0x32a5705f, v76
	v_cvt_i32_f32_e32 v68, v68
	s_delay_alu instid0(VALU_DEP_2) | instskip(NEXT) | instid1(VALU_DEP_1)
	v_add_f32_e32 v54, v54, v76
	v_exp_f32_e32 v54, v54
	s_waitcnt_depctr 0xfff
	v_ldexp_f32 v54, v54, v68
	s_delay_alu instid0(VALU_DEP_1) | instskip(SKIP_1) | instid1(VALU_DEP_2)
	v_cndmask_b32_e32 v54, 0, v54, vcc_lo
	v_cmp_nlt_f32_e32 vcc_lo, 0x42b17218, v10
	v_cndmask_b32_e32 v10, 0x7f800000, v54, vcc_lo
	s_delay_alu instid0(VALU_DEP_1) | instskip(NEXT) | instid1(VALU_DEP_1)
	v_add_f32_e32 v10, 1.0, v10
	v_rcp_f32_e32 v10, v10
	s_waitcnt_depctr 0xfff
	v_fma_f32 v10, v10, -2.0, 1.0
.LBB87_152:
	s_and_not1_saveexec_b32 s6, s6
; %bb.153:
	v_mul_f32_e32 v10, v62, v62
	s_mov_b32 s7, 0xbbbac73d
	s_delay_alu instid0(VALU_DEP_1) | instid1(SALU_CYCLE_1)
	v_fmaak_f32 v54, s7, v10, 0x3ca908c9
	s_delay_alu instid0(VALU_DEP_1) | instskip(NEXT) | instid1(VALU_DEP_1)
	v_fmaak_f32 v54, v10, v54, 0xbd5c1c4e
	v_fmaak_f32 v54, v10, v54, 0x3e088382
	s_delay_alu instid0(VALU_DEP_1) | instskip(NEXT) | instid1(VALU_DEP_1)
	v_fmaak_f32 v54, v10, v54, 0xbeaaaa99
	v_mul_f32_e64 v54, |v62|, v54
	s_delay_alu instid0(VALU_DEP_1)
	v_fma_f32 v10, v10, v54, |v62|
; %bb.154:
	s_or_b32 exec_lo, exec_lo, s6
	v_mul_hi_u32 v54, s36, v52
	s_delay_alu instid0(VALU_DEP_2) | instskip(NEXT) | instid1(VALU_DEP_2)
	v_bfi_b32 v62, 0x7fffffff, v10, v62
	v_dual_max_f32 v5, v5, v5 :: v_dual_add_nc_u32 v54, v52, v54
	s_delay_alu instid0(VALU_DEP_1) | instskip(NEXT) | instid1(VALU_DEP_1)
	v_lshrrev_b32_e32 v54, s37, v54
	v_mul_lo_u32 v54, v54, s38
	s_delay_alu instid0(VALU_DEP_1) | instskip(SKIP_2) | instid1(VALU_DEP_2)
	v_sub_nc_u32_e32 v52, v52, v54
	s_waitcnt lgkmcnt(0)
	v_max_f32_e32 v54, v9, v9
	v_mad_u64_u32 v[9:10], null, v52, s22, s[12:13]
	s_delay_alu instid0(VALU_DEP_2)
	v_max_f32_e32 v5, v5, v54
	v_mul_f32_e32 v52, s23, v62
	s_and_saveexec_b32 s6, s0
	s_cbranch_execz .LBB87_159
; %bb.155:
	v_cmp_ne_u32_e32 vcc_lo, 1, v70
	s_cbranch_vccnz .LBB87_157
; %bb.156:
	s_delay_alu instid0(VALU_DEP_4) | instskip(NEXT) | instid1(VALU_DEP_1)
	v_add_nc_u32_e32 v76, v9, v34
	v_ashrrev_i32_e32 v77, 31, v76
	s_delay_alu instid0(VALU_DEP_1) | instskip(NEXT) | instid1(VALU_DEP_1)
	v_lshlrev_b64 v[76:77], 1, v[76:77]
	v_add_co_u32 v76, vcc_lo, s40, v76
	s_delay_alu instid0(VALU_DEP_2) | instskip(SKIP_3) | instid1(VALU_DEP_1)
	v_add_co_ci_u32_e32 v77, vcc_lo, s41, v77, vcc_lo
	flat_load_u16 v10, v[76:77]
	s_waitcnt vmcnt(0) lgkmcnt(0)
	v_cvt_f32_f16_e32 v10, v10
	v_mul_f32_e32 v10, v43, v10
	s_branch .LBB87_158
.LBB87_157:
	v_mov_b32_e32 v10, 0
.LBB87_158:
	s_delay_alu instid0(VALU_DEP_1) | instskip(SKIP_1) | instid1(VALU_DEP_2)
	v_add_f32_e32 v52, v52, v10
	v_max_f32_e32 v6, v6, v6
	v_add_f32_e32 v10, 0x40051340, v52
	s_delay_alu instid0(VALU_DEP_1)
	v_max_f32_e32 v6, v6, v10
.LBB87_159:
	s_or_b32 exec_lo, exec_lo, s6
	v_cmp_ngt_f32_e64 s6, 0x3f200000, |v61|
                                        ; implicit-def: $vgpr10
	s_delay_alu instid0(VALU_DEP_1) | instskip(NEXT) | instid1(SALU_CYCLE_1)
	s_and_saveexec_b32 s7, s6
	s_xor_b32 s6, exec_lo, s7
	s_cbranch_execz .LBB87_161
; %bb.160:
	v_add_f32_e64 v10, |v61|, |v61|
	s_delay_alu instid0(VALU_DEP_1) | instskip(SKIP_1) | instid1(VALU_DEP_2)
	v_mul_f32_e32 v54, 0x3fb8aa3b, v10
	v_cmp_ngt_f32_e32 vcc_lo, 0xc2ce8ed0, v10
	v_rndne_f32_e32 v62, v54
	v_fma_f32 v68, 0x3fb8aa3b, v10, -v54
	s_delay_alu instid0(VALU_DEP_2) | instskip(NEXT) | instid1(VALU_DEP_2)
	v_sub_f32_e32 v54, v54, v62
	v_fmamk_f32 v68, v10, 0x32a5705f, v68
	v_cvt_i32_f32_e32 v62, v62
	s_delay_alu instid0(VALU_DEP_2) | instskip(NEXT) | instid1(VALU_DEP_1)
	v_add_f32_e32 v54, v54, v68
	v_exp_f32_e32 v54, v54
	s_waitcnt_depctr 0xfff
	v_ldexp_f32 v54, v54, v62
	s_delay_alu instid0(VALU_DEP_1) | instskip(SKIP_1) | instid1(VALU_DEP_2)
	v_cndmask_b32_e32 v54, 0, v54, vcc_lo
	v_cmp_nlt_f32_e32 vcc_lo, 0x42b17218, v10
	v_cndmask_b32_e32 v10, 0x7f800000, v54, vcc_lo
	s_delay_alu instid0(VALU_DEP_1) | instskip(NEXT) | instid1(VALU_DEP_1)
	v_add_f32_e32 v10, 1.0, v10
	v_rcp_f32_e32 v10, v10
	s_waitcnt_depctr 0xfff
	v_fma_f32 v10, v10, -2.0, 1.0
.LBB87_161:
	s_and_not1_saveexec_b32 s6, s6
; %bb.162:
	v_mul_f32_e32 v10, v61, v61
	s_mov_b32 s7, 0xbbbac73d
	s_delay_alu instid0(VALU_DEP_1) | instid1(SALU_CYCLE_1)
	v_fmaak_f32 v54, s7, v10, 0x3ca908c9
	s_delay_alu instid0(VALU_DEP_1) | instskip(NEXT) | instid1(VALU_DEP_1)
	v_fmaak_f32 v54, v10, v54, 0xbd5c1c4e
	v_fmaak_f32 v54, v10, v54, 0x3e088382
	s_delay_alu instid0(VALU_DEP_1) | instskip(NEXT) | instid1(VALU_DEP_1)
	v_fmaak_f32 v54, v10, v54, 0xbeaaaa99
	v_mul_f32_e64 v54, |v61|, v54
	s_delay_alu instid0(VALU_DEP_1)
	v_fma_f32 v10, v10, v54, |v61|
; %bb.163:
	s_or_b32 exec_lo, exec_lo, s6
	s_delay_alu instid0(VALU_DEP_1) | instskip(NEXT) | instid1(VALU_DEP_1)
	v_bfi_b32 v10, 0x7fffffff, v10, v61
	v_mul_f32_e32 v54, s23, v10
	s_and_saveexec_b32 s6, s1
	s_cbranch_execz .LBB87_168
; %bb.164:
	v_cmp_ne_u32_e32 vcc_lo, 1, v70
	s_cbranch_vccnz .LBB87_166
; %bb.165:
	v_ashrrev_i32_e32 v10, 31, v9
	v_add_co_u32 v61, vcc_lo, v9, v34
	s_delay_alu instid0(VALU_DEP_2) | instskip(NEXT) | instid1(VALU_DEP_1)
	v_add_co_ci_u32_e32 v62, vcc_lo, 0, v10, vcc_lo
	v_lshlrev_b64 v[61:62], 1, v[61:62]
	s_delay_alu instid0(VALU_DEP_1) | instskip(NEXT) | instid1(VALU_DEP_2)
	v_add_co_u32 v61, vcc_lo, s40, v61
	v_add_co_ci_u32_e32 v62, vcc_lo, s41, v62, vcc_lo
	flat_load_u16 v10, v[61:62] offset:64
	s_waitcnt vmcnt(0) lgkmcnt(0)
	v_cvt_f32_f16_e32 v10, v10
	s_delay_alu instid0(VALU_DEP_1)
	v_mul_f32_e32 v10, v43, v10
	s_branch .LBB87_167
.LBB87_166:
	v_mov_b32_e32 v10, 0
.LBB87_167:
	s_delay_alu instid0(VALU_DEP_1) | instskip(SKIP_1) | instid1(VALU_DEP_2)
	v_add_f32_e32 v54, v54, v10
	v_max_f32_e32 v6, v6, v6
	v_add_f32_e32 v10, 0x40051340, v54
	s_delay_alu instid0(VALU_DEP_1)
	v_max_f32_e32 v6, v6, v10
.LBB87_168:
	s_or_b32 exec_lo, exec_lo, s6
	v_cmp_ngt_f32_e64 s6, 0x3f200000, |v60|
                                        ; implicit-def: $vgpr10
	s_delay_alu instid0(VALU_DEP_1) | instskip(NEXT) | instid1(SALU_CYCLE_1)
	s_and_saveexec_b32 s7, s6
	s_xor_b32 s6, exec_lo, s7
	s_cbranch_execz .LBB87_170
; %bb.169:
	v_add_f32_e64 v10, |v60|, |v60|
	s_delay_alu instid0(VALU_DEP_1) | instskip(SKIP_1) | instid1(VALU_DEP_2)
	v_mul_f32_e32 v61, 0x3fb8aa3b, v10
	v_cmp_ngt_f32_e32 vcc_lo, 0xc2ce8ed0, v10
	v_rndne_f32_e32 v62, v61
	v_fma_f32 v68, 0x3fb8aa3b, v10, -v61
	s_delay_alu instid0(VALU_DEP_1) | instskip(SKIP_1) | instid1(VALU_DEP_2)
	v_dual_sub_f32 v61, v61, v62 :: v_dual_fmamk_f32 v68, v10, 0x32a5705f, v68
	v_cvt_i32_f32_e32 v62, v62
	v_add_f32_e32 v61, v61, v68
	s_delay_alu instid0(VALU_DEP_1) | instskip(SKIP_2) | instid1(VALU_DEP_1)
	v_exp_f32_e32 v61, v61
	s_waitcnt_depctr 0xfff
	v_ldexp_f32 v61, v61, v62
	v_cndmask_b32_e32 v61, 0, v61, vcc_lo
	v_cmp_nlt_f32_e32 vcc_lo, 0x42b17218, v10
	s_delay_alu instid0(VALU_DEP_2) | instskip(NEXT) | instid1(VALU_DEP_1)
	v_cndmask_b32_e32 v10, 0x7f800000, v61, vcc_lo
	v_add_f32_e32 v10, 1.0, v10
	s_delay_alu instid0(VALU_DEP_1)
	v_rcp_f32_e32 v10, v10
	s_waitcnt_depctr 0xfff
	v_fma_f32 v10, v10, -2.0, 1.0
.LBB87_170:
	s_and_not1_saveexec_b32 s6, s6
; %bb.171:
	v_mul_f32_e32 v10, v60, v60
	s_mov_b32 s7, 0xbbbac73d
	s_delay_alu instid0(VALU_DEP_1) | instid1(SALU_CYCLE_1)
	v_fmaak_f32 v61, s7, v10, 0x3ca908c9
	s_delay_alu instid0(VALU_DEP_1) | instskip(NEXT) | instid1(VALU_DEP_1)
	v_fmaak_f32 v61, v10, v61, 0xbd5c1c4e
	v_fmaak_f32 v61, v10, v61, 0x3e088382
	s_delay_alu instid0(VALU_DEP_1) | instskip(NEXT) | instid1(VALU_DEP_1)
	v_fmaak_f32 v61, v10, v61, 0xbeaaaa99
	v_mul_f32_e64 v61, |v60|, v61
	s_delay_alu instid0(VALU_DEP_1)
	v_fma_f32 v10, v10, v61, |v60|
; %bb.172:
	s_or_b32 exec_lo, exec_lo, s6
	s_delay_alu instid0(VALU_DEP_1) | instskip(NEXT) | instid1(VALU_DEP_1)
	v_bfi_b32 v10, 0x7fffffff, v10, v60
	v_mul_f32_e32 v60, s23, v10
	s_and_saveexec_b32 s6, s4
	s_cbranch_execz .LBB87_177
; %bb.173:
	v_cmp_ne_u32_e32 vcc_lo, 1, v70
	s_cbranch_vccnz .LBB87_175
; %bb.174:
	v_ashrrev_i32_e32 v10, 31, v9
	v_add_co_u32 v61, vcc_lo, v9, v34
	s_delay_alu instid0(VALU_DEP_2) | instskip(NEXT) | instid1(VALU_DEP_1)
	v_add_co_ci_u32_e32 v62, vcc_lo, 0, v10, vcc_lo
	v_lshlrev_b64 v[61:62], 1, v[61:62]
	s_delay_alu instid0(VALU_DEP_1) | instskip(NEXT) | instid1(VALU_DEP_2)
	v_add_co_u32 v61, vcc_lo, s40, v61
	v_add_co_ci_u32_e32 v62, vcc_lo, s41, v62, vcc_lo
	flat_load_u16 v10, v[61:62] offset:128
	s_waitcnt vmcnt(0) lgkmcnt(0)
	v_cvt_f32_f16_e32 v10, v10
	s_delay_alu instid0(VALU_DEP_1)
	v_mul_f32_e32 v10, v43, v10
	s_branch .LBB87_176
.LBB87_175:
	v_mov_b32_e32 v10, 0
.LBB87_176:
	s_delay_alu instid0(VALU_DEP_1) | instskip(SKIP_1) | instid1(VALU_DEP_2)
	v_add_f32_e32 v60, v60, v10
	v_max_f32_e32 v6, v6, v6
	v_add_f32_e32 v10, 0x40051340, v60
	s_delay_alu instid0(VALU_DEP_1)
	v_max_f32_e32 v6, v6, v10
.LBB87_177:
	s_or_b32 exec_lo, exec_lo, s6
	v_cmp_ngt_f32_e64 s6, 0x3f200000, |v59|
                                        ; implicit-def: $vgpr10
	s_delay_alu instid0(VALU_DEP_1) | instskip(NEXT) | instid1(SALU_CYCLE_1)
	s_and_saveexec_b32 s7, s6
	s_xor_b32 s6, exec_lo, s7
	s_cbranch_execz .LBB87_179
; %bb.178:
	v_add_f32_e64 v10, |v59|, |v59|
	s_delay_alu instid0(VALU_DEP_1) | instskip(SKIP_1) | instid1(VALU_DEP_2)
	v_mul_f32_e32 v61, 0x3fb8aa3b, v10
	v_cmp_ngt_f32_e32 vcc_lo, 0xc2ce8ed0, v10
	v_rndne_f32_e32 v62, v61
	v_fma_f32 v68, 0x3fb8aa3b, v10, -v61
	s_delay_alu instid0(VALU_DEP_1) | instskip(SKIP_1) | instid1(VALU_DEP_2)
	v_dual_sub_f32 v61, v61, v62 :: v_dual_fmamk_f32 v68, v10, 0x32a5705f, v68
	v_cvt_i32_f32_e32 v62, v62
	v_add_f32_e32 v61, v61, v68
	s_delay_alu instid0(VALU_DEP_1) | instskip(SKIP_2) | instid1(VALU_DEP_1)
	v_exp_f32_e32 v61, v61
	s_waitcnt_depctr 0xfff
	v_ldexp_f32 v61, v61, v62
	v_cndmask_b32_e32 v61, 0, v61, vcc_lo
	v_cmp_nlt_f32_e32 vcc_lo, 0x42b17218, v10
	s_delay_alu instid0(VALU_DEP_2) | instskip(NEXT) | instid1(VALU_DEP_1)
	v_cndmask_b32_e32 v10, 0x7f800000, v61, vcc_lo
	v_add_f32_e32 v10, 1.0, v10
	s_delay_alu instid0(VALU_DEP_1)
	v_rcp_f32_e32 v10, v10
	s_waitcnt_depctr 0xfff
	v_fma_f32 v10, v10, -2.0, 1.0
.LBB87_179:
	s_and_not1_saveexec_b32 s6, s6
; %bb.180:
	v_mul_f32_e32 v10, v59, v59
	s_mov_b32 s7, 0xbbbac73d
	s_delay_alu instid0(VALU_DEP_1) | instid1(SALU_CYCLE_1)
	v_fmaak_f32 v61, s7, v10, 0x3ca908c9
	s_delay_alu instid0(VALU_DEP_1) | instskip(NEXT) | instid1(VALU_DEP_1)
	v_fmaak_f32 v61, v10, v61, 0xbd5c1c4e
	v_fmaak_f32 v61, v10, v61, 0x3e088382
	s_delay_alu instid0(VALU_DEP_1) | instskip(NEXT) | instid1(VALU_DEP_1)
	v_fmaak_f32 v61, v10, v61, 0xbeaaaa99
	v_mul_f32_e64 v61, |v59|, v61
	s_delay_alu instid0(VALU_DEP_1)
	v_fma_f32 v10, v10, v61, |v59|
; %bb.181:
	s_or_b32 exec_lo, exec_lo, s6
	s_delay_alu instid0(VALU_DEP_1) | instskip(NEXT) | instid1(VALU_DEP_1)
	v_bfi_b32 v10, 0x7fffffff, v10, v59
	v_mul_f32_e32 v68, s23, v10
	s_and_saveexec_b32 s6, s5
	s_cbranch_execz .LBB87_186
; %bb.182:
	v_cmp_ne_u32_e32 vcc_lo, 1, v70
	s_cbranch_vccnz .LBB87_184
; %bb.183:
	v_ashrrev_i32_e32 v10, 31, v9
	v_add_co_u32 v9, vcc_lo, v9, v34
	s_delay_alu instid0(VALU_DEP_2) | instskip(NEXT) | instid1(VALU_DEP_1)
	v_add_co_ci_u32_e32 v10, vcc_lo, 0, v10, vcc_lo
	v_lshlrev_b64 v[9:10], 1, v[9:10]
	s_delay_alu instid0(VALU_DEP_1) | instskip(NEXT) | instid1(VALU_DEP_2)
	v_add_co_u32 v9, vcc_lo, s40, v9
	v_add_co_ci_u32_e32 v10, vcc_lo, s41, v10, vcc_lo
	flat_load_u16 v9, v[9:10] offset:192
	s_waitcnt vmcnt(0) lgkmcnt(0)
	v_cvt_f32_f16_e32 v9, v9
	s_delay_alu instid0(VALU_DEP_1)
	v_mul_f32_e32 v9, v43, v9
	s_branch .LBB87_185
.LBB87_184:
	v_mov_b32_e32 v9, 0
.LBB87_185:
	s_delay_alu instid0(VALU_DEP_1) | instskip(NEXT) | instid1(VALU_DEP_1)
	v_add_f32_e32 v68, v68, v9
	v_dual_max_f32 v6, v6, v6 :: v_dual_add_f32 v9, 0x40051340, v68
	s_delay_alu instid0(VALU_DEP_1)
	v_max_f32_e32 v6, v6, v9
.LBB87_186:
	s_or_b32 exec_lo, exec_lo, s6
	ds_bpermute_b32 v9, v71, v6
	v_cmp_ngt_f32_e64 s6, 0x3f200000, |v56|
                                        ; implicit-def: $vgpr10
	s_waitcnt lgkmcnt(0)
	v_dual_max_f32 v6, v6, v6 :: v_dual_max_f32 v9, v9, v9
	s_delay_alu instid0(VALU_DEP_1) | instskip(SKIP_3) | instid1(VALU_DEP_1)
	v_max_f32_e32 v6, v6, v9
	ds_bpermute_b32 v9, v72, v6
	s_waitcnt lgkmcnt(0)
	v_max_f32_e32 v9, v9, v9
	v_max_f32_e32 v6, v6, v9
	ds_bpermute_b32 v9, v73, v6
	s_waitcnt lgkmcnt(0)
	v_max_f32_e32 v9, v9, v9
	s_delay_alu instid0(VALU_DEP_1) | instskip(SKIP_3) | instid1(VALU_DEP_1)
	v_max_f32_e32 v6, v6, v9
	ds_bpermute_b32 v9, v74, v6
	s_waitcnt lgkmcnt(0)
	v_max_f32_e32 v9, v9, v9
	v_max_f32_e32 v6, v6, v9
	ds_bpermute_b32 v9, v75, v6
	s_and_saveexec_b32 s7, s6
	s_delay_alu instid0(SALU_CYCLE_1)
	s_xor_b32 s6, exec_lo, s7
	s_cbranch_execz .LBB87_188
; %bb.187:
	v_add_f32_e64 v10, |v56|, |v56|
	s_delay_alu instid0(VALU_DEP_1) | instskip(SKIP_1) | instid1(VALU_DEP_2)
	v_mul_f32_e32 v59, 0x3fb8aa3b, v10
	v_cmp_ngt_f32_e32 vcc_lo, 0xc2ce8ed0, v10
	v_rndne_f32_e32 v61, v59
	v_fma_f32 v62, 0x3fb8aa3b, v10, -v59
	s_delay_alu instid0(VALU_DEP_1) | instskip(SKIP_1) | instid1(VALU_DEP_2)
	v_dual_sub_f32 v59, v59, v61 :: v_dual_fmamk_f32 v62, v10, 0x32a5705f, v62
	v_cvt_i32_f32_e32 v61, v61
	v_add_f32_e32 v59, v59, v62
	s_delay_alu instid0(VALU_DEP_1) | instskip(SKIP_2) | instid1(VALU_DEP_1)
	v_exp_f32_e32 v59, v59
	s_waitcnt_depctr 0xfff
	v_ldexp_f32 v59, v59, v61
	v_cndmask_b32_e32 v59, 0, v59, vcc_lo
	v_cmp_nlt_f32_e32 vcc_lo, 0x42b17218, v10
	s_delay_alu instid0(VALU_DEP_2) | instskip(NEXT) | instid1(VALU_DEP_1)
	v_cndmask_b32_e32 v10, 0x7f800000, v59, vcc_lo
	v_add_f32_e32 v10, 1.0, v10
	s_delay_alu instid0(VALU_DEP_1)
	v_rcp_f32_e32 v10, v10
	s_waitcnt_depctr 0xfff
	v_fma_f32 v10, v10, -2.0, 1.0
.LBB87_188:
	s_and_not1_saveexec_b32 s6, s6
; %bb.189:
	v_mul_f32_e32 v10, v56, v56
	s_mov_b32 s7, 0xbbbac73d
	s_delay_alu instid0(VALU_DEP_1) | instid1(SALU_CYCLE_1)
	v_fmaak_f32 v59, s7, v10, 0x3ca908c9
	s_delay_alu instid0(VALU_DEP_1) | instskip(NEXT) | instid1(VALU_DEP_1)
	v_fmaak_f32 v59, v10, v59, 0xbd5c1c4e
	v_fmaak_f32 v59, v10, v59, 0x3e088382
	s_delay_alu instid0(VALU_DEP_1) | instskip(NEXT) | instid1(VALU_DEP_1)
	v_fmaak_f32 v59, v10, v59, 0xbeaaaa99
	v_mul_f32_e64 v59, |v56|, v59
	s_delay_alu instid0(VALU_DEP_1)
	v_fma_f32 v10, v10, v59, |v56|
; %bb.190:
	s_or_b32 exec_lo, exec_lo, s6
	v_mul_hi_u32 v59, s36, v51
	s_delay_alu instid0(VALU_DEP_2) | instskip(NEXT) | instid1(VALU_DEP_2)
	v_bfi_b32 v56, 0x7fffffff, v10, v56
	v_dual_max_f32 v6, v6, v6 :: v_dual_add_nc_u32 v59, v51, v59
	s_delay_alu instid0(VALU_DEP_1) | instskip(NEXT) | instid1(VALU_DEP_1)
	v_lshrrev_b32_e32 v59, s37, v59
	v_mul_lo_u32 v59, v59, s38
	s_delay_alu instid0(VALU_DEP_1) | instskip(SKIP_2) | instid1(VALU_DEP_2)
	v_sub_nc_u32_e32 v51, v51, v59
	s_waitcnt lgkmcnt(0)
	v_max_f32_e32 v59, v9, v9
	v_mad_u64_u32 v[9:10], null, v51, s22, s[12:13]
	s_delay_alu instid0(VALU_DEP_2)
	v_dual_max_f32 v6, v6, v59 :: v_dual_mul_f32 v51, s23, v56
	s_and_saveexec_b32 s6, s0
	s_cbranch_execz .LBB87_195
; %bb.191:
	v_cmp_ne_u32_e32 vcc_lo, 1, v70
	s_cbranch_vccnz .LBB87_193
; %bb.192:
	s_delay_alu instid0(VALU_DEP_3) | instskip(NEXT) | instid1(VALU_DEP_1)
	v_add_nc_u32_e32 v61, v9, v34
	v_ashrrev_i32_e32 v62, 31, v61
	s_delay_alu instid0(VALU_DEP_1) | instskip(NEXT) | instid1(VALU_DEP_1)
	v_lshlrev_b64 v[61:62], 1, v[61:62]
	v_add_co_u32 v61, vcc_lo, s40, v61
	s_delay_alu instid0(VALU_DEP_2) | instskip(SKIP_3) | instid1(VALU_DEP_1)
	v_add_co_ci_u32_e32 v62, vcc_lo, s41, v62, vcc_lo
	flat_load_u16 v10, v[61:62]
	s_waitcnt vmcnt(0) lgkmcnt(0)
	v_cvt_f32_f16_e32 v10, v10
	v_mul_f32_e32 v10, v43, v10
	s_branch .LBB87_194
.LBB87_193:
	v_mov_b32_e32 v10, 0
.LBB87_194:
	s_delay_alu instid0(VALU_DEP_1) | instskip(SKIP_1) | instid1(VALU_DEP_2)
	v_add_f32_e32 v51, v51, v10
	v_max_f32_e32 v7, v7, v7
	v_add_f32_e32 v10, 0x40051340, v51
	s_delay_alu instid0(VALU_DEP_1)
	v_max_f32_e32 v7, v7, v10
.LBB87_195:
	s_or_b32 exec_lo, exec_lo, s6
	v_cmp_ngt_f32_e64 s6, 0x3f200000, |v55|
                                        ; implicit-def: $vgpr10
	s_delay_alu instid0(VALU_DEP_1) | instskip(NEXT) | instid1(SALU_CYCLE_1)
	s_and_saveexec_b32 s7, s6
	s_xor_b32 s6, exec_lo, s7
	s_cbranch_execz .LBB87_197
; %bb.196:
	v_add_f32_e64 v10, |v55|, |v55|
	s_delay_alu instid0(VALU_DEP_1) | instskip(SKIP_1) | instid1(VALU_DEP_2)
	v_mul_f32_e32 v56, 0x3fb8aa3b, v10
	v_cmp_ngt_f32_e32 vcc_lo, 0xc2ce8ed0, v10
	v_rndne_f32_e32 v59, v56
	v_fma_f32 v61, 0x3fb8aa3b, v10, -v56
	s_delay_alu instid0(VALU_DEP_1) | instskip(SKIP_1) | instid1(VALU_DEP_2)
	v_dual_sub_f32 v56, v56, v59 :: v_dual_fmamk_f32 v61, v10, 0x32a5705f, v61
	v_cvt_i32_f32_e32 v59, v59
	v_add_f32_e32 v56, v56, v61
	s_delay_alu instid0(VALU_DEP_1) | instskip(SKIP_2) | instid1(VALU_DEP_1)
	v_exp_f32_e32 v56, v56
	s_waitcnt_depctr 0xfff
	v_ldexp_f32 v56, v56, v59
	v_cndmask_b32_e32 v56, 0, v56, vcc_lo
	v_cmp_nlt_f32_e32 vcc_lo, 0x42b17218, v10
	s_delay_alu instid0(VALU_DEP_2) | instskip(NEXT) | instid1(VALU_DEP_1)
	v_cndmask_b32_e32 v10, 0x7f800000, v56, vcc_lo
	v_add_f32_e32 v10, 1.0, v10
	s_delay_alu instid0(VALU_DEP_1)
	v_rcp_f32_e32 v10, v10
	s_waitcnt_depctr 0xfff
	v_fma_f32 v10, v10, -2.0, 1.0
.LBB87_197:
	s_and_not1_saveexec_b32 s6, s6
; %bb.198:
	v_mul_f32_e32 v10, v55, v55
	s_mov_b32 s7, 0xbbbac73d
	s_delay_alu instid0(VALU_DEP_1) | instid1(SALU_CYCLE_1)
	v_fmaak_f32 v56, s7, v10, 0x3ca908c9
	s_delay_alu instid0(VALU_DEP_1) | instskip(NEXT) | instid1(VALU_DEP_1)
	v_fmaak_f32 v56, v10, v56, 0xbd5c1c4e
	v_fmaak_f32 v56, v10, v56, 0x3e088382
	s_delay_alu instid0(VALU_DEP_1) | instskip(NEXT) | instid1(VALU_DEP_1)
	v_fmaak_f32 v56, v10, v56, 0xbeaaaa99
	v_mul_f32_e64 v56, |v55|, v56
	s_delay_alu instid0(VALU_DEP_1)
	v_fma_f32 v10, v10, v56, |v55|
; %bb.199:
	s_or_b32 exec_lo, exec_lo, s6
	s_delay_alu instid0(VALU_DEP_1) | instskip(NEXT) | instid1(VALU_DEP_1)
	v_bfi_b32 v10, 0x7fffffff, v10, v55
	v_mul_f32_e32 v55, s23, v10
	s_and_saveexec_b32 s6, s1
	s_cbranch_execz .LBB87_204
; %bb.200:
	v_cmp_ne_u32_e32 vcc_lo, 1, v70
	s_cbranch_vccnz .LBB87_202
; %bb.201:
	v_ashrrev_i32_e32 v10, 31, v9
	v_add_co_u32 v61, vcc_lo, v9, v34
	s_delay_alu instid0(VALU_DEP_2) | instskip(NEXT) | instid1(VALU_DEP_1)
	v_add_co_ci_u32_e32 v62, vcc_lo, 0, v10, vcc_lo
	v_lshlrev_b64 v[61:62], 1, v[61:62]
	s_delay_alu instid0(VALU_DEP_1) | instskip(NEXT) | instid1(VALU_DEP_2)
	v_add_co_u32 v61, vcc_lo, s40, v61
	v_add_co_ci_u32_e32 v62, vcc_lo, s41, v62, vcc_lo
	flat_load_u16 v10, v[61:62] offset:64
	s_waitcnt vmcnt(0) lgkmcnt(0)
	v_cvt_f32_f16_e32 v10, v10
	s_delay_alu instid0(VALU_DEP_1)
	v_mul_f32_e32 v10, v43, v10
	s_branch .LBB87_203
.LBB87_202:
	v_mov_b32_e32 v10, 0
.LBB87_203:
	s_delay_alu instid0(VALU_DEP_1) | instskip(SKIP_1) | instid1(VALU_DEP_2)
	v_add_f32_e32 v55, v55, v10
	v_max_f32_e32 v7, v7, v7
	v_add_f32_e32 v10, 0x40051340, v55
	s_delay_alu instid0(VALU_DEP_1)
	v_max_f32_e32 v7, v7, v10
.LBB87_204:
	s_or_b32 exec_lo, exec_lo, s6
	v_cmp_ngt_f32_e64 s6, 0x3f200000, |v16|
                                        ; implicit-def: $vgpr10
	s_delay_alu instid0(VALU_DEP_1) | instskip(NEXT) | instid1(SALU_CYCLE_1)
	s_and_saveexec_b32 s7, s6
	s_xor_b32 s6, exec_lo, s7
	s_cbranch_execz .LBB87_206
; %bb.205:
	v_add_f32_e64 v10, |v16|, |v16|
	s_delay_alu instid0(VALU_DEP_1) | instskip(SKIP_1) | instid1(VALU_DEP_2)
	v_mul_f32_e32 v56, 0x3fb8aa3b, v10
	v_cmp_ngt_f32_e32 vcc_lo, 0xc2ce8ed0, v10
	v_rndne_f32_e32 v59, v56
	v_fma_f32 v61, 0x3fb8aa3b, v10, -v56
	s_delay_alu instid0(VALU_DEP_1) | instskip(SKIP_1) | instid1(VALU_DEP_2)
	v_dual_sub_f32 v56, v56, v59 :: v_dual_fmamk_f32 v61, v10, 0x32a5705f, v61
	v_cvt_i32_f32_e32 v59, v59
	v_add_f32_e32 v56, v56, v61
	s_delay_alu instid0(VALU_DEP_1) | instskip(SKIP_2) | instid1(VALU_DEP_1)
	v_exp_f32_e32 v56, v56
	s_waitcnt_depctr 0xfff
	v_ldexp_f32 v56, v56, v59
	v_cndmask_b32_e32 v56, 0, v56, vcc_lo
	v_cmp_nlt_f32_e32 vcc_lo, 0x42b17218, v10
	s_delay_alu instid0(VALU_DEP_2) | instskip(NEXT) | instid1(VALU_DEP_1)
	v_cndmask_b32_e32 v10, 0x7f800000, v56, vcc_lo
	v_add_f32_e32 v10, 1.0, v10
	s_delay_alu instid0(VALU_DEP_1)
	v_rcp_f32_e32 v10, v10
	s_waitcnt_depctr 0xfff
	v_fma_f32 v10, v10, -2.0, 1.0
.LBB87_206:
	s_and_not1_saveexec_b32 s6, s6
; %bb.207:
	v_mul_f32_e32 v10, v16, v16
	s_mov_b32 s7, 0xbbbac73d
	s_delay_alu instid0(VALU_DEP_1) | instid1(SALU_CYCLE_1)
	v_fmaak_f32 v56, s7, v10, 0x3ca908c9
	s_delay_alu instid0(VALU_DEP_1) | instskip(NEXT) | instid1(VALU_DEP_1)
	v_fmaak_f32 v56, v10, v56, 0xbd5c1c4e
	v_fmaak_f32 v56, v10, v56, 0x3e088382
	s_delay_alu instid0(VALU_DEP_1) | instskip(NEXT) | instid1(VALU_DEP_1)
	v_fmaak_f32 v56, v10, v56, 0xbeaaaa99
	v_mul_f32_e64 v56, |v16|, v56
	s_delay_alu instid0(VALU_DEP_1)
	v_fma_f32 v10, v10, v56, |v16|
; %bb.208:
	s_or_b32 exec_lo, exec_lo, s6
	s_delay_alu instid0(VALU_DEP_1) | instskip(NEXT) | instid1(VALU_DEP_1)
	v_bfi_b32 v10, 0x7fffffff, v10, v16
	v_mul_f32_e32 v16, s23, v10
	s_and_saveexec_b32 s6, s4
	s_cbranch_execz .LBB87_213
; %bb.209:
	v_cmp_ne_u32_e32 vcc_lo, 1, v70
	s_cbranch_vccnz .LBB87_211
; %bb.210:
	v_ashrrev_i32_e32 v10, 31, v9
	v_add_co_u32 v61, vcc_lo, v9, v34
	s_delay_alu instid0(VALU_DEP_2) | instskip(NEXT) | instid1(VALU_DEP_1)
	v_add_co_ci_u32_e32 v62, vcc_lo, 0, v10, vcc_lo
	v_lshlrev_b64 v[61:62], 1, v[61:62]
	s_delay_alu instid0(VALU_DEP_1) | instskip(NEXT) | instid1(VALU_DEP_2)
	v_add_co_u32 v61, vcc_lo, s40, v61
	v_add_co_ci_u32_e32 v62, vcc_lo, s41, v62, vcc_lo
	flat_load_u16 v10, v[61:62] offset:128
	s_waitcnt vmcnt(0) lgkmcnt(0)
	v_cvt_f32_f16_e32 v10, v10
	s_delay_alu instid0(VALU_DEP_1)
	v_mul_f32_e32 v10, v43, v10
	s_branch .LBB87_212
.LBB87_211:
	v_mov_b32_e32 v10, 0
.LBB87_212:
	s_delay_alu instid0(VALU_DEP_1) | instskip(NEXT) | instid1(VALU_DEP_1)
	v_dual_add_f32 v16, v16, v10 :: v_dual_max_f32 v7, v7, v7
	v_add_f32_e32 v10, 0x40051340, v16
	s_delay_alu instid0(VALU_DEP_1)
	v_max_f32_e32 v7, v7, v10
.LBB87_213:
	s_or_b32 exec_lo, exec_lo, s6
	v_cmp_ngt_f32_e64 s6, 0x3f200000, |v15|
                                        ; implicit-def: $vgpr10
	s_delay_alu instid0(VALU_DEP_1) | instskip(NEXT) | instid1(SALU_CYCLE_1)
	s_and_saveexec_b32 s7, s6
	s_xor_b32 s6, exec_lo, s7
	s_cbranch_execz .LBB87_215
; %bb.214:
	v_add_f32_e64 v10, |v15|, |v15|
	s_delay_alu instid0(VALU_DEP_1) | instskip(SKIP_1) | instid1(VALU_DEP_2)
	v_mul_f32_e32 v56, 0x3fb8aa3b, v10
	v_cmp_ngt_f32_e32 vcc_lo, 0xc2ce8ed0, v10
	v_rndne_f32_e32 v59, v56
	v_fma_f32 v61, 0x3fb8aa3b, v10, -v56
	s_delay_alu instid0(VALU_DEP_1) | instskip(SKIP_1) | instid1(VALU_DEP_2)
	v_dual_sub_f32 v56, v56, v59 :: v_dual_fmamk_f32 v61, v10, 0x32a5705f, v61
	v_cvt_i32_f32_e32 v59, v59
	v_add_f32_e32 v56, v56, v61
	s_delay_alu instid0(VALU_DEP_1) | instskip(SKIP_2) | instid1(VALU_DEP_1)
	v_exp_f32_e32 v56, v56
	s_waitcnt_depctr 0xfff
	v_ldexp_f32 v56, v56, v59
	v_cndmask_b32_e32 v56, 0, v56, vcc_lo
	v_cmp_nlt_f32_e32 vcc_lo, 0x42b17218, v10
	s_delay_alu instid0(VALU_DEP_2) | instskip(NEXT) | instid1(VALU_DEP_1)
	v_cndmask_b32_e32 v10, 0x7f800000, v56, vcc_lo
	v_add_f32_e32 v10, 1.0, v10
	s_delay_alu instid0(VALU_DEP_1)
	v_rcp_f32_e32 v10, v10
	s_waitcnt_depctr 0xfff
	v_fma_f32 v10, v10, -2.0, 1.0
.LBB87_215:
	s_and_not1_saveexec_b32 s6, s6
; %bb.216:
	v_mul_f32_e32 v10, v15, v15
	s_mov_b32 s7, 0xbbbac73d
	s_delay_alu instid0(VALU_DEP_1) | instid1(SALU_CYCLE_1)
	v_fmaak_f32 v56, s7, v10, 0x3ca908c9
	s_delay_alu instid0(VALU_DEP_1) | instskip(NEXT) | instid1(VALU_DEP_1)
	v_fmaak_f32 v56, v10, v56, 0xbd5c1c4e
	v_fmaak_f32 v56, v10, v56, 0x3e088382
	s_delay_alu instid0(VALU_DEP_1) | instskip(NEXT) | instid1(VALU_DEP_1)
	v_fmaak_f32 v56, v10, v56, 0xbeaaaa99
	v_mul_f32_e64 v56, |v15|, v56
	s_delay_alu instid0(VALU_DEP_1)
	v_fma_f32 v10, v10, v56, |v15|
; %bb.217:
	s_or_b32 exec_lo, exec_lo, s6
	s_delay_alu instid0(VALU_DEP_1) | instskip(NEXT) | instid1(VALU_DEP_1)
	v_bfi_b32 v10, 0x7fffffff, v10, v15
	v_mul_f32_e32 v15, s23, v10
	s_and_saveexec_b32 s6, s5
	s_cbranch_execz .LBB87_222
; %bb.218:
	v_cmp_ne_u32_e32 vcc_lo, 1, v70
	s_cbranch_vccnz .LBB87_220
; %bb.219:
	v_ashrrev_i32_e32 v10, 31, v9
	v_add_co_u32 v9, vcc_lo, v9, v34
	s_delay_alu instid0(VALU_DEP_2) | instskip(NEXT) | instid1(VALU_DEP_1)
	v_add_co_ci_u32_e32 v10, vcc_lo, 0, v10, vcc_lo
	v_lshlrev_b64 v[9:10], 1, v[9:10]
	s_delay_alu instid0(VALU_DEP_1) | instskip(NEXT) | instid1(VALU_DEP_2)
	v_add_co_u32 v9, vcc_lo, s40, v9
	v_add_co_ci_u32_e32 v10, vcc_lo, s41, v10, vcc_lo
	flat_load_u16 v9, v[9:10] offset:192
	s_waitcnt vmcnt(0) lgkmcnt(0)
	v_cvt_f32_f16_e32 v9, v9
	s_delay_alu instid0(VALU_DEP_1)
	v_mul_f32_e32 v9, v43, v9
	s_branch .LBB87_221
.LBB87_220:
	v_mov_b32_e32 v9, 0
.LBB87_221:
	s_delay_alu instid0(VALU_DEP_1) | instskip(SKIP_1) | instid1(VALU_DEP_2)
	v_add_f32_e32 v15, v15, v9
	v_max_f32_e32 v7, v7, v7
	v_add_f32_e32 v9, 0x40051340, v15
	s_delay_alu instid0(VALU_DEP_1)
	v_max_f32_e32 v7, v7, v9
.LBB87_222:
	s_or_b32 exec_lo, exec_lo, s6
	ds_bpermute_b32 v9, v71, v7
	v_max_f32_e32 v7, v7, v7
	v_cmp_ngt_f32_e64 s6, 0x3f200000, |v14|
                                        ; implicit-def: $vgpr10
	s_waitcnt lgkmcnt(0)
	v_max_f32_e32 v9, v9, v9
	s_delay_alu instid0(VALU_DEP_1) | instskip(SKIP_3) | instid1(VALU_DEP_1)
	v_max_f32_e32 v7, v7, v9
	ds_bpermute_b32 v9, v72, v7
	s_waitcnt lgkmcnt(0)
	v_max_f32_e32 v9, v9, v9
	v_max_f32_e32 v7, v7, v9
	ds_bpermute_b32 v9, v73, v7
	s_waitcnt lgkmcnt(0)
	v_max_f32_e32 v9, v9, v9
	s_delay_alu instid0(VALU_DEP_1) | instskip(SKIP_3) | instid1(VALU_DEP_1)
	v_max_f32_e32 v7, v7, v9
	ds_bpermute_b32 v9, v74, v7
	s_waitcnt lgkmcnt(0)
	v_max_f32_e32 v9, v9, v9
	v_max_f32_e32 v7, v7, v9
	ds_bpermute_b32 v9, v75, v7
	s_and_saveexec_b32 s7, s6
	s_delay_alu instid0(SALU_CYCLE_1)
	s_xor_b32 s6, exec_lo, s7
	s_cbranch_execz .LBB87_224
; %bb.223:
	v_add_f32_e64 v10, |v14|, |v14|
	s_delay_alu instid0(VALU_DEP_1) | instskip(SKIP_1) | instid1(VALU_DEP_2)
	v_mul_f32_e32 v56, 0x3fb8aa3b, v10
	v_cmp_ngt_f32_e32 vcc_lo, 0xc2ce8ed0, v10
	v_rndne_f32_e32 v59, v56
	v_fma_f32 v61, 0x3fb8aa3b, v10, -v56
	s_delay_alu instid0(VALU_DEP_1) | instskip(SKIP_1) | instid1(VALU_DEP_2)
	v_dual_sub_f32 v56, v56, v59 :: v_dual_fmamk_f32 v61, v10, 0x32a5705f, v61
	v_cvt_i32_f32_e32 v59, v59
	v_add_f32_e32 v56, v56, v61
	s_delay_alu instid0(VALU_DEP_1) | instskip(SKIP_2) | instid1(VALU_DEP_1)
	v_exp_f32_e32 v56, v56
	s_waitcnt_depctr 0xfff
	v_ldexp_f32 v56, v56, v59
	v_cndmask_b32_e32 v56, 0, v56, vcc_lo
	v_cmp_nlt_f32_e32 vcc_lo, 0x42b17218, v10
	s_delay_alu instid0(VALU_DEP_2) | instskip(NEXT) | instid1(VALU_DEP_1)
	v_cndmask_b32_e32 v10, 0x7f800000, v56, vcc_lo
	v_add_f32_e32 v10, 1.0, v10
	s_delay_alu instid0(VALU_DEP_1)
	v_rcp_f32_e32 v10, v10
	s_waitcnt_depctr 0xfff
	v_fma_f32 v10, v10, -2.0, 1.0
.LBB87_224:
	s_and_not1_saveexec_b32 s6, s6
; %bb.225:
	v_mul_f32_e32 v10, v14, v14
	s_mov_b32 s7, 0xbbbac73d
	s_delay_alu instid0(VALU_DEP_1) | instid1(SALU_CYCLE_1)
	v_fmaak_f32 v56, s7, v10, 0x3ca908c9
	s_delay_alu instid0(VALU_DEP_1) | instskip(NEXT) | instid1(VALU_DEP_1)
	v_fmaak_f32 v56, v10, v56, 0xbd5c1c4e
	v_fmaak_f32 v56, v10, v56, 0x3e088382
	s_delay_alu instid0(VALU_DEP_1) | instskip(NEXT) | instid1(VALU_DEP_1)
	v_fmaak_f32 v56, v10, v56, 0xbeaaaa99
	v_mul_f32_e64 v56, |v14|, v56
	s_delay_alu instid0(VALU_DEP_1)
	v_fma_f32 v10, v10, v56, |v14|
; %bb.226:
	s_or_b32 exec_lo, exec_lo, s6
	v_mul_hi_u32 v56, s36, v50
	s_delay_alu instid0(VALU_DEP_2) | instskip(NEXT) | instid1(VALU_DEP_1)
	v_bfi_b32 v14, 0x7fffffff, v10, v14
	v_dual_max_f32 v7, v7, v7 :: v_dual_mul_f32 v14, s23, v14
	s_delay_alu instid0(VALU_DEP_3) | instskip(NEXT) | instid1(VALU_DEP_1)
	v_add_nc_u32_e32 v56, v50, v56
	v_lshrrev_b32_e32 v56, s37, v56
	s_delay_alu instid0(VALU_DEP_1) | instskip(NEXT) | instid1(VALU_DEP_1)
	v_mul_lo_u32 v56, v56, s38
	v_sub_nc_u32_e32 v50, v50, v56
	s_waitcnt lgkmcnt(0)
	v_max_f32_e32 v56, v9, v9
	s_delay_alu instid0(VALU_DEP_2) | instskip(NEXT) | instid1(VALU_DEP_2)
	v_mad_u64_u32 v[9:10], null, v50, s22, s[12:13]
	v_max_f32_e32 v7, v7, v56
	s_and_saveexec_b32 s6, s0
	s_cbranch_execz .LBB87_231
; %bb.227:
	v_cmp_ne_u32_e32 vcc_lo, 1, v70
	s_cbranch_vccnz .LBB87_229
; %bb.228:
	s_delay_alu instid0(VALU_DEP_3) | instskip(NEXT) | instid1(VALU_DEP_1)
	v_add_nc_u32_e32 v61, v9, v34
	v_ashrrev_i32_e32 v62, 31, v61
	s_delay_alu instid0(VALU_DEP_1) | instskip(NEXT) | instid1(VALU_DEP_1)
	v_lshlrev_b64 v[61:62], 1, v[61:62]
	v_add_co_u32 v61, vcc_lo, s40, v61
	s_delay_alu instid0(VALU_DEP_2) | instskip(SKIP_3) | instid1(VALU_DEP_1)
	v_add_co_ci_u32_e32 v62, vcc_lo, s41, v62, vcc_lo
	flat_load_u16 v10, v[61:62]
	s_waitcnt vmcnt(0) lgkmcnt(0)
	v_cvt_f32_f16_e32 v10, v10
	v_mul_f32_e32 v10, v43, v10
	s_branch .LBB87_230
.LBB87_229:
	v_mov_b32_e32 v10, 0
.LBB87_230:
	s_delay_alu instid0(VALU_DEP_1) | instskip(SKIP_1) | instid1(VALU_DEP_2)
	v_add_f32_e32 v14, v14, v10
	v_max_f32_e32 v8, v8, v8
	v_add_f32_e32 v10, 0x40051340, v14
	s_delay_alu instid0(VALU_DEP_1)
	v_max_f32_e32 v8, v8, v10
.LBB87_231:
	s_or_b32 exec_lo, exec_lo, s6
	v_cmp_ngt_f32_e64 s0, 0x3f200000, |v13|
                                        ; implicit-def: $vgpr10
	s_delay_alu instid0(VALU_DEP_1) | instskip(NEXT) | instid1(SALU_CYCLE_1)
	s_and_saveexec_b32 s6, s0
	s_xor_b32 s0, exec_lo, s6
	s_cbranch_execz .LBB87_233
; %bb.232:
	v_add_f32_e64 v10, |v13|, |v13|
	s_delay_alu instid0(VALU_DEP_1) | instskip(SKIP_1) | instid1(VALU_DEP_2)
	v_mul_f32_e32 v50, 0x3fb8aa3b, v10
	v_cmp_ngt_f32_e32 vcc_lo, 0xc2ce8ed0, v10
	v_rndne_f32_e32 v56, v50
	v_fma_f32 v59, 0x3fb8aa3b, v10, -v50
	s_delay_alu instid0(VALU_DEP_2) | instskip(NEXT) | instid1(VALU_DEP_2)
	v_sub_f32_e32 v50, v50, v56
	v_fmamk_f32 v59, v10, 0x32a5705f, v59
	v_cvt_i32_f32_e32 v56, v56
	s_delay_alu instid0(VALU_DEP_2) | instskip(NEXT) | instid1(VALU_DEP_1)
	v_add_f32_e32 v50, v50, v59
	v_exp_f32_e32 v50, v50
	s_waitcnt_depctr 0xfff
	v_ldexp_f32 v50, v50, v56
	s_delay_alu instid0(VALU_DEP_1) | instskip(SKIP_1) | instid1(VALU_DEP_2)
	v_cndmask_b32_e32 v50, 0, v50, vcc_lo
	v_cmp_nlt_f32_e32 vcc_lo, 0x42b17218, v10
	v_cndmask_b32_e32 v10, 0x7f800000, v50, vcc_lo
	s_delay_alu instid0(VALU_DEP_1) | instskip(NEXT) | instid1(VALU_DEP_1)
	v_add_f32_e32 v10, 1.0, v10
	v_rcp_f32_e32 v10, v10
	s_waitcnt_depctr 0xfff
	v_fma_f32 v10, v10, -2.0, 1.0
.LBB87_233:
	s_and_not1_saveexec_b32 s0, s0
; %bb.234:
	v_mul_f32_e32 v10, v13, v13
	s_mov_b32 s6, 0xbbbac73d
	s_delay_alu instid0(VALU_DEP_1) | instid1(SALU_CYCLE_1)
	v_fmaak_f32 v50, s6, v10, 0x3ca908c9
	s_delay_alu instid0(VALU_DEP_1) | instskip(NEXT) | instid1(VALU_DEP_1)
	v_fmaak_f32 v50, v10, v50, 0xbd5c1c4e
	v_fmaak_f32 v50, v10, v50, 0x3e088382
	s_delay_alu instid0(VALU_DEP_1) | instskip(NEXT) | instid1(VALU_DEP_1)
	v_fmaak_f32 v50, v10, v50, 0xbeaaaa99
	v_mul_f32_e64 v50, |v13|, v50
	s_delay_alu instid0(VALU_DEP_1)
	v_fma_f32 v10, v10, v50, |v13|
; %bb.235:
	s_or_b32 exec_lo, exec_lo, s0
	s_delay_alu instid0(VALU_DEP_1) | instskip(NEXT) | instid1(VALU_DEP_1)
	v_bfi_b32 v10, 0x7fffffff, v10, v13
	v_mul_f32_e32 v10, s23, v10
	s_and_saveexec_b32 s0, s1
	s_cbranch_execz .LBB87_240
; %bb.236:
	v_cmp_ne_u32_e32 vcc_lo, 1, v70
	s_cbranch_vccnz .LBB87_238
; %bb.237:
	v_ashrrev_i32_e32 v13, 31, v9
	v_add_co_u32 v61, vcc_lo, v9, v34
	s_delay_alu instid0(VALU_DEP_2) | instskip(NEXT) | instid1(VALU_DEP_1)
	v_add_co_ci_u32_e32 v62, vcc_lo, 0, v13, vcc_lo
	v_lshlrev_b64 v[61:62], 1, v[61:62]
	s_delay_alu instid0(VALU_DEP_1) | instskip(NEXT) | instid1(VALU_DEP_2)
	v_add_co_u32 v61, vcc_lo, s40, v61
	v_add_co_ci_u32_e32 v62, vcc_lo, s41, v62, vcc_lo
	flat_load_u16 v13, v[61:62] offset:64
	s_waitcnt vmcnt(0) lgkmcnt(0)
	v_cvt_f32_f16_e32 v13, v13
	s_delay_alu instid0(VALU_DEP_1)
	v_mul_f32_e32 v13, v43, v13
	s_branch .LBB87_239
.LBB87_238:
	v_mov_b32_e32 v13, 0
.LBB87_239:
	s_delay_alu instid0(VALU_DEP_1) | instskip(NEXT) | instid1(VALU_DEP_1)
	v_add_f32_e32 v10, v10, v13
	v_dual_max_f32 v8, v8, v8 :: v_dual_add_f32 v13, 0x40051340, v10
	s_delay_alu instid0(VALU_DEP_1)
	v_max_f32_e32 v8, v8, v13
.LBB87_240:
	s_or_b32 exec_lo, exec_lo, s0
	v_cmp_ngt_f32_e64 s0, 0x3f200000, |v12|
                                        ; implicit-def: $vgpr13
	s_delay_alu instid0(VALU_DEP_1) | instskip(NEXT) | instid1(SALU_CYCLE_1)
	s_and_saveexec_b32 s1, s0
	s_xor_b32 s0, exec_lo, s1
	s_cbranch_execz .LBB87_242
; %bb.241:
	v_add_f32_e64 v13, |v12|, |v12|
	s_delay_alu instid0(VALU_DEP_1) | instskip(SKIP_1) | instid1(VALU_DEP_2)
	v_mul_f32_e32 v50, 0x3fb8aa3b, v13
	v_cmp_ngt_f32_e32 vcc_lo, 0xc2ce8ed0, v13
	v_rndne_f32_e32 v56, v50
	v_fma_f32 v59, 0x3fb8aa3b, v13, -v50
	s_delay_alu instid0(VALU_DEP_1) | instskip(SKIP_1) | instid1(VALU_DEP_2)
	v_dual_sub_f32 v50, v50, v56 :: v_dual_fmamk_f32 v59, v13, 0x32a5705f, v59
	v_cvt_i32_f32_e32 v56, v56
	v_add_f32_e32 v50, v50, v59
	s_delay_alu instid0(VALU_DEP_1) | instskip(SKIP_2) | instid1(VALU_DEP_1)
	v_exp_f32_e32 v50, v50
	s_waitcnt_depctr 0xfff
	v_ldexp_f32 v50, v50, v56
	v_cndmask_b32_e32 v50, 0, v50, vcc_lo
	v_cmp_nlt_f32_e32 vcc_lo, 0x42b17218, v13
	s_delay_alu instid0(VALU_DEP_2) | instskip(NEXT) | instid1(VALU_DEP_1)
	v_cndmask_b32_e32 v13, 0x7f800000, v50, vcc_lo
	v_add_f32_e32 v13, 1.0, v13
	s_delay_alu instid0(VALU_DEP_1)
	v_rcp_f32_e32 v13, v13
	s_waitcnt_depctr 0xfff
	v_fma_f32 v13, v13, -2.0, 1.0
.LBB87_242:
	s_and_not1_saveexec_b32 s0, s0
; %bb.243:
	v_mul_f32_e32 v13, v12, v12
	s_mov_b32 s1, 0xbbbac73d
	s_delay_alu instid0(VALU_DEP_1) | instid1(SALU_CYCLE_1)
	v_fmaak_f32 v50, s1, v13, 0x3ca908c9
	s_delay_alu instid0(VALU_DEP_1) | instskip(NEXT) | instid1(VALU_DEP_1)
	v_fmaak_f32 v50, v13, v50, 0xbd5c1c4e
	v_fmaak_f32 v50, v13, v50, 0x3e088382
	s_delay_alu instid0(VALU_DEP_1) | instskip(NEXT) | instid1(VALU_DEP_1)
	v_fmaak_f32 v50, v13, v50, 0xbeaaaa99
	v_mul_f32_e64 v50, |v12|, v50
	s_delay_alu instid0(VALU_DEP_1)
	v_fma_f32 v13, v13, v50, |v12|
; %bb.244:
	s_or_b32 exec_lo, exec_lo, s0
	s_delay_alu instid0(VALU_DEP_1) | instskip(NEXT) | instid1(VALU_DEP_1)
	v_bfi_b32 v12, 0x7fffffff, v13, v12
	v_mul_f32_e32 v12, s23, v12
	s_and_saveexec_b32 s0, s4
	s_cbranch_execz .LBB87_249
; %bb.245:
	v_cmp_ne_u32_e32 vcc_lo, 1, v70
	s_cbranch_vccnz .LBB87_247
; %bb.246:
	v_ashrrev_i32_e32 v13, 31, v9
	v_add_co_u32 v61, vcc_lo, v9, v34
	s_delay_alu instid0(VALU_DEP_2) | instskip(NEXT) | instid1(VALU_DEP_1)
	v_add_co_ci_u32_e32 v62, vcc_lo, 0, v13, vcc_lo
	v_lshlrev_b64 v[61:62], 1, v[61:62]
	s_delay_alu instid0(VALU_DEP_1) | instskip(NEXT) | instid1(VALU_DEP_2)
	v_add_co_u32 v61, vcc_lo, s40, v61
	v_add_co_ci_u32_e32 v62, vcc_lo, s41, v62, vcc_lo
	flat_load_u16 v13, v[61:62] offset:128
	s_waitcnt vmcnt(0) lgkmcnt(0)
	v_cvt_f32_f16_e32 v13, v13
	s_delay_alu instid0(VALU_DEP_1)
	v_mul_f32_e32 v13, v43, v13
	s_branch .LBB87_248
.LBB87_247:
	v_mov_b32_e32 v13, 0
.LBB87_248:
	s_delay_alu instid0(VALU_DEP_1) | instskip(SKIP_1) | instid1(VALU_DEP_2)
	v_add_f32_e32 v12, v12, v13
	v_max_f32_e32 v8, v8, v8
	v_add_f32_e32 v13, 0x40051340, v12
	s_delay_alu instid0(VALU_DEP_1)
	v_max_f32_e32 v8, v8, v13
.LBB87_249:
	s_or_b32 exec_lo, exec_lo, s0
	v_cmp_ngt_f32_e64 s0, 0x3f200000, |v11|
                                        ; implicit-def: $vgpr13
	s_delay_alu instid0(VALU_DEP_1) | instskip(NEXT) | instid1(SALU_CYCLE_1)
	s_and_saveexec_b32 s1, s0
	s_xor_b32 s0, exec_lo, s1
	s_cbranch_execz .LBB87_251
; %bb.250:
	v_add_f32_e64 v13, |v11|, |v11|
	s_delay_alu instid0(VALU_DEP_1) | instskip(SKIP_1) | instid1(VALU_DEP_2)
	v_mul_f32_e32 v50, 0x3fb8aa3b, v13
	v_cmp_ngt_f32_e32 vcc_lo, 0xc2ce8ed0, v13
	v_rndne_f32_e32 v56, v50
	v_fma_f32 v59, 0x3fb8aa3b, v13, -v50
	s_delay_alu instid0(VALU_DEP_1) | instskip(SKIP_1) | instid1(VALU_DEP_2)
	v_dual_sub_f32 v50, v50, v56 :: v_dual_fmamk_f32 v59, v13, 0x32a5705f, v59
	v_cvt_i32_f32_e32 v56, v56
	v_add_f32_e32 v50, v50, v59
	s_delay_alu instid0(VALU_DEP_1) | instskip(SKIP_2) | instid1(VALU_DEP_1)
	v_exp_f32_e32 v50, v50
	s_waitcnt_depctr 0xfff
	v_ldexp_f32 v50, v50, v56
	v_cndmask_b32_e32 v50, 0, v50, vcc_lo
	v_cmp_nlt_f32_e32 vcc_lo, 0x42b17218, v13
	s_delay_alu instid0(VALU_DEP_2) | instskip(NEXT) | instid1(VALU_DEP_1)
	v_cndmask_b32_e32 v13, 0x7f800000, v50, vcc_lo
	v_add_f32_e32 v13, 1.0, v13
	s_delay_alu instid0(VALU_DEP_1)
	v_rcp_f32_e32 v13, v13
	s_waitcnt_depctr 0xfff
	v_fma_f32 v13, v13, -2.0, 1.0
.LBB87_251:
	s_and_not1_saveexec_b32 s0, s0
; %bb.252:
	v_mul_f32_e32 v13, v11, v11
	s_mov_b32 s1, 0xbbbac73d
	s_delay_alu instid0(VALU_DEP_1) | instid1(SALU_CYCLE_1)
	v_fmaak_f32 v50, s1, v13, 0x3ca908c9
	s_delay_alu instid0(VALU_DEP_1) | instskip(NEXT) | instid1(VALU_DEP_1)
	v_fmaak_f32 v50, v13, v50, 0xbd5c1c4e
	v_fmaak_f32 v50, v13, v50, 0x3e088382
	s_delay_alu instid0(VALU_DEP_1) | instskip(NEXT) | instid1(VALU_DEP_1)
	v_fmaak_f32 v50, v13, v50, 0xbeaaaa99
	v_mul_f32_e64 v50, |v11|, v50
	s_delay_alu instid0(VALU_DEP_1)
	v_fma_f32 v13, v13, v50, |v11|
; %bb.253:
	s_or_b32 exec_lo, exec_lo, s0
	s_delay_alu instid0(VALU_DEP_1) | instskip(NEXT) | instid1(VALU_DEP_1)
	v_bfi_b32 v11, 0x7fffffff, v13, v11
	v_mul_f32_e32 v11, s23, v11
	s_and_saveexec_b32 s0, s5
	s_cbranch_execz .LBB87_258
; %bb.254:
	v_cmp_ne_u32_e32 vcc_lo, 1, v70
	s_cbranch_vccnz .LBB87_256
; %bb.255:
	v_ashrrev_i32_e32 v13, 31, v9
	v_add_co_u32 v61, vcc_lo, v9, v34
	s_delay_alu instid0(VALU_DEP_2) | instskip(NEXT) | instid1(VALU_DEP_1)
	v_add_co_ci_u32_e32 v62, vcc_lo, 0, v13, vcc_lo
	v_lshlrev_b64 v[61:62], 1, v[61:62]
	s_delay_alu instid0(VALU_DEP_1) | instskip(NEXT) | instid1(VALU_DEP_2)
	v_add_co_u32 v61, vcc_lo, s40, v61
	v_add_co_ci_u32_e32 v62, vcc_lo, s41, v62, vcc_lo
	flat_load_u16 v9, v[61:62] offset:192
	s_waitcnt vmcnt(0) lgkmcnt(0)
	v_cvt_f32_f16_e32 v9, v9
	s_delay_alu instid0(VALU_DEP_1)
	v_mul_f32_e32 v9, v43, v9
	s_branch .LBB87_257
.LBB87_256:
	v_mov_b32_e32 v9, 0
.LBB87_257:
	s_delay_alu instid0(VALU_DEP_1) | instskip(NEXT) | instid1(VALU_DEP_1)
	v_dual_add_f32 v11, v11, v9 :: v_dual_max_f32 v8, v8, v8
	v_add_f32_e32 v9, 0x40051340, v11
	s_delay_alu instid0(VALU_DEP_1)
	v_max_f32_e32 v8, v8, v9
.LBB87_258:
	s_or_b32 exec_lo, exec_lo, s0
	ds_bpermute_b32 v9, v71, v8
	v_max_f32_e32 v8, v8, v8
	s_waitcnt lgkmcnt(0)
	s_barrier
	buffer_gl0_inv
	v_dual_sub_f32 v1, v1, v5 :: v_dual_sub_f32 v2, v2, v6
	v_sub_f32_e32 v3, v3, v7
	v_max_f32_e32 v9, v9, v9
	s_delay_alu instid0(VALU_DEP_1) | instskip(SKIP_3) | instid1(VALU_DEP_1)
	v_max_f32_e32 v8, v8, v9
	ds_bpermute_b32 v9, v72, v8
	s_waitcnt lgkmcnt(0)
	v_max_f32_e32 v9, v9, v9
	v_max_f32_e32 v8, v8, v9
	ds_bpermute_b32 v9, v73, v8
	s_waitcnt lgkmcnt(0)
	v_max_f32_e32 v9, v9, v9
	s_delay_alu instid0(VALU_DEP_1) | instskip(SKIP_3) | instid1(VALU_DEP_1)
	v_max_f32_e32 v8, v8, v9
	ds_bpermute_b32 v9, v74, v8
	s_waitcnt lgkmcnt(0)
	v_max_f32_e32 v9, v9, v9
	v_max_f32_e32 v8, v8, v9
	ds_bpermute_b32 v9, v75, v8
	v_lshl_add_u32 v75, v38, 1, v40
	v_lshlrev_b32_e32 v38, 2, v39
	v_dual_mov_b32 v40, 0 :: v_dual_add_nc_u32 v39, 0x9800, v0
	ds_store_b32 v0, v40 offset:38912
	s_waitcnt lgkmcnt(1)
	v_max_f32_e32 v9, v9, v9
	s_delay_alu instid0(VALU_DEP_1) | instskip(SKIP_2) | instid1(VALU_DEP_2)
	v_max_f32_e32 v8, v8, v9
	v_sub_f32_e32 v9, v69, v5
	v_add_nc_u32_e32 v69, 0x4800, v36
	v_dual_sub_f32 v14, v14, v8 :: v_dual_mul_f32 v13, 0x3fb8aa3b, v9
	v_cmp_ngt_f32_e64 s0, 0xc2ce8ed0, v9
	v_cmp_nlt_f32_e32 vcc_lo, 0x42b17218, v9
	s_delay_alu instid0(VALU_DEP_3) | instskip(NEXT) | instid1(VALU_DEP_4)
	v_cmp_ngt_f32_e64 s7, 0xc2ce8ed0, v14
	v_fma_f32 v43, 0x3fb8aa3b, v9, -v13
	v_cmp_nlt_f32_e64 s8, 0x42b17218, v14
	s_delay_alu instid0(VALU_DEP_2) | instskip(SKIP_1) | instid1(VALU_DEP_1)
	v_fmac_f32_e32 v43, 0x32a5705f, v9
	v_sub_f32_e32 v9, v52, v6
	v_mul_f32_e32 v50, 0x3fb8aa3b, v9
	v_cmp_ngt_f32_e64 s4, 0xc2ce8ed0, v9
	v_cmp_nlt_f32_e64 s1, 0x42b17218, v9
	s_delay_alu instid0(VALU_DEP_3) | instskip(NEXT) | instid1(VALU_DEP_1)
	v_fma_f32 v52, 0x3fb8aa3b, v9, -v50
	v_dual_fmac_f32 v52, 0x32a5705f, v9 :: v_dual_sub_f32 v9, v51, v7
	s_delay_alu instid0(VALU_DEP_1) | instskip(SKIP_2) | instid1(VALU_DEP_3)
	v_mul_f32_e32 v51, 0x3fb8aa3b, v9
	v_cmp_ngt_f32_e64 s6, 0xc2ce8ed0, v9
	v_cmp_nlt_f32_e64 s5, 0x42b17218, v9
	v_fma_f32 v56, 0x3fb8aa3b, v9, -v51
	s_delay_alu instid0(VALU_DEP_1) | instskip(SKIP_1) | instid1(VALU_DEP_1)
	v_fmac_f32_e32 v56, 0x32a5705f, v9
	v_rndne_f32_e32 v9, v13
	v_sub_f32_e32 v13, v13, v9
	v_cvt_i32_f32_e32 v9, v9
	s_delay_alu instid0(VALU_DEP_2) | instskip(SKIP_1) | instid1(VALU_DEP_2)
	v_add_f32_e32 v13, v13, v43
	v_rndne_f32_e32 v43, v50
	v_exp_f32_e32 v13, v13
	s_delay_alu instid0(VALU_DEP_1) | instskip(SKIP_1) | instid1(VALU_DEP_2)
	v_sub_f32_e32 v50, v50, v43
	v_cvt_i32_f32_e32 v43, v43
	v_add_f32_e32 v50, v50, v52
	v_rndne_f32_e32 v52, v51
	s_waitcnt_depctr 0xfff
	v_ldexp_f32 v9, v13, v9
	v_exp_f32_e32 v13, v50
	v_sub_f32_e32 v51, v51, v52
	s_delay_alu instid0(VALU_DEP_2) | instskip(SKIP_1) | instid1(VALU_DEP_3)
	v_cndmask_b32_e64 v9, 0, v9, s0
	v_cmp_gt_u32_e64 s0, s9, v34
	v_add_f32_e32 v51, v51, v56
	s_delay_alu instid0(VALU_DEP_3)
	v_cndmask_b32_e32 v9, 0x7f800000, v9, vcc_lo
	s_waitcnt_depctr 0xfff
	v_ldexp_f32 v13, v13, v43
	v_dual_mul_f32 v43, 0x3fb8aa3b, v14 :: v_dual_sub_f32 v12, v12, v8
	v_sub_f32_e32 v10, v10, v8
	v_sub_f32_e32 v11, v11, v8
	s_delay_alu instid0(VALU_DEP_4) | instskip(NEXT) | instid1(VALU_DEP_4)
	v_cndmask_b32_e64 v13, 0, v13, s4
	v_fma_f32 v50, 0x3fb8aa3b, v14, -v43
	v_rndne_f32_e32 v56, v43
	v_sub_f32_e32 v4, v4, v8
	s_delay_alu instid0(VALU_DEP_4) | instskip(NEXT) | instid1(VALU_DEP_3)
	v_cndmask_b32_e64 v13, 0x7f800000, v13, s1
	v_dual_fmac_f32 v50, 0x32a5705f, v14 :: v_dual_sub_f32 v43, v43, v56
	s_delay_alu instid0(VALU_DEP_1) | instskip(SKIP_3) | instid1(VALU_DEP_3)
	v_add_f32_e32 v43, v43, v50
	v_exp_f32_e32 v50, v51
	v_cvt_i32_f32_e32 v51, v52
	v_cndmask_b32_e64 v52, 0, v9, s0
	v_exp_f32_e32 v14, v43
	v_cvt_i32_f32_e32 v43, v56
	s_delay_alu instid0(VALU_DEP_2) | instskip(SKIP_4) | instid1(VALU_DEP_3)
	v_cvt_f16_f32_e32 v9, v52
	s_waitcnt_depctr 0xfff
	v_ldexp_f32 v50, v50, v51
	v_cndmask_b32_e64 v51, 0, v13, s0
	v_ldexp_f32 v14, v14, v43
	v_cndmask_b32_e64 v43, 0, v50, s6
	s_delay_alu instid0(VALU_DEP_3) | instskip(NEXT) | instid1(VALU_DEP_3)
	v_cvt_f16_f32_e32 v13, v51
	v_cndmask_b32_e64 v14, 0, v14, s7
	s_delay_alu instid0(VALU_DEP_3) | instskip(NEXT) | instid1(VALU_DEP_3)
	v_cndmask_b32_e64 v43, 0x7f800000, v43, s5
	v_pack_b32_f16 v13, v9, v13
	v_cmp_ngt_f32_e64 s7, 0xc2ce8ed0, v10
	s_delay_alu instid0(VALU_DEP_4) | instskip(NEXT) | instid1(VALU_DEP_4)
	v_cndmask_b32_e64 v14, 0x7f800000, v14, s8
	v_cndmask_b32_e64 v50, 0, v43, s0
	v_cmp_nlt_f32_e64 s8, 0x42b17218, v10
	s_delay_alu instid0(VALU_DEP_3) | instskip(NEXT) | instid1(VALU_DEP_3)
	v_cndmask_b32_e64 v43, 0, v14, s0
	v_cvt_f16_f32_e32 v9, v50
	s_delay_alu instid0(VALU_DEP_2) | instskip(NEXT) | instid1(VALU_DEP_1)
	v_cvt_f16_f32_e32 v14, v43
	v_pack_b32_f16 v14, v9, v14
	v_add_nc_u32_e32 v9, v69, v37
	ds_store_b64 v9, v[13:14]
	v_sub_f32_e32 v9, v53, v5
	s_delay_alu instid0(VALU_DEP_1) | instskip(SKIP_2) | instid1(VALU_DEP_3)
	v_mul_f32_e32 v13, 0x3fb8aa3b, v9
	v_cmp_ngt_f32_e32 vcc_lo, 0xc2ce8ed0, v9
	v_cmp_nlt_f32_e64 s0, 0x42b17218, v9
	v_fma_f32 v14, 0x3fb8aa3b, v9, -v13
	s_delay_alu instid0(VALU_DEP_1) | instskip(NEXT) | instid1(VALU_DEP_1)
	v_dual_fmac_f32 v14, 0x32a5705f, v9 :: v_dual_sub_f32 v9, v54, v6
	v_mul_f32_e32 v53, 0x3fb8aa3b, v9
	v_cmp_ngt_f32_e64 s1, 0xc2ce8ed0, v9
	v_cmp_nlt_f32_e64 s4, 0x42b17218, v9
	s_delay_alu instid0(VALU_DEP_3) | instskip(NEXT) | instid1(VALU_DEP_1)
	v_fma_f32 v54, 0x3fb8aa3b, v9, -v53
	v_dual_fmac_f32 v54, 0x32a5705f, v9 :: v_dual_sub_f32 v9, v55, v7
	s_delay_alu instid0(VALU_DEP_1) | instskip(SKIP_2) | instid1(VALU_DEP_3)
	v_mul_f32_e32 v55, 0x3fb8aa3b, v9
	v_cmp_ngt_f32_e64 s5, 0xc2ce8ed0, v9
	v_cmp_nlt_f32_e64 s6, 0x42b17218, v9
	v_fma_f32 v56, 0x3fb8aa3b, v9, -v55
	s_delay_alu instid0(VALU_DEP_1) | instskip(SKIP_1) | instid1(VALU_DEP_1)
	v_fmac_f32_e32 v56, 0x32a5705f, v9
	v_rndne_f32_e32 v9, v13
	v_sub_f32_e32 v13, v13, v9
	v_cvt_i32_f32_e32 v9, v9
	s_delay_alu instid0(VALU_DEP_2) | instskip(SKIP_1) | instid1(VALU_DEP_2)
	v_add_f32_e32 v13, v13, v14
	v_rndne_f32_e32 v14, v53
	v_exp_f32_e32 v13, v13
	s_delay_alu instid0(VALU_DEP_1) | instskip(SKIP_1) | instid1(VALU_DEP_2)
	v_sub_f32_e32 v53, v53, v14
	v_cvt_i32_f32_e32 v14, v14
	v_add_f32_e32 v53, v53, v54
	v_rndne_f32_e32 v54, v55
	s_waitcnt_depctr 0xfff
	v_ldexp_f32 v9, v13, v9
	v_exp_f32_e32 v13, v53
	v_sub_f32_e32 v55, v55, v54
	v_cvt_i32_f32_e32 v54, v54
	s_delay_alu instid0(VALU_DEP_3) | instskip(SKIP_1) | instid1(VALU_DEP_4)
	v_cndmask_b32_e32 v9, 0, v9, vcc_lo
	v_cmp_gt_u32_e32 vcc_lo, s9, v63
	v_add_f32_e32 v55, v55, v56
	s_delay_alu instid0(VALU_DEP_3) | instskip(NEXT) | instid1(TRANS32_DEP_1)
	v_cndmask_b32_e64 v9, 0x7f800000, v9, s0
	v_ldexp_f32 v13, v13, v14
	v_mul_f32_e32 v14, 0x3fb8aa3b, v10
	s_delay_alu instid0(VALU_DEP_2) | instskip(NEXT) | instid1(VALU_DEP_2)
	v_cndmask_b32_e64 v13, 0, v13, s1
	v_fma_f32 v53, 0x3fb8aa3b, v10, -v14
	v_rndne_f32_e32 v56, v14
	s_delay_alu instid0(VALU_DEP_3) | instskip(NEXT) | instid1(VALU_DEP_2)
	v_cndmask_b32_e64 v13, 0x7f800000, v13, s4
	v_dual_fmac_f32 v53, 0x32a5705f, v10 :: v_dual_sub_f32 v14, v14, v56
	s_delay_alu instid0(VALU_DEP_1) | instskip(SKIP_1) | instid1(VALU_DEP_3)
	v_add_f32_e32 v14, v14, v53
	v_exp_f32_e32 v53, v55
	v_cndmask_b32_e32 v55, 0, v13, vcc_lo
	s_delay_alu instid0(VALU_DEP_2)
	v_exp_f32_e32 v10, v14
	v_cvt_i32_f32_e32 v14, v56
	v_cndmask_b32_e32 v56, 0, v9, vcc_lo
	s_waitcnt_depctr 0xfff
	v_ldexp_f32 v53, v53, v54
	v_cvt_f16_f32_e32 v9, v56
	v_ldexp_f32 v10, v10, v14
	s_delay_alu instid0(VALU_DEP_3) | instskip(NEXT) | instid1(VALU_DEP_2)
	v_cndmask_b32_e64 v14, 0, v53, s5
	v_cndmask_b32_e64 v10, 0, v10, s7
	s_delay_alu instid0(VALU_DEP_2) | instskip(SKIP_1) | instid1(VALU_DEP_3)
	v_cndmask_b32_e64 v14, 0x7f800000, v14, s6
	v_cmp_ngt_f32_e64 s7, 0xc2ce8ed0, v12
	v_cndmask_b32_e64 v10, 0x7f800000, v10, s8
	s_delay_alu instid0(VALU_DEP_3) | instskip(SKIP_1) | instid1(VALU_DEP_3)
	v_cndmask_b32_e32 v54, 0, v14, vcc_lo
	v_cmp_nlt_f32_e64 s8, 0x42b17218, v12
	v_cndmask_b32_e32 v53, 0, v10, vcc_lo
	v_cvt_f16_f32_e32 v10, v55
	s_delay_alu instid0(VALU_DEP_2) | instskip(NEXT) | instid1(VALU_DEP_2)
	v_cvt_f16_f32_e32 v13, v53
	v_pack_b32_f16 v9, v9, v10
	v_cvt_f16_f32_e32 v10, v54
	s_delay_alu instid0(VALU_DEP_1) | instskip(SKIP_3) | instid1(VALU_DEP_1)
	v_pack_b32_f16 v10, v10, v13
	v_lshl_add_u32 v13, v63, 3, v69
	ds_store_b64 v13, v[9:10]
	v_sub_f32_e32 v9, v65, v5
	v_mul_f32_e32 v10, 0x3fb8aa3b, v9
	v_cmp_ngt_f32_e32 vcc_lo, 0xc2ce8ed0, v9
	v_cmp_nlt_f32_e64 s0, 0x42b17218, v9
	s_delay_alu instid0(VALU_DEP_3) | instskip(NEXT) | instid1(VALU_DEP_1)
	v_fma_f32 v13, 0x3fb8aa3b, v9, -v10
	v_fmac_f32_e32 v13, 0x32a5705f, v9
	v_sub_f32_e32 v9, v60, v6
	s_delay_alu instid0(VALU_DEP_1) | instskip(SKIP_2) | instid1(VALU_DEP_3)
	v_mul_f32_e32 v14, 0x3fb8aa3b, v9
	v_cmp_ngt_f32_e64 s1, 0xc2ce8ed0, v9
	v_cmp_nlt_f32_e64 s4, 0x42b17218, v9
	v_fma_f32 v59, 0x3fb8aa3b, v9, -v14
	s_delay_alu instid0(VALU_DEP_1) | instskip(SKIP_1) | instid1(VALU_DEP_1)
	v_fmac_f32_e32 v59, 0x32a5705f, v9
	v_sub_f32_e32 v9, v16, v7
	v_mul_f32_e32 v16, 0x3fb8aa3b, v9
	v_cmp_ngt_f32_e64 s5, 0xc2ce8ed0, v9
	v_cmp_nlt_f32_e64 s6, 0x42b17218, v9
	s_delay_alu instid0(VALU_DEP_3) | instskip(NEXT) | instid1(VALU_DEP_1)
	v_fma_f32 v60, 0x3fb8aa3b, v9, -v16
	v_fmac_f32_e32 v60, 0x32a5705f, v9
	v_rndne_f32_e32 v9, v10
	s_delay_alu instid0(VALU_DEP_1) | instskip(SKIP_1) | instid1(VALU_DEP_2)
	v_sub_f32_e32 v10, v10, v9
	v_cvt_i32_f32_e32 v9, v9
	v_add_f32_e32 v10, v10, v13
	v_rndne_f32_e32 v13, v14
	s_delay_alu instid0(VALU_DEP_2) | instskip(NEXT) | instid1(VALU_DEP_1)
	v_exp_f32_e32 v10, v10
	v_sub_f32_e32 v14, v14, v13
	v_cvt_i32_f32_e32 v13, v13
	s_delay_alu instid0(VALU_DEP_2) | instskip(SKIP_4) | instid1(VALU_DEP_1)
	v_add_f32_e32 v14, v14, v59
	v_rndne_f32_e32 v59, v16
	s_waitcnt_depctr 0xfff
	v_ldexp_f32 v9, v10, v9
	v_exp_f32_e32 v10, v14
	v_dual_sub_f32 v16, v16, v59 :: v_dual_cndmask_b32 v9, 0, v9
	s_delay_alu instid0(VALU_DEP_1) | instskip(NEXT) | instid1(VALU_DEP_2)
	v_add_f32_e32 v16, v16, v60
	v_cndmask_b32_e64 v9, 0x7f800000, v9, s0
	s_waitcnt_depctr 0xfff
	v_ldexp_f32 v10, v10, v13
	v_mul_f32_e32 v13, 0x3fb8aa3b, v12
	s_delay_alu instid0(VALU_DEP_2) | instskip(NEXT) | instid1(VALU_DEP_2)
	v_cndmask_b32_e64 v10, 0, v10, s1
	v_fma_f32 v14, 0x3fb8aa3b, v12, -v13
	v_rndne_f32_e32 v60, v13
	s_delay_alu instid0(VALU_DEP_3) | instskip(NEXT) | instid1(VALU_DEP_3)
	v_cndmask_b32_e64 v10, 0x7f800000, v10, s4
	v_fmac_f32_e32 v14, 0x32a5705f, v12
	s_delay_alu instid0(VALU_DEP_3) | instskip(NEXT) | instid1(VALU_DEP_1)
	v_sub_f32_e32 v13, v13, v60
	v_add_f32_e32 v13, v13, v14
	v_exp_f32_e32 v14, v16
	v_cvt_i32_f32_e32 v16, v59
	s_delay_alu instid0(VALU_DEP_2) | instskip(SKIP_3) | instid1(VALU_DEP_2)
	v_exp_f32_e32 v13, v13
	s_waitcnt_depctr 0xfff
	v_ldexp_f32 v14, v14, v16
	v_cvt_i32_f32_e32 v16, v60
	v_cndmask_b32_e64 v12, 0, v14, s5
	s_delay_alu instid0(VALU_DEP_2) | instskip(SKIP_1) | instid1(VALU_DEP_3)
	v_ldexp_f32 v13, v13, v16
	v_cmp_gt_u32_e64 s5, s9, v64
	v_cndmask_b32_e64 v12, 0x7f800000, v12, s6
	s_delay_alu instid0(VALU_DEP_3) | instskip(NEXT) | instid1(VALU_DEP_3)
	v_cndmask_b32_e64 v13, 0, v13, s7
	v_cndmask_b32_e64 v62, 0, v9, s5
	;; [unrolled: 1-line block ×3, first 2 shown]
	v_cmp_ngt_f32_e64 s7, 0xc2ce8ed0, v11
	v_cndmask_b32_e64 v60, 0, v12, s5
	v_cndmask_b32_e64 v13, 0x7f800000, v13, s8
	v_cmp_nlt_f32_e64 s8, 0x42b17218, v11
	v_cvt_f16_f32_e32 v12, v61
	s_delay_alu instid0(VALU_DEP_4) | instskip(NEXT) | instid1(VALU_DEP_4)
	v_cvt_f16_f32_e32 v9, v60
	v_cndmask_b32_e64 v59, 0, v13, s5
	s_delay_alu instid0(VALU_DEP_1) | instskip(NEXT) | instid1(VALU_DEP_1)
	v_cvt_f16_f32_e32 v10, v59
	v_pack_b32_f16 v10, v9, v10
	v_cvt_f16_f32_e32 v9, v62
	s_delay_alu instid0(VALU_DEP_1) | instskip(SKIP_3) | instid1(VALU_DEP_1)
	v_pack_b32_f16 v9, v9, v12
	v_lshl_add_u32 v12, v64, 3, v69
	ds_store_b64 v12, v[9:10]
	v_sub_f32_e32 v9, v66, v5
	v_mul_f32_e32 v10, 0x3fb8aa3b, v9
	v_cmp_ngt_f32_e32 vcc_lo, 0xc2ce8ed0, v9
	s_delay_alu instid0(VALU_DEP_2) | instskip(SKIP_1) | instid1(VALU_DEP_2)
	v_fma_f32 v12, 0x3fb8aa3b, v9, -v10
	v_rndne_f32_e32 v13, v10
	v_fmac_f32_e32 v12, 0x32a5705f, v9
	s_delay_alu instid0(VALU_DEP_2) | instskip(SKIP_1) | instid1(VALU_DEP_2)
	v_sub_f32_e32 v10, v10, v13
	v_cvt_i32_f32_e32 v13, v13
	v_add_f32_e32 v10, v10, v12
	v_sub_f32_e32 v12, v68, v6
	v_lshl_or_b32 v68, v75, 8, v38
	s_delay_alu instid0(VALU_DEP_3) | instskip(NEXT) | instid1(VALU_DEP_2)
	v_exp_f32_e32 v10, v10
	v_mul_f32_e32 v14, 0x3fb8aa3b, v12
	v_cmp_ngt_f32_e64 s1, 0xc2ce8ed0, v12
	v_cmp_nlt_f32_e64 s4, 0x42b17218, v12
	s_delay_alu instid0(VALU_DEP_3)
	v_fma_f32 v16, 0x3fb8aa3b, v12, -v14
	v_rndne_f32_e32 v63, v14
	s_waitcnt_depctr 0xfff
	v_ldexp_f32 v10, v10, v13
	v_fmac_f32_e32 v16, 0x32a5705f, v12
	v_sub_f32_e32 v14, v14, v63
	v_cvt_i32_f32_e32 v13, v63
	v_sub_f32_e32 v12, v15, v7
	v_cndmask_b32_e32 v10, 0, v10, vcc_lo
	v_cmp_nlt_f32_e64 s0, 0x42b17218, v9
	v_add_f32_e32 v14, v14, v16
	v_cmp_gt_i32_e32 vcc_lo, s9, v75
	v_cmp_ngt_f32_e64 s5, 0xc2ce8ed0, v12
	v_cmp_nlt_f32_e64 s6, 0x42b17218, v12
	v_cndmask_b32_e64 v10, 0x7f800000, v10, s0
	v_exp_f32_e32 v9, v14
	s_mul_i32 s0, s12, s13
	s_waitcnt_depctr 0xfff
	v_ldexp_f32 v9, v9, v13
	v_mul_f32_e32 v13, 0x3fb8aa3b, v12
	s_delay_alu instid0(VALU_DEP_2) | instskip(NEXT) | instid1(VALU_DEP_2)
	v_cndmask_b32_e64 v9, 0, v9, s1
	v_fma_f32 v14, 0x3fb8aa3b, v12, -v13
	v_rndne_f32_e32 v15, v13
	s_mul_hi_i32 s1, s12, s13
	s_delay_alu instid0(VALU_DEP_3) | instskip(NEXT) | instid1(VALU_DEP_2)
	v_cndmask_b32_e64 v9, 0x7f800000, v9, s4
	v_dual_fmac_f32 v14, 0x32a5705f, v12 :: v_dual_sub_f32 v13, v13, v15
	v_cvt_i32_f32_e32 v15, v15
	s_lshl_b64 s[0:1], s[0:1], 2
	s_lshl_b32 s4, s13, 4
	s_delay_alu instid0(VALU_DEP_2) | instskip(NEXT) | instid1(VALU_DEP_1)
	v_dual_add_f32 v13, v13, v14 :: v_dual_mul_f32 v14, 0x3fb8aa3b, v11
	v_fma_f32 v16, 0x3fb8aa3b, v11, -v14
	v_rndne_f32_e32 v63, v14
	s_delay_alu instid0(VALU_DEP_2) | instskip(NEXT) | instid1(VALU_DEP_2)
	v_fmac_f32_e32 v16, 0x32a5705f, v11
	v_sub_f32_e32 v14, v14, v63
	v_exp_f32_e32 v13, v13
	s_delay_alu instid0(VALU_DEP_1) | instskip(NEXT) | instid1(VALU_DEP_1)
	v_add_f32_e32 v14, v14, v16
	v_exp_f32_e32 v12, v14
	v_cvt_i32_f32_e32 v14, v63
	s_waitcnt_depctr 0xfff
	v_ldexp_f32 v13, v13, v15
	s_delay_alu instid0(VALU_DEP_1) | instskip(SKIP_3) | instid1(VALU_DEP_4)
	v_cndmask_b32_e64 v11, 0, v13, s5
	v_cmp_gt_u32_e64 s5, s9, v67
	v_mul_lo_u32 v13, s13, v75
	v_ldexp_f32 v12, v12, v14
	v_cndmask_b32_e64 v11, 0x7f800000, v11, s6
	s_delay_alu instid0(VALU_DEP_4) | instskip(SKIP_1) | instid1(VALU_DEP_4)
	v_cndmask_b32_e64 v66, 0, v10, s5
	v_cndmask_b32_e64 v65, 0, v9, s5
	;; [unrolled: 1-line block ×3, first 2 shown]
	s_mov_b64 s[6:7], src_shared_base
	v_cndmask_b32_e64 v64, 0, v11, s5
	v_ashrrev_i32_e32 v14, 31, v13
	v_cvt_f16_f32_e32 v11, v65
	v_cndmask_b32_e64 v12, 0x7f800000, v12, s8
	s_delay_alu instid0(VALU_DEP_4) | instskip(NEXT) | instid1(VALU_DEP_4)
	v_cvt_f16_f32_e32 v9, v64
	v_lshlrev_b64 v[15:16], 2, v[13:14]
	s_delay_alu instid0(VALU_DEP_3) | instskip(SKIP_2) | instid1(VALU_DEP_1)
	v_cndmask_b32_e64 v63, 0, v12, s5
	s_add_u32 s5, s15, s0
	s_addc_u32 s6, s18, s1
	v_cvt_f16_f32_e32 v10, v63
	s_delay_alu instid0(VALU_DEP_1) | instskip(SKIP_1) | instid1(VALU_DEP_1)
	v_pack_b32_f16 v10, v9, v10
	v_cvt_f16_f32_e32 v9, v66
	v_pack_b32_f16 v9, v9, v11
	v_lshl_add_u32 v11, v67, 3, v69
	v_add_nc_u32_e32 v67, 0x9804, v0
	v_add_nc_u32_e32 v69, 16, v75
	ds_store_b64 v11, v[9:10]
	v_add_co_u32 v9, s0, s5, v15
	s_delay_alu instid0(VALU_DEP_1) | instskip(SKIP_3) | instid1(VALU_DEP_1)
	v_add_co_ci_u32_e64 v10, s0, s6, v16, s0
	ds_store_2addr_b32 v67, v40, v40 offset1:1
	ds_store_b32 v0, v40 offset:38924
	v_add_co_u32 v9, s1, v9, v38
	v_add_co_ci_u32_e64 v10, s0, 0, v10, s1
	s_delay_alu instid0(VALU_DEP_2) | instskip(NEXT) | instid1(VALU_DEP_2)
	v_cndmask_b32_e32 v9, v39, v9, vcc_lo
	v_cndmask_b32_e32 v10, s7, v10, vcc_lo
	v_cmp_gt_i32_e32 vcc_lo, s9, v69
	v_add_nc_u32_e32 v70, s4, v13
	flat_load_b128 v[9:12], v[9:10]
	v_ashrrev_i32_e32 v71, 31, v70
	s_waitcnt vmcnt(0) lgkmcnt(0)
	ds_store_b128 v68, v[9:12]
	v_lshlrev_b64 v[9:10], 2, v[70:71]
	ds_store_b32 v0, v40 offset:38912
	ds_store_2addr_b32 v67, v40, v40 offset1:1
	ds_store_b32 v0, v40 offset:38924
	v_lshl_or_b32 v71, v69, 8, v38
	v_add_co_u32 v11, s0, s5, v9
	s_delay_alu instid0(VALU_DEP_1) | instskip(NEXT) | instid1(VALU_DEP_2)
	v_add_co_ci_u32_e64 v12, s0, s6, v10, s0
	v_add_co_u32 v11, s1, v11, v38
	s_delay_alu instid0(VALU_DEP_1) | instskip(NEXT) | instid1(VALU_DEP_2)
	v_add_co_ci_u32_e64 v12, s0, 0, v12, s1
	v_cndmask_b32_e32 v11, v39, v11, vcc_lo
	s_delay_alu instid0(VALU_DEP_2)
	v_cndmask_b32_e32 v12, s7, v12, vcc_lo
	flat_load_b128 v[11:14], v[11:12]
	s_waitcnt vmcnt(0) lgkmcnt(0)
	ds_store_b128 v71, v[11:14]
	v_add_nc_u32_e32 v13, s4, v70
	v_add_nc_u32_e32 v70, 32, v75
	ds_store_b32 v0, v40 offset:38912
	ds_store_2addr_b32 v67, v40, v40 offset1:1
	ds_store_b32 v0, v40 offset:38924
	v_ashrrev_i32_e32 v14, 31, v13
	v_cmp_gt_i32_e32 vcc_lo, s9, v70
	s_delay_alu instid0(VALU_DEP_2) | instskip(SKIP_2) | instid1(VALU_DEP_3)
	v_lshlrev_b64 v[11:12], 2, v[13:14]
	v_add_nc_u32_e32 v13, s4, v13
	v_cmp_nlt_f32_e64 s4, 0x42b17218, v2
	v_add_co_u32 v14, s0, s5, v11
	s_delay_alu instid0(VALU_DEP_1) | instskip(NEXT) | instid1(VALU_DEP_2)
	v_add_co_ci_u32_e64 v72, s0, s6, v12, s0
	v_add_co_u32 v14, s1, v14, v38
	s_delay_alu instid0(VALU_DEP_1) | instskip(NEXT) | instid1(VALU_DEP_2)
	v_add_co_ci_u32_e64 v72, s0, 0, v72, s1
	v_cndmask_b32_e32 v73, v39, v14, vcc_lo
	v_ashrrev_i32_e32 v14, 31, v13
	s_delay_alu instid0(VALU_DEP_3) | instskip(SKIP_1) | instid1(VALU_DEP_3)
	v_cndmask_b32_e32 v74, s7, v72, vcc_lo
	v_lshl_or_b32 v72, v70, 8, v38
	v_lshlrev_b64 v[13:14], 2, v[13:14]
	flat_load_b128 v[76:79], v[73:74]
	v_add_nc_u32_e32 v74, 48, v75
	v_add_co_u32 v73, s0, s5, v13
	s_delay_alu instid0(VALU_DEP_2) | instskip(SKIP_1) | instid1(VALU_DEP_3)
	v_cmp_gt_i32_e32 vcc_lo, s9, v74
	v_cmp_ngt_f32_e64 s5, 0xc2ce8ed0, v3
	v_add_co_u32 v73, s1, v73, v38
	s_waitcnt vmcnt(0) lgkmcnt(0)
	ds_store_b128 v72, v[76:79]
	v_add_co_ci_u32_e64 v76, s0, s6, v14, s0
	v_cmp_nlt_f32_e64 s6, 0x42b17218, v3
	s_delay_alu instid0(VALU_DEP_2)
	v_add_co_ci_u32_e64 v77, s0, 0, v76, s1
	v_cndmask_b32_e32 v76, v39, v73, vcc_lo
	ds_store_b32 v0, v40 offset:38912
	ds_store_2addr_b32 v67, v40, v40 offset1:1
	ds_store_b32 v0, v40 offset:38924
	v_lshl_or_b32 v73, v74, 8, v38
	v_cndmask_b32_e32 v77, s7, v77, vcc_lo
	v_cmp_ngt_f32_e32 vcc_lo, 0xc2ce8ed0, v1
	v_cmp_nlt_f32_e64 s0, 0x42b17218, v1
	v_cmp_ngt_f32_e64 s1, 0xc2ce8ed0, v2
	flat_load_b128 v[76:79], v[76:77]
	s_waitcnt vmcnt(0) lgkmcnt(0)
	ds_store_b128 v73, v[76:79]
	v_mul_f32_e32 v76, 0x3fb8aa3b, v1
	s_waitcnt lgkmcnt(0)
	s_barrier
	buffer_gl0_inv
	v_fma_f32 v77, 0x3fb8aa3b, v1, -v76
	s_delay_alu instid0(VALU_DEP_1) | instskip(SKIP_1) | instid1(VALU_DEP_1)
	v_fmac_f32_e32 v77, 0x32a5705f, v1
	v_mul_f32_e32 v1, 0x3fb8aa3b, v2
	v_fma_f32 v78, 0x3fb8aa3b, v2, -v1
	s_delay_alu instid0(VALU_DEP_1) | instskip(SKIP_1) | instid1(VALU_DEP_1)
	v_fmac_f32_e32 v78, 0x32a5705f, v2
	v_mul_f32_e32 v2, 0x3fb8aa3b, v3
	v_fma_f32 v79, 0x3fb8aa3b, v3, -v2
	s_delay_alu instid0(VALU_DEP_1) | instskip(SKIP_1) | instid1(VALU_DEP_1)
	v_fmac_f32_e32 v79, 0x32a5705f, v3
	v_rndne_f32_e32 v3, v76
	v_sub_f32_e32 v76, v76, v3
	v_cvt_i32_f32_e32 v3, v3
	s_delay_alu instid0(VALU_DEP_2) | instskip(SKIP_1) | instid1(VALU_DEP_2)
	v_add_f32_e32 v76, v76, v77
	v_rndne_f32_e32 v77, v1
	v_exp_f32_e32 v76, v76
	s_delay_alu instid0(VALU_DEP_1) | instskip(NEXT) | instid1(VALU_DEP_1)
	v_sub_f32_e32 v1, v1, v77
	v_add_f32_e32 v1, v1, v78
	v_rndne_f32_e32 v78, v2
	s_waitcnt_depctr 0xfff
	v_ldexp_f32 v3, v76, v3
	v_cvt_i32_f32_e32 v76, v77
	v_sub_f32_e32 v2, v2, v78
	s_delay_alu instid0(VALU_DEP_1)
	v_add_f32_e32 v2, v2, v79
	v_exp_f32_e32 v1, v1
	s_waitcnt_depctr 0xfff
	v_ldexp_f32 v84, v1, v76
	v_exp_f32_e32 v1, v2
	v_cvt_i32_f32_e32 v2, v78
	ds_load_2addr_b64 v[76:79], v37 offset1:32
	ds_load_b128 v[80:83], v36 offset:18432
	v_ldexp_f32 v85, v1, v2
	v_cndmask_b32_e32 v1, 0, v3, vcc_lo
	v_cmp_ngt_f32_e32 vcc_lo, 0xc2ce8ed0, v4
	s_delay_alu instid0(VALU_DEP_2) | instskip(SKIP_1) | instid1(VALU_DEP_2)
	v_cndmask_b32_e64 v1, 0x7f800000, v1, s0
	v_cmp_nlt_f32_e64 s0, 0x42b17218, v4
	v_cvt_f16_f32_e32 v2, v1
	s_waitcnt lgkmcnt(0)
	v_pk_mul_f16 v3, v76, v80 op_sel_hi:[1,0]
	v_pk_mul_f16 v87, v76, v81 op_sel_hi:[1,0]
	s_delay_alu instid0(VALU_DEP_3) | instskip(NEXT) | instid1(VALU_DEP_3)
	v_pk_mul_f16 v49, v2, v49 op_sel_hi:[0,1]
	v_pk_fma_f16 v48, v2, v48, v3 op_sel_hi:[0,1,1]
	v_cndmask_b32_e64 v2, 0, v84, s1
	v_pk_mul_f16 v84, v76, v80 op_sel:[0,1]
	s_delay_alu instid0(VALU_DEP_4) | instskip(NEXT) | instid1(VALU_DEP_4)
	v_pk_fma_f16 v49, v77, v80, v49 op_sel_hi:[1,0,1]
	v_pk_fma_f16 v48, v78, v82, v48 op_sel_hi:[1,0,1]
	s_delay_alu instid0(VALU_DEP_4) | instskip(NEXT) | instid1(VALU_DEP_3)
	v_cndmask_b32_e64 v2, 0x7f800000, v2, s4
	v_pk_fma_f16 v49, v79, v82, v49 op_sel_hi:[1,0,1]
	s_delay_alu instid0(VALU_DEP_2) | instskip(NEXT) | instid1(VALU_DEP_1)
	v_cvt_f16_f32_e32 v3, v2
	v_pk_fma_f16 v46, v3, v46, v84 op_sel_hi:[0,1,1]
	v_pk_mul_f16 v47, v3, v47 op_sel_hi:[0,1]
	v_mul_f32_e32 v3, 0x3fb8aa3b, v4
	s_delay_alu instid0(VALU_DEP_2) | instskip(NEXT) | instid1(VALU_DEP_2)
	v_pk_fma_f16 v47, v77, v80, v47 op_sel:[0,1,0]
	v_fma_f32 v84, 0x3fb8aa3b, v4, -v3
	v_rndne_f32_e32 v86, v3
	s_delay_alu instid0(VALU_DEP_3) | instskip(NEXT) | instid1(VALU_DEP_2)
	v_pk_fma_f16 v80, v79, v82, v47 op_sel:[0,1,0]
	v_dual_fmac_f32 v84, 0x32a5705f, v4 :: v_dual_sub_f32 v3, v3, v86
	v_pk_fma_f16 v82, v78, v82, v46 op_sel:[0,1,0]
	s_delay_alu instid0(VALU_DEP_2) | instskip(SKIP_1) | instid1(VALU_DEP_2)
	v_add_f32_e32 v84, v3, v84
	v_cndmask_b32_e64 v3, 0, v85, s5
	v_exp_f32_e32 v84, v84
	s_delay_alu instid0(VALU_DEP_1) | instskip(NEXT) | instid1(VALU_DEP_1)
	v_cndmask_b32_e64 v3, 0x7f800000, v3, s6
	v_cvt_f16_f32_e32 v85, v3
	s_delay_alu instid0(VALU_DEP_1) | instskip(SKIP_2) | instid1(VALU_DEP_2)
	v_pk_fma_f16 v44, v85, v44, v87 op_sel_hi:[0,1,1]
	v_pk_mul_f16 v45, v85, v45 op_sel_hi:[0,1]
	v_cvt_i32_f32_e32 v85, v86
	v_pk_fma_f16 v45, v77, v81, v45 op_sel_hi:[1,0,1]
	s_delay_alu instid0(TRANS32_DEP_1) | instid1(VALU_DEP_2)
	v_ldexp_f32 v84, v84, v85
	s_delay_alu instid0(VALU_DEP_1) | instskip(NEXT) | instid1(VALU_DEP_1)
	v_cndmask_b32_e32 v4, 0, v84, vcc_lo
	v_cndmask_b32_e64 v4, 0x7f800000, v4, s0
	s_or_b32 s0, s12, 64
	s_delay_alu instid0(SALU_CYCLE_1) | instskip(SKIP_1) | instid1(VALU_DEP_1)
	s_mul_hi_i32 s1, s0, s13
	s_mul_i32 s0, s0, s13
	v_cvt_f16_f32_e32 v84, v4
	s_lshl_b64 s[4:5], s[0:1], 2
	s_delay_alu instid0(SALU_CYCLE_1) | instskip(SKIP_1) | instid1(VALU_DEP_1)
	s_add_u32 s1, s15, s4
	s_addc_u32 s4, s18, s5
	v_pk_mul_f16 v42, v84, v42 op_sel_hi:[0,1]
	v_pk_mul_f16 v41, v84, v41 op_sel_hi:[0,1]
	v_add_co_u32 v15, vcc_lo, s1, v15
	s_sub_i32 s5, s9, 64
	s_delay_alu instid0(VALU_DEP_3) | instskip(NEXT) | instid1(VALU_DEP_3)
	v_pk_fma_f16 v42, v76, v81, v42 op_sel:[0,1,0]
	v_pk_fma_f16 v41, v77, v81, v41 op_sel:[0,1,0]
	v_pk_fma_f16 v81, v79, v83, v45 op_sel_hi:[1,0,1]
	v_add_co_ci_u32_e32 v16, vcc_lo, s4, v16, vcc_lo
	s_delay_alu instid0(VALU_DEP_4) | instskip(NEXT) | instid1(VALU_DEP_4)
	v_pk_fma_f16 v42, v78, v83, v42 op_sel:[0,1,0]
	v_pk_fma_f16 v41, v79, v83, v41 op_sel:[0,1,0]
	v_pk_fma_f16 v83, v78, v83, v44 op_sel_hi:[1,0,1]
	ds_load_b128 v[44:47], v36 offset:18448
	ds_load_2addr_b64 v[76:79], v37 offset0:64 offset1:96
	v_cmp_gt_i32_e32 vcc_lo, s5, v75
	v_add_co_u32 v15, s0, v15, v38
	s_delay_alu instid0(VALU_DEP_1) | instskip(NEXT) | instid1(VALU_DEP_2)
	v_add_co_ci_u32_e64 v16, s0, 0, v16, s0
	v_cndmask_b32_e32 v15, v39, v15, vcc_lo
	s_delay_alu instid0(VALU_DEP_2) | instskip(SKIP_3) | instid1(VALU_DEP_3)
	v_cndmask_b32_e32 v16, s7, v16, vcc_lo
	v_add_co_u32 v9, vcc_lo, s1, v9
	v_add_co_ci_u32_e32 v10, vcc_lo, s4, v10, vcc_lo
	v_cmp_gt_i32_e32 vcc_lo, s5, v69
	v_add_co_u32 v9, s0, v9, v38
	s_delay_alu instid0(VALU_DEP_1)
	v_add_co_ci_u32_e64 v10, s0, 0, v10, s0
	s_waitcnt lgkmcnt(0)
	v_pk_fma_f16 v42, v76, v45, v42 op_sel:[0,1,0]
	v_pk_fma_f16 v49, v77, v44, v49 op_sel_hi:[1,0,1]
	v_pk_fma_f16 v80, v77, v44, v80 op_sel:[0,1,0]
	v_pk_fma_f16 v81, v77, v45, v81 op_sel_hi:[1,0,1]
	v_pk_fma_f16 v41, v77, v45, v41 op_sel:[0,1,0]
	v_pk_fma_f16 v48, v76, v44, v48 op_sel_hi:[1,0,1]
	v_pk_fma_f16 v44, v76, v44, v82 op_sel:[0,1,0]
	v_pk_fma_f16 v45, v76, v45, v83 op_sel_hi:[1,0,1]
	v_pk_fma_f16 v42, v78, v47, v42 op_sel:[0,1,0]
	v_pk_fma_f16 v49, v79, v46, v49 op_sel_hi:[1,0,1]
	v_pk_fma_f16 v80, v79, v46, v80 op_sel:[0,1,0]
	v_pk_fma_f16 v81, v79, v47, v81 op_sel_hi:[1,0,1]
	v_pk_fma_f16 v41, v79, v47, v41 op_sel:[0,1,0]
	v_pk_fma_f16 v48, v78, v46, v48 op_sel_hi:[1,0,1]
	v_pk_fma_f16 v82, v78, v46, v44 op_sel:[0,1,0]
	v_pk_fma_f16 v83, v78, v47, v45 op_sel_hi:[1,0,1]
	ds_load_b128 v[44:47], v36 offset:18464
	ds_load_2addr_b64 v[76:79], v37 offset0:128 offset1:160
	v_cndmask_b32_e32 v9, v39, v9, vcc_lo
	v_cndmask_b32_e32 v10, s7, v10, vcc_lo
	s_waitcnt lgkmcnt(0)
	v_pk_fma_f16 v42, v76, v45, v42 op_sel:[0,1,0]
	v_pk_fma_f16 v49, v77, v44, v49 op_sel_hi:[1,0,1]
	v_pk_fma_f16 v80, v77, v44, v80 op_sel:[0,1,0]
	v_pk_fma_f16 v81, v77, v45, v81 op_sel_hi:[1,0,1]
	;; [unrolled: 2-line block ×8, first 2 shown]
	ds_load_b128 v[44:47], v36 offset:18480
	ds_load_2addr_b64 v[76:79], v37 offset0:192 offset1:224
	s_waitcnt lgkmcnt(0)
	v_pk_fma_f16 v41, v77, v45, v41 op_sel:[0,1,0]
	v_pk_fma_f16 v42, v76, v45, v42 op_sel:[0,1,0]
	v_pk_fma_f16 v49, v77, v44, v49 op_sel_hi:[1,0,1]
	v_pk_fma_f16 v80, v77, v44, v80 op_sel:[0,1,0]
	v_pk_fma_f16 v81, v77, v45, v81 op_sel_hi:[1,0,1]
	v_pk_fma_f16 v48, v76, v44, v48 op_sel_hi:[1,0,1]
	v_pk_fma_f16 v44, v76, v44, v82 op_sel:[0,1,0]
	v_pk_fma_f16 v45, v76, v45, v83 op_sel_hi:[1,0,1]
	v_pk_fma_f16 v82, v79, v47, v41 op_sel:[0,1,0]
	v_add_nc_u32_e32 v41, 0x800, v37
	v_pk_fma_f16 v42, v78, v47, v42 op_sel:[0,1,0]
	v_pk_fma_f16 v49, v79, v46, v49 op_sel_hi:[1,0,1]
	v_pk_fma_f16 v80, v79, v46, v80 op_sel:[0,1,0]
	v_pk_fma_f16 v81, v79, v47, v81 op_sel_hi:[1,0,1]
	v_pk_fma_f16 v48, v78, v46, v48 op_sel_hi:[1,0,1]
	v_pk_fma_f16 v83, v78, v46, v44 op_sel:[0,1,0]
	v_pk_fma_f16 v84, v78, v47, v45 op_sel_hi:[1,0,1]
	ds_load_2addr_b64 v[44:47], v41 offset1:32
	ds_load_b128 v[76:79], v36 offset:18496
	s_waitcnt lgkmcnt(0)
	v_pk_fma_f16 v42, v44, v77, v42 op_sel:[0,1,0]
	v_pk_fma_f16 v49, v45, v76, v49 op_sel_hi:[1,0,1]
	v_pk_fma_f16 v80, v45, v76, v80 op_sel:[0,1,0]
	v_pk_fma_f16 v81, v45, v77, v81 op_sel_hi:[1,0,1]
	v_pk_fma_f16 v45, v45, v77, v82 op_sel:[0,1,0]
	v_pk_fma_f16 v48, v44, v76, v48 op_sel_hi:[1,0,1]
	v_pk_fma_f16 v76, v44, v76, v83 op_sel:[0,1,0]
	v_pk_fma_f16 v44, v44, v77, v84 op_sel_hi:[1,0,1]
	v_pk_fma_f16 v42, v46, v79, v42 op_sel:[0,1,0]
	v_pk_fma_f16 v49, v47, v78, v49 op_sel_hi:[1,0,1]
	v_pk_fma_f16 v80, v47, v78, v80 op_sel:[0,1,0]
	v_pk_fma_f16 v81, v47, v79, v81 op_sel_hi:[1,0,1]
	v_pk_fma_f16 v82, v47, v79, v45 op_sel:[0,1,0]
	v_pk_fma_f16 v48, v46, v78, v48 op_sel_hi:[1,0,1]
	v_pk_fma_f16 v83, v46, v78, v76 op_sel:[0,1,0]
	v_pk_fma_f16 v84, v46, v79, v44 op_sel_hi:[1,0,1]
	ds_load_2addr_b64 v[44:47], v41 offset0:64 offset1:96
	ds_load_b128 v[76:79], v36 offset:18512
	s_waitcnt lgkmcnt(0)
	v_pk_fma_f16 v42, v44, v77, v42 op_sel:[0,1,0]
	v_pk_fma_f16 v49, v45, v76, v49 op_sel_hi:[1,0,1]
	v_pk_fma_f16 v80, v45, v76, v80 op_sel:[0,1,0]
	v_pk_fma_f16 v81, v45, v77, v81 op_sel_hi:[1,0,1]
	v_pk_fma_f16 v45, v45, v77, v82 op_sel:[0,1,0]
	v_pk_fma_f16 v48, v44, v76, v48 op_sel_hi:[1,0,1]
	v_pk_fma_f16 v76, v44, v76, v83 op_sel:[0,1,0]
	v_pk_fma_f16 v44, v44, v77, v84 op_sel_hi:[1,0,1]
	v_pk_fma_f16 v42, v46, v79, v42 op_sel:[0,1,0]
	v_pk_fma_f16 v49, v47, v78, v49 op_sel_hi:[1,0,1]
	v_pk_fma_f16 v80, v47, v78, v80 op_sel:[0,1,0]
	v_pk_fma_f16 v81, v47, v79, v81 op_sel_hi:[1,0,1]
	v_pk_fma_f16 v82, v47, v79, v45 op_sel:[0,1,0]
	v_pk_fma_f16 v48, v46, v78, v48 op_sel_hi:[1,0,1]
	v_pk_fma_f16 v83, v46, v78, v76 op_sel:[0,1,0]
	v_pk_fma_f16 v84, v46, v79, v44 op_sel_hi:[1,0,1]
	ds_load_2addr_b64 v[44:47], v41 offset0:128 offset1:160
	;; [unrolled: 19-line block ×3, first 2 shown]
	ds_load_b128 v[76:79], v36 offset:18544
	s_waitcnt lgkmcnt(0)
	v_pk_fma_f16 v42, v44, v77, v42 op_sel:[0,1,0]
	v_pk_fma_f16 v49, v45, v76, v49 op_sel_hi:[1,0,1]
	v_pk_fma_f16 v80, v45, v76, v80 op_sel:[0,1,0]
	v_pk_fma_f16 v81, v45, v77, v81 op_sel_hi:[1,0,1]
	v_pk_fma_f16 v45, v45, v77, v82 op_sel:[0,1,0]
	v_pk_fma_f16 v48, v44, v76, v48 op_sel_hi:[1,0,1]
	v_pk_fma_f16 v76, v44, v76, v83 op_sel:[0,1,0]
	v_pk_fma_f16 v44, v44, v77, v84 op_sel_hi:[1,0,1]
	v_pk_fma_f16 v82, v46, v79, v42 op_sel:[0,1,0]
	v_add_nc_u32_e32 v42, 0x1000, v37
	v_pk_fma_f16 v49, v47, v78, v49 op_sel_hi:[1,0,1]
	v_pk_fma_f16 v80, v47, v78, v80 op_sel:[0,1,0]
	v_pk_fma_f16 v81, v47, v79, v81 op_sel_hi:[1,0,1]
	v_pk_fma_f16 v83, v47, v79, v45 op_sel:[0,1,0]
	;; [unrolled: 2-line block ×3, first 2 shown]
	v_pk_fma_f16 v85, v46, v79, v44 op_sel_hi:[1,0,1]
	ds_load_2addr_b64 v[44:47], v42 offset1:32
	ds_load_b128 v[76:79], v36 offset:18560
	s_waitcnt lgkmcnt(0)
	v_pk_fma_f16 v82, v44, v77, v82 op_sel:[0,1,0]
	v_pk_fma_f16 v49, v45, v76, v49 op_sel_hi:[1,0,1]
	v_pk_fma_f16 v80, v45, v76, v80 op_sel:[0,1,0]
	v_pk_fma_f16 v81, v45, v77, v81 op_sel_hi:[1,0,1]
	v_pk_fma_f16 v45, v45, v77, v83 op_sel:[0,1,0]
	v_pk_fma_f16 v48, v44, v76, v48 op_sel_hi:[1,0,1]
	v_pk_fma_f16 v76, v44, v76, v84 op_sel:[0,1,0]
	v_pk_fma_f16 v44, v44, v77, v85 op_sel_hi:[1,0,1]
	v_pk_fma_f16 v82, v46, v79, v82 op_sel:[0,1,0]
	v_pk_fma_f16 v49, v47, v78, v49 op_sel_hi:[1,0,1]
	v_pk_fma_f16 v80, v47, v78, v80 op_sel:[0,1,0]
	v_pk_fma_f16 v81, v47, v79, v81 op_sel_hi:[1,0,1]
	v_pk_fma_f16 v83, v47, v79, v45 op_sel:[0,1,0]
	v_pk_fma_f16 v48, v46, v78, v48 op_sel_hi:[1,0,1]
	v_pk_fma_f16 v84, v46, v78, v76 op_sel:[0,1,0]
	v_pk_fma_f16 v85, v46, v79, v44 op_sel_hi:[1,0,1]
	ds_load_2addr_b64 v[44:47], v42 offset0:64 offset1:96
	ds_load_b128 v[76:79], v36 offset:18576
	s_waitcnt lgkmcnt(0)
	v_pk_fma_f16 v82, v44, v77, v82 op_sel:[0,1,0]
	v_pk_fma_f16 v49, v45, v76, v49 op_sel_hi:[1,0,1]
	v_pk_fma_f16 v80, v45, v76, v80 op_sel:[0,1,0]
	v_pk_fma_f16 v81, v45, v77, v81 op_sel_hi:[1,0,1]
	v_pk_fma_f16 v45, v45, v77, v83 op_sel:[0,1,0]
	v_pk_fma_f16 v48, v44, v76, v48 op_sel_hi:[1,0,1]
	v_pk_fma_f16 v76, v44, v76, v84 op_sel:[0,1,0]
	v_pk_fma_f16 v44, v44, v77, v85 op_sel_hi:[1,0,1]
	v_pk_fma_f16 v82, v46, v79, v82 op_sel:[0,1,0]
	v_pk_fma_f16 v49, v47, v78, v49 op_sel_hi:[1,0,1]
	v_pk_fma_f16 v80, v47, v78, v80 op_sel:[0,1,0]
	v_pk_fma_f16 v81, v47, v79, v81 op_sel_hi:[1,0,1]
	v_pk_fma_f16 v83, v47, v79, v45 op_sel:[0,1,0]
	v_pk_fma_f16 v48, v46, v78, v48 op_sel_hi:[1,0,1]
	v_pk_fma_f16 v84, v46, v78, v76 op_sel:[0,1,0]
	v_pk_fma_f16 v85, v46, v79, v44 op_sel_hi:[1,0,1]
	ds_load_2addr_b64 v[44:47], v42 offset0:128 offset1:160
	;; [unrolled: 19-line block ×3, first 2 shown]
	ds_load_b128 v[76:79], v36 offset:18608
	s_waitcnt lgkmcnt(0)
	v_pk_fma_f16 v82, v44, v77, v82 op_sel:[0,1,0]
	v_pk_fma_f16 v49, v45, v76, v49 op_sel_hi:[1,0,1]
	v_pk_fma_f16 v80, v45, v76, v80 op_sel:[0,1,0]
	v_pk_fma_f16 v48, v44, v76, v48 op_sel_hi:[1,0,1]
	;; [unrolled: 2-line block ×3, first 2 shown]
	v_pk_fma_f16 v81, v45, v77, v81 op_sel_hi:[1,0,1]
	v_pk_fma_f16 v45, v45, v77, v83 op_sel:[0,1,0]
	v_pk_fma_f16 v82, v46, v79, v82 op_sel:[0,1,0]
	v_pk_fma_f16 v49, v47, v78, v49 op_sel_hi:[1,0,1]
	v_pk_fma_f16 v86, v46, v79, v44 op_sel_hi:[1,0,1]
	v_add_nc_u32_e32 v44, 0x1800, v37
	v_pk_fma_f16 v80, v47, v78, v80 op_sel:[0,1,0]
	v_pk_fma_f16 v81, v47, v79, v81 op_sel_hi:[1,0,1]
	v_pk_fma_f16 v83, v47, v79, v45 op_sel:[0,1,0]
	v_pk_fma_f16 v84, v46, v78, v48 op_sel_hi:[1,0,1]
	v_pk_fma_f16 v85, v46, v78, v76 op_sel:[0,1,0]
	ds_load_2addr_b64 v[45:48], v44 offset1:32
	ds_load_b128 v[76:79], v36 offset:18624
	s_waitcnt lgkmcnt(0)
	v_pk_fma_f16 v82, v45, v77, v82 op_sel:[0,1,0]
	v_pk_fma_f16 v49, v46, v76, v49 op_sel_hi:[1,0,1]
	v_pk_fma_f16 v80, v46, v76, v80 op_sel:[0,1,0]
	v_pk_fma_f16 v81, v46, v77, v81 op_sel_hi:[1,0,1]
	v_pk_fma_f16 v46, v46, v77, v83 op_sel:[0,1,0]
	v_pk_fma_f16 v83, v45, v76, v84 op_sel_hi:[1,0,1]
	v_pk_fma_f16 v76, v45, v76, v85 op_sel:[0,1,0]
	v_pk_fma_f16 v45, v45, v77, v86 op_sel_hi:[1,0,1]
	v_pk_fma_f16 v82, v47, v79, v82 op_sel:[0,1,0]
	v_pk_fma_f16 v49, v48, v78, v49 op_sel_hi:[1,0,1]
	v_pk_fma_f16 v80, v48, v78, v80 op_sel:[0,1,0]
	v_pk_fma_f16 v81, v48, v79, v81 op_sel_hi:[1,0,1]
	v_pk_fma_f16 v84, v48, v79, v46 op_sel:[0,1,0]
	v_pk_fma_f16 v83, v47, v78, v83 op_sel_hi:[1,0,1]
	v_pk_fma_f16 v85, v47, v78, v76 op_sel:[0,1,0]
	v_pk_fma_f16 v86, v47, v79, v45 op_sel_hi:[1,0,1]
	ds_load_2addr_b64 v[45:48], v44 offset0:64 offset1:96
	ds_load_b128 v[76:79], v36 offset:18640
	s_waitcnt lgkmcnt(0)
	v_pk_fma_f16 v82, v45, v77, v82 op_sel:[0,1,0]
	v_pk_fma_f16 v49, v46, v76, v49 op_sel_hi:[1,0,1]
	v_pk_fma_f16 v80, v46, v76, v80 op_sel:[0,1,0]
	v_pk_fma_f16 v81, v46, v77, v81 op_sel_hi:[1,0,1]
	v_pk_fma_f16 v46, v46, v77, v84 op_sel:[0,1,0]
	v_pk_fma_f16 v83, v45, v76, v83 op_sel_hi:[1,0,1]
	v_pk_fma_f16 v76, v45, v76, v85 op_sel:[0,1,0]
	v_pk_fma_f16 v45, v45, v77, v86 op_sel_hi:[1,0,1]
	v_pk_fma_f16 v82, v47, v79, v82 op_sel:[0,1,0]
	v_pk_fma_f16 v49, v48, v78, v49 op_sel_hi:[1,0,1]
	v_pk_fma_f16 v80, v48, v78, v80 op_sel:[0,1,0]
	v_pk_fma_f16 v81, v48, v79, v81 op_sel_hi:[1,0,1]
	v_pk_fma_f16 v84, v48, v79, v46 op_sel:[0,1,0]
	v_pk_fma_f16 v83, v47, v78, v83 op_sel_hi:[1,0,1]
	v_pk_fma_f16 v85, v47, v78, v76 op_sel:[0,1,0]
	v_pk_fma_f16 v86, v47, v79, v45 op_sel_hi:[1,0,1]
	ds_load_2addr_b64 v[45:48], v44 offset0:128 offset1:160
	;; [unrolled: 19-line block ×3, first 2 shown]
	ds_load_b128 v[76:79], v36 offset:18672
	s_waitcnt lgkmcnt(0)
	v_pk_fma_f16 v82, v45, v77, v82 op_sel:[0,1,0]
	v_pk_fma_f16 v49, v46, v76, v49 op_sel_hi:[1,0,1]
	v_pk_fma_f16 v80, v46, v76, v80 op_sel:[0,1,0]
	v_pk_fma_f16 v83, v45, v76, v83 op_sel_hi:[1,0,1]
	;; [unrolled: 2-line block ×3, first 2 shown]
	v_pk_fma_f16 v81, v46, v77, v81 op_sel_hi:[1,0,1]
	v_pk_fma_f16 v46, v46, v77, v84 op_sel:[0,1,0]
	v_pk_fma_f16 v82, v47, v79, v82 op_sel:[0,1,0]
	v_pk_fma_f16 v84, v48, v78, v49 op_sel_hi:[1,0,1]
	v_pk_fma_f16 v87, v47, v79, v45 op_sel_hi:[1,0,1]
	v_add_nc_u32_e32 v45, 0x2000, v37
	v_pk_fma_f16 v80, v48, v78, v80 op_sel:[0,1,0]
	v_pk_fma_f16 v81, v48, v79, v81 op_sel_hi:[1,0,1]
	v_pk_fma_f16 v85, v48, v79, v46 op_sel:[0,1,0]
	v_pk_fma_f16 v83, v47, v78, v83 op_sel_hi:[1,0,1]
	v_pk_fma_f16 v86, v47, v78, v76 op_sel:[0,1,0]
	ds_load_2addr_b64 v[46:49], v45 offset1:32
	ds_load_b128 v[76:79], v36 offset:18688
	s_waitcnt lgkmcnt(0)
	v_pk_fma_f16 v82, v46, v77, v82 op_sel:[0,1,0]
	v_pk_fma_f16 v84, v47, v76, v84 op_sel_hi:[1,0,1]
	v_pk_fma_f16 v80, v47, v76, v80 op_sel:[0,1,0]
	v_pk_fma_f16 v81, v47, v77, v81 op_sel_hi:[1,0,1]
	v_pk_fma_f16 v47, v47, v77, v85 op_sel:[0,1,0]
	v_pk_fma_f16 v83, v46, v76, v83 op_sel_hi:[1,0,1]
	v_pk_fma_f16 v76, v46, v76, v86 op_sel:[0,1,0]
	v_pk_fma_f16 v46, v46, v77, v87 op_sel_hi:[1,0,1]
	v_pk_fma_f16 v82, v48, v79, v82 op_sel:[0,1,0]
	v_pk_fma_f16 v84, v49, v78, v84 op_sel_hi:[1,0,1]
	v_pk_fma_f16 v80, v49, v78, v80 op_sel:[0,1,0]
	v_pk_fma_f16 v81, v49, v79, v81 op_sel_hi:[1,0,1]
	v_pk_fma_f16 v85, v49, v79, v47 op_sel:[0,1,0]
	v_pk_fma_f16 v83, v48, v78, v83 op_sel_hi:[1,0,1]
	v_pk_fma_f16 v86, v48, v78, v76 op_sel:[0,1,0]
	v_pk_fma_f16 v87, v48, v79, v46 op_sel_hi:[1,0,1]
	ds_load_2addr_b64 v[46:49], v45 offset0:64 offset1:96
	ds_load_b128 v[76:79], v36 offset:18704
	s_waitcnt lgkmcnt(0)
	v_pk_fma_f16 v82, v46, v77, v82 op_sel:[0,1,0]
	v_pk_fma_f16 v84, v47, v76, v84 op_sel_hi:[1,0,1]
	v_pk_fma_f16 v80, v47, v76, v80 op_sel:[0,1,0]
	v_pk_fma_f16 v81, v47, v77, v81 op_sel_hi:[1,0,1]
	v_pk_fma_f16 v47, v47, v77, v85 op_sel:[0,1,0]
	v_pk_fma_f16 v83, v46, v76, v83 op_sel_hi:[1,0,1]
	v_pk_fma_f16 v76, v46, v76, v86 op_sel:[0,1,0]
	v_pk_fma_f16 v46, v46, v77, v87 op_sel_hi:[1,0,1]
	v_pk_fma_f16 v82, v48, v79, v82 op_sel:[0,1,0]
	v_pk_fma_f16 v84, v49, v78, v84 op_sel_hi:[1,0,1]
	v_pk_fma_f16 v80, v49, v78, v80 op_sel:[0,1,0]
	v_pk_fma_f16 v81, v49, v79, v81 op_sel_hi:[1,0,1]
	v_pk_fma_f16 v85, v49, v79, v47 op_sel:[0,1,0]
	v_pk_fma_f16 v83, v48, v78, v83 op_sel_hi:[1,0,1]
	v_pk_fma_f16 v86, v48, v78, v76 op_sel:[0,1,0]
	v_pk_fma_f16 v87, v48, v79, v46 op_sel_hi:[1,0,1]
	ds_load_2addr_b64 v[46:49], v45 offset0:128 offset1:160
	;; [unrolled: 19-line block ×3, first 2 shown]
	ds_load_b128 v[76:79], v36 offset:18736
	s_waitcnt lgkmcnt(0)
	v_pk_fma_f16 v82, v46, v77, v82 op_sel:[0,1,0]
	v_pk_fma_f16 v84, v47, v76, v84 op_sel_hi:[1,0,1]
	v_pk_fma_f16 v80, v47, v76, v80 op_sel:[0,1,0]
	v_pk_fma_f16 v81, v47, v77, v81 op_sel_hi:[1,0,1]
	;; [unrolled: 2-line block ×8, first 2 shown]
	v_add_nc_u32_e32 v46, 0x2800, v37
	ds_load_2addr_b64 v[76:79], v46 offset1:32
	ds_load_b128 v[80:83], v36 offset:18752
	s_waitcnt lgkmcnt(0)
	v_pk_fma_f16 v85, v76, v81, v85 op_sel:[0,1,0]
	v_pk_fma_f16 v84, v77, v80, v84 op_sel_hi:[1,0,1]
	v_pk_fma_f16 v86, v77, v80, v86 op_sel:[0,1,0]
	v_pk_fma_f16 v87, v77, v81, v87 op_sel_hi:[1,0,1]
	v_pk_fma_f16 v47, v77, v81, v47 op_sel:[0,1,0]
	v_pk_fma_f16 v49, v76, v80, v49 op_sel_hi:[1,0,1]
	v_pk_fma_f16 v77, v76, v80, v88 op_sel:[0,1,0]
	v_pk_fma_f16 v48, v76, v81, v48 op_sel_hi:[1,0,1]
	v_pk_fma_f16 v85, v78, v83, v85 op_sel:[0,1,0]
	v_pk_fma_f16 v84, v79, v82, v84 op_sel_hi:[1,0,1]
	v_pk_fma_f16 v86, v79, v82, v86 op_sel:[0,1,0]
	v_pk_fma_f16 v87, v79, v83, v87 op_sel_hi:[1,0,1]
	v_pk_fma_f16 v47, v79, v83, v47 op_sel:[0,1,0]
	v_pk_fma_f16 v49, v78, v82, v49 op_sel_hi:[1,0,1]
	v_pk_fma_f16 v88, v78, v82, v77 op_sel:[0,1,0]
	v_pk_fma_f16 v48, v78, v83, v48 op_sel_hi:[1,0,1]
	ds_load_2addr_b64 v[76:79], v46 offset0:64 offset1:96
	ds_load_b128 v[80:83], v36 offset:18768
	s_waitcnt lgkmcnt(0)
	v_pk_fma_f16 v85, v76, v81, v85 op_sel:[0,1,0]
	v_pk_fma_f16 v84, v77, v80, v84 op_sel_hi:[1,0,1]
	v_pk_fma_f16 v86, v77, v80, v86 op_sel:[0,1,0]
	v_pk_fma_f16 v87, v77, v81, v87 op_sel_hi:[1,0,1]
	v_pk_fma_f16 v47, v77, v81, v47 op_sel:[0,1,0]
	v_pk_fma_f16 v49, v76, v80, v49 op_sel_hi:[1,0,1]
	v_pk_fma_f16 v77, v76, v80, v88 op_sel:[0,1,0]
	v_pk_fma_f16 v48, v76, v81, v48 op_sel_hi:[1,0,1]
	v_pk_fma_f16 v85, v78, v83, v85 op_sel:[0,1,0]
	v_pk_fma_f16 v84, v79, v82, v84 op_sel_hi:[1,0,1]
	v_pk_fma_f16 v86, v79, v82, v86 op_sel:[0,1,0]
	v_pk_fma_f16 v87, v79, v83, v87 op_sel_hi:[1,0,1]
	v_pk_fma_f16 v47, v79, v83, v47 op_sel:[0,1,0]
	v_pk_fma_f16 v49, v78, v82, v49 op_sel_hi:[1,0,1]
	v_pk_fma_f16 v88, v78, v82, v77 op_sel:[0,1,0]
	v_pk_fma_f16 v48, v78, v83, v48 op_sel_hi:[1,0,1]
	ds_load_2addr_b64 v[76:79], v46 offset0:128 offset1:160
	;; [unrolled: 19-line block ×3, first 2 shown]
	ds_load_b128 v[80:83], v36 offset:18800
	s_waitcnt lgkmcnt(0)
	v_pk_fma_f16 v47, v77, v81, v47 op_sel:[0,1,0]
	v_pk_fma_f16 v85, v76, v81, v85 op_sel:[0,1,0]
	v_pk_fma_f16 v84, v77, v80, v84 op_sel_hi:[1,0,1]
	v_pk_fma_f16 v86, v77, v80, v86 op_sel:[0,1,0]
	v_pk_fma_f16 v87, v77, v81, v87 op_sel_hi:[1,0,1]
	v_pk_fma_f16 v49, v76, v80, v49 op_sel_hi:[1,0,1]
	v_pk_fma_f16 v77, v76, v80, v88 op_sel:[0,1,0]
	v_pk_fma_f16 v48, v76, v81, v48 op_sel_hi:[1,0,1]
	v_pk_fma_f16 v88, v79, v83, v47 op_sel:[0,1,0]
	v_add_nc_u32_e32 v47, 0x3000, v37
	v_pk_fma_f16 v85, v78, v83, v85 op_sel:[0,1,0]
	v_pk_fma_f16 v84, v79, v82, v84 op_sel_hi:[1,0,1]
	v_pk_fma_f16 v86, v79, v82, v86 op_sel:[0,1,0]
	v_pk_fma_f16 v87, v79, v83, v87 op_sel_hi:[1,0,1]
	v_pk_fma_f16 v49, v78, v82, v49 op_sel_hi:[1,0,1]
	v_pk_fma_f16 v89, v78, v82, v77 op_sel:[0,1,0]
	v_pk_fma_f16 v48, v78, v83, v48 op_sel_hi:[1,0,1]
	ds_load_2addr_b64 v[76:79], v47 offset1:32
	ds_load_b128 v[80:83], v36 offset:18816
	s_waitcnt lgkmcnt(0)
	v_pk_fma_f16 v85, v76, v81, v85 op_sel:[0,1,0]
	v_pk_fma_f16 v84, v77, v80, v84 op_sel_hi:[1,0,1]
	v_pk_fma_f16 v86, v77, v80, v86 op_sel:[0,1,0]
	v_pk_fma_f16 v87, v77, v81, v87 op_sel_hi:[1,0,1]
	v_pk_fma_f16 v77, v77, v81, v88 op_sel:[0,1,0]
	v_pk_fma_f16 v49, v76, v80, v49 op_sel_hi:[1,0,1]
	v_pk_fma_f16 v80, v76, v80, v89 op_sel:[0,1,0]
	v_pk_fma_f16 v48, v76, v81, v48 op_sel_hi:[1,0,1]
	v_pk_fma_f16 v85, v78, v83, v85 op_sel:[0,1,0]
	v_pk_fma_f16 v84, v79, v82, v84 op_sel_hi:[1,0,1]
	v_pk_fma_f16 v86, v79, v82, v86 op_sel:[0,1,0]
	v_pk_fma_f16 v87, v79, v83, v87 op_sel_hi:[1,0,1]
	v_pk_fma_f16 v88, v79, v83, v77 op_sel:[0,1,0]
	v_pk_fma_f16 v49, v78, v82, v49 op_sel_hi:[1,0,1]
	v_pk_fma_f16 v89, v78, v82, v80 op_sel:[0,1,0]
	v_pk_fma_f16 v48, v78, v83, v48 op_sel_hi:[1,0,1]
	ds_load_2addr_b64 v[76:79], v47 offset0:64 offset1:96
	ds_load_b128 v[80:83], v36 offset:18832
	s_waitcnt lgkmcnt(0)
	v_pk_fma_f16 v85, v76, v81, v85 op_sel:[0,1,0]
	v_pk_fma_f16 v84, v77, v80, v84 op_sel_hi:[1,0,1]
	v_pk_fma_f16 v86, v77, v80, v86 op_sel:[0,1,0]
	v_pk_fma_f16 v87, v77, v81, v87 op_sel_hi:[1,0,1]
	v_pk_fma_f16 v77, v77, v81, v88 op_sel:[0,1,0]
	v_pk_fma_f16 v49, v76, v80, v49 op_sel_hi:[1,0,1]
	v_pk_fma_f16 v80, v76, v80, v89 op_sel:[0,1,0]
	v_pk_fma_f16 v48, v76, v81, v48 op_sel_hi:[1,0,1]
	v_pk_fma_f16 v85, v78, v83, v85 op_sel:[0,1,0]
	v_pk_fma_f16 v84, v79, v82, v84 op_sel_hi:[1,0,1]
	v_pk_fma_f16 v86, v79, v82, v86 op_sel:[0,1,0]
	v_pk_fma_f16 v87, v79, v83, v87 op_sel_hi:[1,0,1]
	v_pk_fma_f16 v88, v79, v83, v77 op_sel:[0,1,0]
	v_pk_fma_f16 v49, v78, v82, v49 op_sel_hi:[1,0,1]
	v_pk_fma_f16 v89, v78, v82, v80 op_sel:[0,1,0]
	v_pk_fma_f16 v48, v78, v83, v48 op_sel_hi:[1,0,1]
	ds_load_2addr_b64 v[76:79], v47 offset0:128 offset1:160
	;; [unrolled: 19-line block ×3, first 2 shown]
	ds_load_b128 v[80:83], v36 offset:18864
	s_waitcnt lgkmcnt(0)
	v_pk_fma_f16 v48, v76, v81, v48 op_sel_hi:[1,0,1]
	v_pk_fma_f16 v85, v76, v81, v85 op_sel:[0,1,0]
	v_pk_fma_f16 v84, v77, v80, v84 op_sel_hi:[1,0,1]
	v_pk_fma_f16 v86, v77, v80, v86 op_sel:[0,1,0]
	;; [unrolled: 2-line block ×4, first 2 shown]
	v_pk_fma_f16 v90, v78, v83, v48 op_sel_hi:[1,0,1]
	v_add_nc_u32_e32 v48, 0x3800, v37
	v_pk_fma_f16 v85, v78, v83, v85 op_sel:[0,1,0]
	v_pk_fma_f16 v84, v79, v82, v84 op_sel_hi:[1,0,1]
	v_pk_fma_f16 v86, v79, v82, v86 op_sel:[0,1,0]
	v_pk_fma_f16 v87, v79, v83, v87 op_sel_hi:[1,0,1]
	;; [unrolled: 2-line block ×3, first 2 shown]
	v_pk_fma_f16 v89, v78, v82, v80 op_sel:[0,1,0]
	ds_load_2addr_b64 v[76:79], v48 offset1:32
	ds_load_b128 v[80:83], v36 offset:18880
	s_waitcnt lgkmcnt(0)
	v_pk_fma_f16 v85, v76, v81, v85 op_sel:[0,1,0]
	v_pk_fma_f16 v84, v77, v80, v84 op_sel_hi:[1,0,1]
	v_pk_fma_f16 v86, v77, v80, v86 op_sel:[0,1,0]
	v_pk_fma_f16 v87, v77, v81, v87 op_sel_hi:[1,0,1]
	v_pk_fma_f16 v77, v77, v81, v88 op_sel:[0,1,0]
	v_pk_fma_f16 v49, v76, v80, v49 op_sel_hi:[1,0,1]
	v_pk_fma_f16 v80, v76, v80, v89 op_sel:[0,1,0]
	v_pk_fma_f16 v76, v76, v81, v90 op_sel_hi:[1,0,1]
	v_pk_fma_f16 v85, v78, v83, v85 op_sel:[0,1,0]
	v_pk_fma_f16 v84, v79, v82, v84 op_sel_hi:[1,0,1]
	v_pk_fma_f16 v86, v79, v82, v86 op_sel:[0,1,0]
	v_pk_fma_f16 v87, v79, v83, v87 op_sel_hi:[1,0,1]
	v_pk_fma_f16 v88, v79, v83, v77 op_sel:[0,1,0]
	v_pk_fma_f16 v49, v78, v82, v49 op_sel_hi:[1,0,1]
	v_pk_fma_f16 v89, v78, v82, v80 op_sel:[0,1,0]
	v_pk_fma_f16 v90, v78, v83, v76 op_sel_hi:[1,0,1]
	ds_load_2addr_b64 v[76:79], v48 offset0:64 offset1:96
	ds_load_b128 v[80:83], v36 offset:18896
	s_waitcnt lgkmcnt(0)
	v_pk_fma_f16 v85, v76, v81, v85 op_sel:[0,1,0]
	v_pk_fma_f16 v84, v77, v80, v84 op_sel_hi:[1,0,1]
	v_pk_fma_f16 v86, v77, v80, v86 op_sel:[0,1,0]
	v_pk_fma_f16 v87, v77, v81, v87 op_sel_hi:[1,0,1]
	v_pk_fma_f16 v77, v77, v81, v88 op_sel:[0,1,0]
	v_pk_fma_f16 v49, v76, v80, v49 op_sel_hi:[1,0,1]
	v_pk_fma_f16 v80, v76, v80, v89 op_sel:[0,1,0]
	v_pk_fma_f16 v76, v76, v81, v90 op_sel_hi:[1,0,1]
	v_pk_fma_f16 v85, v78, v83, v85 op_sel:[0,1,0]
	v_pk_fma_f16 v84, v79, v82, v84 op_sel_hi:[1,0,1]
	v_pk_fma_f16 v86, v79, v82, v86 op_sel:[0,1,0]
	v_pk_fma_f16 v87, v79, v83, v87 op_sel_hi:[1,0,1]
	v_pk_fma_f16 v88, v79, v83, v77 op_sel:[0,1,0]
	v_pk_fma_f16 v49, v78, v82, v49 op_sel_hi:[1,0,1]
	v_pk_fma_f16 v89, v78, v82, v80 op_sel:[0,1,0]
	v_pk_fma_f16 v90, v78, v83, v76 op_sel_hi:[1,0,1]
	ds_load_2addr_b64 v[76:79], v48 offset0:128 offset1:160
	;; [unrolled: 19-line block ×3, first 2 shown]
	ds_load_b128 v[80:83], v36 offset:18928
	s_waitcnt lgkmcnt(0)
	s_barrier
	buffer_gl0_inv
	ds_store_b32 v0, v40 offset:38912
	ds_store_2addr_b32 v67, v40, v40 offset1:1
	ds_store_b32 v0, v40 offset:38924
	v_pk_fma_f16 v85, v76, v81, v85 op_sel:[0,1,0]
	v_pk_fma_f16 v84, v77, v80, v84 op_sel_hi:[1,0,1]
	v_pk_fma_f16 v86, v77, v80, v86 op_sel:[0,1,0]
	v_pk_fma_f16 v87, v77, v81, v87 op_sel_hi:[1,0,1]
	;; [unrolled: 2-line block ×8, first 2 shown]
	flat_load_b128 v[75:78], v[15:16]
	s_waitcnt vmcnt(0) lgkmcnt(0)
	ds_store_b128 v68, v[75:78]
	ds_store_b32 v0, v40 offset:38912
	ds_store_2addr_b32 v67, v40, v40 offset1:1
	ds_store_b32 v0, v40 offset:38924
	flat_load_b128 v[75:78], v[9:10]
	v_add_co_u32 v9, vcc_lo, s1, v11
	v_add_co_ci_u32_e32 v10, vcc_lo, s4, v12, vcc_lo
	v_cmp_gt_i32_e32 vcc_lo, s5, v70
	s_delay_alu instid0(VALU_DEP_3) | instskip(NEXT) | instid1(VALU_DEP_1)
	v_add_co_u32 v9, s0, v9, v38
	v_add_co_ci_u32_e64 v10, s0, 0, v10, s0
	s_delay_alu instid0(VALU_DEP_2) | instskip(NEXT) | instid1(VALU_DEP_2)
	v_cndmask_b32_e32 v9, v39, v9, vcc_lo
	v_cndmask_b32_e32 v10, s7, v10, vcc_lo
	s_waitcnt vmcnt(0) lgkmcnt(0)
	ds_store_b128 v71, v[75:78]
	ds_store_b32 v0, v40 offset:38912
	ds_store_2addr_b32 v67, v40, v40 offset1:1
	ds_store_b32 v0, v40 offset:38924
	flat_load_b128 v[9:12], v[9:10]
	s_waitcnt vmcnt(0) lgkmcnt(0)
	ds_store_b128 v72, v[9:12]
	ds_store_2addr_b32 v67, v40, v40 offset1:1
	ds_store_b32 v0, v40 offset:38912
	ds_store_b32 v0, v40 offset:38924
	v_add_co_u32 v0, vcc_lo, s1, v13
	v_add_co_ci_u32_e32 v9, vcc_lo, s4, v14, vcc_lo
	v_cmp_gt_i32_e32 vcc_lo, s5, v74
	s_delay_alu instid0(VALU_DEP_3) | instskip(NEXT) | instid1(VALU_DEP_1)
	v_add_co_u32 v0, s0, v0, v38
	v_add_co_ci_u32_e64 v10, s0, 0, v9, s0
	s_delay_alu instid0(VALU_DEP_2) | instskip(NEXT) | instid1(VALU_DEP_2)
	v_cndmask_b32_e32 v9, v39, v0, vcc_lo
	v_cndmask_b32_e32 v10, s7, v10, vcc_lo
	flat_load_b128 v[9:12], v[9:10]
	s_waitcnt vmcnt(0) lgkmcnt(0)
	ds_store_b128 v73, v[9:12]
	s_waitcnt lgkmcnt(0)
	s_barrier
	buffer_gl0_inv
	ds_load_2addr_b64 v[9:12], v37 offset1:32
	ds_load_b128 v[13:16], v36 offset:18944
	s_waitcnt lgkmcnt(0)
	v_pk_fma_f16 v0, v9, v13, v49 op_sel_hi:[1,0,1]
	v_pk_fma_f16 v38, v9, v13, v80 op_sel:[0,1,0]
	v_pk_fma_f16 v39, v9, v14, v82 op_sel_hi:[1,0,1]
	v_pk_fma_f16 v9, v9, v14, v81 op_sel:[0,1,0]
	;; [unrolled: 2-line block ×8, first 2 shown]
	ds_load_b128 v[9:12], v36 offset:18960
	ds_load_2addr_b64 v[13:16], v37 offset0:64 offset1:96
	s_waitcnt lgkmcnt(0)
	v_pk_fma_f16 v0, v13, v9, v0 op_sel_hi:[1,0,1]
	v_pk_fma_f16 v38, v13, v9, v38 op_sel:[0,1,0]
	v_pk_fma_f16 v39, v13, v10, v39 op_sel_hi:[1,0,1]
	v_pk_fma_f16 v13, v13, v10, v67 op_sel:[0,1,0]
	;; [unrolled: 2-line block ×8, first 2 shown]
	ds_load_b128 v[9:12], v36 offset:18976
	ds_load_2addr_b64 v[13:16], v37 offset0:128 offset1:160
	s_waitcnt lgkmcnt(0)
	v_pk_fma_f16 v0, v13, v9, v0 op_sel_hi:[1,0,1]
	v_pk_fma_f16 v38, v13, v9, v38 op_sel:[0,1,0]
	v_pk_fma_f16 v39, v13, v10, v39 op_sel_hi:[1,0,1]
	v_pk_fma_f16 v13, v13, v10, v67 op_sel:[0,1,0]
	v_pk_fma_f16 v40, v14, v9, v40 op_sel_hi:[1,0,1]
	v_pk_fma_f16 v9, v14, v9, v68 op_sel:[0,1,0]
	v_pk_fma_f16 v49, v14, v10, v49 op_sel_hi:[1,0,1]
	v_pk_fma_f16 v10, v14, v10, v69 op_sel:[0,1,0]
	v_pk_fma_f16 v0, v15, v11, v0 op_sel_hi:[1,0,1]
	v_pk_fma_f16 v38, v15, v11, v38 op_sel:[0,1,0]
	v_pk_fma_f16 v39, v15, v12, v39 op_sel_hi:[1,0,1]
	v_pk_fma_f16 v67, v15, v12, v13 op_sel:[0,1,0]
	v_pk_fma_f16 v40, v16, v11, v40 op_sel_hi:[1,0,1]
	v_pk_fma_f16 v68, v16, v11, v9 op_sel:[0,1,0]
	v_pk_fma_f16 v49, v16, v12, v49 op_sel_hi:[1,0,1]
	v_pk_fma_f16 v69, v16, v12, v10 op_sel:[0,1,0]
	ds_load_2addr_b64 v[9:12], v37 offset0:192 offset1:224
	ds_load_b128 v[13:16], v36 offset:18992
	s_waitcnt lgkmcnt(0)
	v_pk_fma_f16 v0, v9, v13, v0 op_sel_hi:[1,0,1]
	v_pk_fma_f16 v37, v9, v13, v38 op_sel:[0,1,0]
	v_pk_fma_f16 v38, v9, v14, v39 op_sel_hi:[1,0,1]
	v_pk_fma_f16 v9, v9, v14, v67 op_sel:[0,1,0]
	;; [unrolled: 2-line block ×8, first 2 shown]
	ds_load_2addr_b64 v[9:12], v41 offset1:32
	ds_load_b128 v[13:16], v36 offset:19008
	s_waitcnt lgkmcnt(0)
	v_pk_fma_f16 v0, v9, v13, v0 op_sel_hi:[1,0,1]
	v_pk_fma_f16 v37, v9, v13, v37 op_sel:[0,1,0]
	v_pk_fma_f16 v38, v9, v14, v38 op_sel_hi:[1,0,1]
	v_pk_fma_f16 v9, v9, v14, v49 op_sel:[0,1,0]
	v_pk_fma_f16 v39, v10, v13, v39 op_sel_hi:[1,0,1]
	v_pk_fma_f16 v13, v10, v13, v67 op_sel:[0,1,0]
	v_pk_fma_f16 v40, v10, v14, v40 op_sel_hi:[1,0,1]
	v_pk_fma_f16 v10, v10, v14, v68 op_sel:[0,1,0]
	v_pk_fma_f16 v0, v11, v15, v0 op_sel_hi:[1,0,1]
	v_pk_fma_f16 v37, v11, v15, v37 op_sel:[0,1,0]
	v_pk_fma_f16 v38, v11, v16, v38 op_sel_hi:[1,0,1]
	v_pk_fma_f16 v49, v11, v16, v9 op_sel:[0,1,0]
	v_pk_fma_f16 v39, v12, v15, v39 op_sel_hi:[1,0,1]
	v_pk_fma_f16 v67, v12, v15, v13 op_sel:[0,1,0]
	v_pk_fma_f16 v40, v12, v16, v40 op_sel_hi:[1,0,1]
	v_pk_fma_f16 v68, v12, v16, v10 op_sel:[0,1,0]
	ds_load_2addr_b64 v[9:12], v41 offset0:64 offset1:96
	ds_load_b128 v[13:16], v36 offset:19024
	s_waitcnt lgkmcnt(0)
	v_pk_fma_f16 v0, v9, v13, v0 op_sel_hi:[1,0,1]
	v_pk_fma_f16 v37, v9, v13, v37 op_sel:[0,1,0]
	v_pk_fma_f16 v38, v9, v14, v38 op_sel_hi:[1,0,1]
	v_pk_fma_f16 v9, v9, v14, v49 op_sel:[0,1,0]
	v_pk_fma_f16 v39, v10, v13, v39 op_sel_hi:[1,0,1]
	v_pk_fma_f16 v13, v10, v13, v67 op_sel:[0,1,0]
	v_pk_fma_f16 v40, v10, v14, v40 op_sel_hi:[1,0,1]
	v_pk_fma_f16 v10, v10, v14, v68 op_sel:[0,1,0]
	v_pk_fma_f16 v0, v11, v15, v0 op_sel_hi:[1,0,1]
	v_pk_fma_f16 v37, v11, v15, v37 op_sel:[0,1,0]
	v_pk_fma_f16 v38, v11, v16, v38 op_sel_hi:[1,0,1]
	v_pk_fma_f16 v49, v11, v16, v9 op_sel:[0,1,0]
	v_pk_fma_f16 v39, v12, v15, v39 op_sel_hi:[1,0,1]
	v_pk_fma_f16 v67, v12, v15, v13 op_sel:[0,1,0]
	v_pk_fma_f16 v40, v12, v16, v40 op_sel_hi:[1,0,1]
	v_pk_fma_f16 v68, v12, v16, v10 op_sel:[0,1,0]
	ds_load_2addr_b64 v[9:12], v41 offset0:128 offset1:160
	;; [unrolled: 19-line block ×3, first 2 shown]
	ds_load_b128 v[13:16], v36 offset:19056
	s_waitcnt lgkmcnt(0)
	v_pk_fma_f16 v0, v9, v13, v0 op_sel_hi:[1,0,1]
	v_pk_fma_f16 v37, v9, v13, v37 op_sel:[0,1,0]
	v_pk_fma_f16 v38, v9, v14, v38 op_sel_hi:[1,0,1]
	v_pk_fma_f16 v9, v9, v14, v49 op_sel:[0,1,0]
	;; [unrolled: 2-line block ×8, first 2 shown]
	ds_load_2addr_b64 v[9:12], v42 offset1:32
	ds_load_b128 v[13:16], v36 offset:19072
	s_waitcnt lgkmcnt(0)
	v_pk_fma_f16 v0, v9, v13, v0 op_sel_hi:[1,0,1]
	v_pk_fma_f16 v37, v9, v13, v37 op_sel:[0,1,0]
	v_pk_fma_f16 v38, v9, v14, v38 op_sel_hi:[1,0,1]
	v_pk_fma_f16 v9, v9, v14, v41 op_sel:[0,1,0]
	v_pk_fma_f16 v39, v10, v13, v39 op_sel_hi:[1,0,1]
	v_pk_fma_f16 v13, v10, v13, v49 op_sel:[0,1,0]
	v_pk_fma_f16 v40, v10, v14, v40 op_sel_hi:[1,0,1]
	v_pk_fma_f16 v10, v10, v14, v67 op_sel:[0,1,0]
	v_pk_fma_f16 v0, v11, v15, v0 op_sel_hi:[1,0,1]
	v_pk_fma_f16 v37, v11, v15, v37 op_sel:[0,1,0]
	v_pk_fma_f16 v38, v11, v16, v38 op_sel_hi:[1,0,1]
	v_pk_fma_f16 v41, v11, v16, v9 op_sel:[0,1,0]
	v_pk_fma_f16 v39, v12, v15, v39 op_sel_hi:[1,0,1]
	v_pk_fma_f16 v49, v12, v15, v13 op_sel:[0,1,0]
	v_pk_fma_f16 v40, v12, v16, v40 op_sel_hi:[1,0,1]
	v_pk_fma_f16 v67, v12, v16, v10 op_sel:[0,1,0]
	ds_load_2addr_b64 v[9:12], v42 offset0:64 offset1:96
	ds_load_b128 v[13:16], v36 offset:19088
	s_waitcnt lgkmcnt(0)
	v_pk_fma_f16 v0, v9, v13, v0 op_sel_hi:[1,0,1]
	v_pk_fma_f16 v37, v9, v13, v37 op_sel:[0,1,0]
	v_pk_fma_f16 v38, v9, v14, v38 op_sel_hi:[1,0,1]
	v_pk_fma_f16 v9, v9, v14, v41 op_sel:[0,1,0]
	v_pk_fma_f16 v39, v10, v13, v39 op_sel_hi:[1,0,1]
	v_pk_fma_f16 v13, v10, v13, v49 op_sel:[0,1,0]
	v_pk_fma_f16 v40, v10, v14, v40 op_sel_hi:[1,0,1]
	v_pk_fma_f16 v10, v10, v14, v67 op_sel:[0,1,0]
	v_pk_fma_f16 v0, v11, v15, v0 op_sel_hi:[1,0,1]
	v_pk_fma_f16 v37, v11, v15, v37 op_sel:[0,1,0]
	v_pk_fma_f16 v38, v11, v16, v38 op_sel_hi:[1,0,1]
	v_pk_fma_f16 v41, v11, v16, v9 op_sel:[0,1,0]
	v_pk_fma_f16 v39, v12, v15, v39 op_sel_hi:[1,0,1]
	v_pk_fma_f16 v49, v12, v15, v13 op_sel:[0,1,0]
	v_pk_fma_f16 v40, v12, v16, v40 op_sel_hi:[1,0,1]
	v_pk_fma_f16 v67, v12, v16, v10 op_sel:[0,1,0]
	ds_load_2addr_b64 v[9:12], v42 offset0:128 offset1:160
	;; [unrolled: 19-line block ×3, first 2 shown]
	ds_load_b128 v[13:16], v36 offset:19120
	s_waitcnt lgkmcnt(0)
	v_pk_fma_f16 v0, v9, v13, v0 op_sel_hi:[1,0,1]
	v_pk_fma_f16 v37, v9, v13, v37 op_sel:[0,1,0]
	v_pk_fma_f16 v38, v9, v14, v38 op_sel_hi:[1,0,1]
	v_pk_fma_f16 v9, v9, v14, v41 op_sel:[0,1,0]
	;; [unrolled: 2-line block ×8, first 2 shown]
	ds_load_2addr_b64 v[9:12], v44 offset1:32
	ds_load_b128 v[13:16], v36 offset:19136
	s_waitcnt lgkmcnt(0)
	v_pk_fma_f16 v0, v9, v13, v0 op_sel_hi:[1,0,1]
	v_pk_fma_f16 v37, v9, v13, v37 op_sel:[0,1,0]
	v_pk_fma_f16 v38, v9, v14, v38 op_sel_hi:[1,0,1]
	v_pk_fma_f16 v9, v9, v14, v41 op_sel:[0,1,0]
	v_pk_fma_f16 v39, v10, v13, v39 op_sel_hi:[1,0,1]
	v_pk_fma_f16 v13, v10, v13, v42 op_sel:[0,1,0]
	v_pk_fma_f16 v40, v10, v14, v40 op_sel_hi:[1,0,1]
	v_pk_fma_f16 v10, v10, v14, v49 op_sel:[0,1,0]
	v_pk_fma_f16 v0, v11, v15, v0 op_sel_hi:[1,0,1]
	v_pk_fma_f16 v37, v11, v15, v37 op_sel:[0,1,0]
	v_pk_fma_f16 v38, v11, v16, v38 op_sel_hi:[1,0,1]
	v_pk_fma_f16 v41, v11, v16, v9 op_sel:[0,1,0]
	v_pk_fma_f16 v39, v12, v15, v39 op_sel_hi:[1,0,1]
	v_pk_fma_f16 v42, v12, v15, v13 op_sel:[0,1,0]
	v_pk_fma_f16 v40, v12, v16, v40 op_sel_hi:[1,0,1]
	v_pk_fma_f16 v49, v12, v16, v10 op_sel:[0,1,0]
	ds_load_2addr_b64 v[9:12], v44 offset0:64 offset1:96
	ds_load_b128 v[13:16], v36 offset:19152
	s_waitcnt lgkmcnt(0)
	v_pk_fma_f16 v0, v9, v13, v0 op_sel_hi:[1,0,1]
	v_pk_fma_f16 v37, v9, v13, v37 op_sel:[0,1,0]
	v_pk_fma_f16 v38, v9, v14, v38 op_sel_hi:[1,0,1]
	v_pk_fma_f16 v9, v9, v14, v41 op_sel:[0,1,0]
	v_pk_fma_f16 v39, v10, v13, v39 op_sel_hi:[1,0,1]
	v_pk_fma_f16 v13, v10, v13, v42 op_sel:[0,1,0]
	v_pk_fma_f16 v40, v10, v14, v40 op_sel_hi:[1,0,1]
	v_pk_fma_f16 v10, v10, v14, v49 op_sel:[0,1,0]
	v_pk_fma_f16 v0, v11, v15, v0 op_sel_hi:[1,0,1]
	v_pk_fma_f16 v37, v11, v15, v37 op_sel:[0,1,0]
	v_pk_fma_f16 v38, v11, v16, v38 op_sel_hi:[1,0,1]
	v_pk_fma_f16 v41, v11, v16, v9 op_sel:[0,1,0]
	v_pk_fma_f16 v39, v12, v15, v39 op_sel_hi:[1,0,1]
	v_pk_fma_f16 v42, v12, v15, v13 op_sel:[0,1,0]
	v_pk_fma_f16 v40, v12, v16, v40 op_sel_hi:[1,0,1]
	v_pk_fma_f16 v49, v12, v16, v10 op_sel:[0,1,0]
	ds_load_2addr_b64 v[9:12], v44 offset0:128 offset1:160
	;; [unrolled: 19-line block ×3, first 2 shown]
	ds_load_b128 v[13:16], v36 offset:19184
	s_waitcnt lgkmcnt(0)
	v_pk_fma_f16 v0, v9, v13, v0 op_sel_hi:[1,0,1]
	v_pk_fma_f16 v37, v9, v13, v37 op_sel:[0,1,0]
	v_pk_fma_f16 v38, v9, v14, v38 op_sel_hi:[1,0,1]
	v_pk_fma_f16 v9, v9, v14, v41 op_sel:[0,1,0]
	;; [unrolled: 2-line block ×8, first 2 shown]
	ds_load_2addr_b64 v[9:12], v45 offset1:32
	ds_load_b128 v[13:16], v36 offset:19200
	s_waitcnt lgkmcnt(0)
	v_pk_fma_f16 v0, v9, v13, v0 op_sel_hi:[1,0,1]
	v_pk_fma_f16 v37, v9, v13, v37 op_sel:[0,1,0]
	v_pk_fma_f16 v38, v9, v14, v38 op_sel_hi:[1,0,1]
	v_pk_fma_f16 v9, v9, v14, v41 op_sel:[0,1,0]
	v_pk_fma_f16 v39, v10, v13, v39 op_sel_hi:[1,0,1]
	v_pk_fma_f16 v13, v10, v13, v42 op_sel:[0,1,0]
	v_pk_fma_f16 v40, v10, v14, v40 op_sel_hi:[1,0,1]
	v_pk_fma_f16 v10, v10, v14, v44 op_sel:[0,1,0]
	v_pk_fma_f16 v0, v11, v15, v0 op_sel_hi:[1,0,1]
	v_pk_fma_f16 v37, v11, v15, v37 op_sel:[0,1,0]
	v_pk_fma_f16 v38, v11, v16, v38 op_sel_hi:[1,0,1]
	v_pk_fma_f16 v41, v11, v16, v9 op_sel:[0,1,0]
	v_pk_fma_f16 v39, v12, v15, v39 op_sel_hi:[1,0,1]
	v_pk_fma_f16 v42, v12, v15, v13 op_sel:[0,1,0]
	v_pk_fma_f16 v40, v12, v16, v40 op_sel_hi:[1,0,1]
	v_pk_fma_f16 v44, v12, v16, v10 op_sel:[0,1,0]
	ds_load_2addr_b64 v[9:12], v45 offset0:64 offset1:96
	ds_load_b128 v[13:16], v36 offset:19216
	s_waitcnt lgkmcnt(0)
	v_pk_fma_f16 v0, v9, v13, v0 op_sel_hi:[1,0,1]
	v_pk_fma_f16 v37, v9, v13, v37 op_sel:[0,1,0]
	v_pk_fma_f16 v38, v9, v14, v38 op_sel_hi:[1,0,1]
	v_pk_fma_f16 v9, v9, v14, v41 op_sel:[0,1,0]
	v_pk_fma_f16 v39, v10, v13, v39 op_sel_hi:[1,0,1]
	v_pk_fma_f16 v13, v10, v13, v42 op_sel:[0,1,0]
	v_pk_fma_f16 v40, v10, v14, v40 op_sel_hi:[1,0,1]
	v_pk_fma_f16 v10, v10, v14, v44 op_sel:[0,1,0]
	v_pk_fma_f16 v0, v11, v15, v0 op_sel_hi:[1,0,1]
	v_pk_fma_f16 v37, v11, v15, v37 op_sel:[0,1,0]
	v_pk_fma_f16 v38, v11, v16, v38 op_sel_hi:[1,0,1]
	v_pk_fma_f16 v41, v11, v16, v9 op_sel:[0,1,0]
	v_pk_fma_f16 v39, v12, v15, v39 op_sel_hi:[1,0,1]
	v_pk_fma_f16 v42, v12, v15, v13 op_sel:[0,1,0]
	v_pk_fma_f16 v40, v12, v16, v40 op_sel_hi:[1,0,1]
	v_pk_fma_f16 v44, v12, v16, v10 op_sel:[0,1,0]
	ds_load_2addr_b64 v[9:12], v45 offset0:128 offset1:160
	ds_load_b128 v[13:16], v36 offset:19232
	s_waitcnt lgkmcnt(0)
	v_pk_fma_f16 v0, v9, v13, v0 op_sel_hi:[1,0,1]
	v_pk_fma_f16 v37, v9, v13, v37 op_sel:[0,1,0]
	v_pk_fma_f16 v38, v9, v14, v38 op_sel_hi:[1,0,1]
	v_pk_fma_f16 v9, v9, v14, v41 op_sel:[0,1,0]
	v_pk_fma_f16 v39, v10, v13, v39 op_sel_hi:[1,0,1]
	v_pk_fma_f16 v13, v10, v13, v42 op_sel:[0,1,0]
	v_pk_fma_f16 v40, v10, v14, v40 op_sel_hi:[1,0,1]
	v_pk_fma_f16 v10, v10, v14, v44 op_sel:[0,1,0]
	v_pk_fma_f16 v0, v11, v15, v0 op_sel_hi:[1,0,1]
	v_pk_fma_f16 v37, v11, v15, v37 op_sel:[0,1,0]
	v_pk_fma_f16 v38, v11, v16, v38 op_sel_hi:[1,0,1]
	v_pk_fma_f16 v41, v11, v16, v9 op_sel:[0,1,0]
	v_pk_fma_f16 v39, v12, v15, v39 op_sel_hi:[1,0,1]
	v_pk_fma_f16 v42, v12, v15, v13 op_sel:[0,1,0]
	v_pk_fma_f16 v40, v12, v16, v40 op_sel_hi:[1,0,1]
	v_pk_fma_f16 v44, v12, v16, v10 op_sel:[0,1,0]
	ds_load_2addr_b64 v[9:12], v45 offset0:192 offset1:224
	ds_load_b128 v[13:16], v36 offset:19248
	s_waitcnt lgkmcnt(0)
	v_pk_fma_f16 v0, v9, v13, v0 op_sel_hi:[1,0,1]
	v_pk_fma_f16 v37, v9, v13, v37 op_sel:[0,1,0]
	v_pk_fma_f16 v38, v9, v14, v38 op_sel_hi:[1,0,1]
	v_pk_fma_f16 v9, v9, v14, v41 op_sel:[0,1,0]
	;; [unrolled: 2-line block ×8, first 2 shown]
	ds_load_2addr_b64 v[9:12], v46 offset1:32
	ds_load_b128 v[13:16], v36 offset:19264
	s_waitcnt lgkmcnt(0)
	v_pk_fma_f16 v0, v9, v13, v0 op_sel_hi:[1,0,1]
	v_pk_fma_f16 v37, v9, v13, v37 op_sel:[0,1,0]
	v_pk_fma_f16 v38, v9, v14, v38 op_sel_hi:[1,0,1]
	v_pk_fma_f16 v9, v9, v14, v41 op_sel:[0,1,0]
	v_pk_fma_f16 v39, v10, v13, v39 op_sel_hi:[1,0,1]
	v_pk_fma_f16 v13, v10, v13, v42 op_sel:[0,1,0]
	v_pk_fma_f16 v40, v10, v14, v40 op_sel_hi:[1,0,1]
	v_pk_fma_f16 v10, v10, v14, v44 op_sel:[0,1,0]
	v_pk_fma_f16 v0, v11, v15, v0 op_sel_hi:[1,0,1]
	v_pk_fma_f16 v37, v11, v15, v37 op_sel:[0,1,0]
	v_pk_fma_f16 v38, v11, v16, v38 op_sel_hi:[1,0,1]
	v_pk_fma_f16 v41, v11, v16, v9 op_sel:[0,1,0]
	v_pk_fma_f16 v39, v12, v15, v39 op_sel_hi:[1,0,1]
	v_pk_fma_f16 v42, v12, v15, v13 op_sel:[0,1,0]
	v_pk_fma_f16 v40, v12, v16, v40 op_sel_hi:[1,0,1]
	v_pk_fma_f16 v44, v12, v16, v10 op_sel:[0,1,0]
	ds_load_2addr_b64 v[9:12], v46 offset0:64 offset1:96
	ds_load_b128 v[13:16], v36 offset:19280
	s_waitcnt lgkmcnt(0)
	v_pk_fma_f16 v0, v9, v13, v0 op_sel_hi:[1,0,1]
	v_pk_fma_f16 v37, v9, v13, v37 op_sel:[0,1,0]
	v_pk_fma_f16 v38, v9, v14, v38 op_sel_hi:[1,0,1]
	v_pk_fma_f16 v9, v9, v14, v41 op_sel:[0,1,0]
	v_pk_fma_f16 v39, v10, v13, v39 op_sel_hi:[1,0,1]
	v_pk_fma_f16 v13, v10, v13, v42 op_sel:[0,1,0]
	v_pk_fma_f16 v40, v10, v14, v40 op_sel_hi:[1,0,1]
	v_pk_fma_f16 v10, v10, v14, v44 op_sel:[0,1,0]
	v_pk_fma_f16 v0, v11, v15, v0 op_sel_hi:[1,0,1]
	v_pk_fma_f16 v37, v11, v15, v37 op_sel:[0,1,0]
	v_pk_fma_f16 v38, v11, v16, v38 op_sel_hi:[1,0,1]
	v_pk_fma_f16 v41, v11, v16, v9 op_sel:[0,1,0]
	v_pk_fma_f16 v39, v12, v15, v39 op_sel_hi:[1,0,1]
	v_pk_fma_f16 v42, v12, v15, v13 op_sel:[0,1,0]
	v_pk_fma_f16 v40, v12, v16, v40 op_sel_hi:[1,0,1]
	v_pk_fma_f16 v44, v12, v16, v10 op_sel:[0,1,0]
	ds_load_2addr_b64 v[9:12], v46 offset0:128 offset1:160
	;; [unrolled: 19-line block ×3, first 2 shown]
	ds_load_b128 v[13:16], v36 offset:19312
	s_waitcnt lgkmcnt(0)
	v_pk_fma_f16 v0, v9, v13, v0 op_sel_hi:[1,0,1]
	v_pk_fma_f16 v37, v9, v13, v37 op_sel:[0,1,0]
	v_pk_fma_f16 v38, v9, v14, v38 op_sel_hi:[1,0,1]
	v_pk_fma_f16 v9, v9, v14, v41 op_sel:[0,1,0]
	;; [unrolled: 2-line block ×8, first 2 shown]
	ds_load_2addr_b64 v[9:12], v47 offset1:32
	ds_load_b128 v[13:16], v36 offset:19328
	s_waitcnt lgkmcnt(0)
	v_pk_fma_f16 v0, v9, v13, v0 op_sel_hi:[1,0,1]
	v_pk_fma_f16 v37, v9, v13, v37 op_sel:[0,1,0]
	v_pk_fma_f16 v38, v9, v14, v38 op_sel_hi:[1,0,1]
	v_pk_fma_f16 v9, v9, v14, v41 op_sel:[0,1,0]
	v_pk_fma_f16 v39, v10, v13, v39 op_sel_hi:[1,0,1]
	v_pk_fma_f16 v13, v10, v13, v42 op_sel:[0,1,0]
	v_pk_fma_f16 v40, v10, v14, v40 op_sel_hi:[1,0,1]
	v_pk_fma_f16 v10, v10, v14, v44 op_sel:[0,1,0]
	v_pk_fma_f16 v0, v11, v15, v0 op_sel_hi:[1,0,1]
	v_pk_fma_f16 v37, v11, v15, v37 op_sel:[0,1,0]
	v_pk_fma_f16 v38, v11, v16, v38 op_sel_hi:[1,0,1]
	v_pk_fma_f16 v41, v11, v16, v9 op_sel:[0,1,0]
	v_pk_fma_f16 v39, v12, v15, v39 op_sel_hi:[1,0,1]
	v_pk_fma_f16 v42, v12, v15, v13 op_sel:[0,1,0]
	v_pk_fma_f16 v40, v12, v16, v40 op_sel_hi:[1,0,1]
	v_pk_fma_f16 v44, v12, v16, v10 op_sel:[0,1,0]
	ds_load_2addr_b64 v[9:12], v47 offset0:64 offset1:96
	ds_load_b128 v[13:16], v36 offset:19344
	s_waitcnt lgkmcnt(0)
	v_pk_fma_f16 v0, v9, v13, v0 op_sel_hi:[1,0,1]
	v_pk_fma_f16 v37, v9, v13, v37 op_sel:[0,1,0]
	v_pk_fma_f16 v38, v9, v14, v38 op_sel_hi:[1,0,1]
	v_pk_fma_f16 v9, v9, v14, v41 op_sel:[0,1,0]
	v_pk_fma_f16 v39, v10, v13, v39 op_sel_hi:[1,0,1]
	v_pk_fma_f16 v13, v10, v13, v42 op_sel:[0,1,0]
	v_pk_fma_f16 v40, v10, v14, v40 op_sel_hi:[1,0,1]
	v_pk_fma_f16 v10, v10, v14, v44 op_sel:[0,1,0]
	v_pk_fma_f16 v0, v11, v15, v0 op_sel_hi:[1,0,1]
	v_pk_fma_f16 v37, v11, v15, v37 op_sel:[0,1,0]
	v_pk_fma_f16 v38, v11, v16, v38 op_sel_hi:[1,0,1]
	v_pk_fma_f16 v41, v11, v16, v9 op_sel:[0,1,0]
	v_pk_fma_f16 v39, v12, v15, v39 op_sel_hi:[1,0,1]
	v_pk_fma_f16 v42, v12, v15, v13 op_sel:[0,1,0]
	v_pk_fma_f16 v40, v12, v16, v40 op_sel_hi:[1,0,1]
	v_pk_fma_f16 v44, v12, v16, v10 op_sel:[0,1,0]
	ds_load_2addr_b64 v[9:12], v47 offset0:128 offset1:160
	;; [unrolled: 19-line block ×3, first 2 shown]
	ds_load_b128 v[13:16], v36 offset:19376
	s_waitcnt lgkmcnt(0)
	v_pk_fma_f16 v0, v9, v13, v0 op_sel_hi:[1,0,1]
	v_pk_fma_f16 v37, v9, v13, v37 op_sel:[0,1,0]
	v_pk_fma_f16 v38, v9, v14, v38 op_sel_hi:[1,0,1]
	v_pk_fma_f16 v9, v9, v14, v41 op_sel:[0,1,0]
	;; [unrolled: 2-line block ×8, first 2 shown]
	ds_load_2addr_b64 v[9:12], v48 offset1:32
	ds_load_b128 v[13:16], v36 offset:19392
	s_waitcnt lgkmcnt(0)
	v_pk_fma_f16 v0, v9, v13, v0 op_sel_hi:[1,0,1]
	v_pk_fma_f16 v37, v9, v13, v37 op_sel:[0,1,0]
	v_pk_fma_f16 v38, v9, v14, v38 op_sel_hi:[1,0,1]
	v_pk_fma_f16 v9, v9, v14, v41 op_sel:[0,1,0]
	v_pk_fma_f16 v39, v10, v13, v39 op_sel_hi:[1,0,1]
	v_pk_fma_f16 v13, v10, v13, v42 op_sel:[0,1,0]
	v_pk_fma_f16 v40, v10, v14, v40 op_sel_hi:[1,0,1]
	v_pk_fma_f16 v10, v10, v14, v44 op_sel:[0,1,0]
	v_pk_fma_f16 v0, v11, v15, v0 op_sel_hi:[1,0,1]
	v_pk_fma_f16 v37, v11, v15, v37 op_sel:[0,1,0]
	v_pk_fma_f16 v38, v11, v16, v38 op_sel_hi:[1,0,1]
	v_pk_fma_f16 v41, v11, v16, v9 op_sel:[0,1,0]
	v_pk_fma_f16 v39, v12, v15, v39 op_sel_hi:[1,0,1]
	v_pk_fma_f16 v42, v12, v15, v13 op_sel:[0,1,0]
	v_pk_fma_f16 v40, v12, v16, v40 op_sel_hi:[1,0,1]
	v_pk_fma_f16 v44, v12, v16, v10 op_sel:[0,1,0]
	ds_load_2addr_b64 v[9:12], v48 offset0:64 offset1:96
	ds_load_b128 v[13:16], v36 offset:19408
	s_waitcnt lgkmcnt(0)
	v_pk_fma_f16 v0, v9, v13, v0 op_sel_hi:[1,0,1]
	v_pk_fma_f16 v37, v9, v13, v37 op_sel:[0,1,0]
	v_pk_fma_f16 v38, v9, v14, v38 op_sel_hi:[1,0,1]
	v_pk_fma_f16 v9, v9, v14, v41 op_sel:[0,1,0]
	v_pk_fma_f16 v39, v10, v13, v39 op_sel_hi:[1,0,1]
	v_pk_fma_f16 v13, v10, v13, v42 op_sel:[0,1,0]
	v_pk_fma_f16 v40, v10, v14, v40 op_sel_hi:[1,0,1]
	v_pk_fma_f16 v10, v10, v14, v44 op_sel:[0,1,0]
	v_pk_fma_f16 v0, v11, v15, v0 op_sel_hi:[1,0,1]
	v_pk_fma_f16 v37, v11, v15, v37 op_sel:[0,1,0]
	v_pk_fma_f16 v38, v11, v16, v38 op_sel_hi:[1,0,1]
	v_pk_fma_f16 v41, v11, v16, v9 op_sel:[0,1,0]
	v_pk_fma_f16 v39, v12, v15, v39 op_sel_hi:[1,0,1]
	v_pk_fma_f16 v42, v12, v15, v13 op_sel:[0,1,0]
	v_pk_fma_f16 v40, v12, v16, v40 op_sel_hi:[1,0,1]
	v_pk_fma_f16 v44, v12, v16, v10 op_sel:[0,1,0]
	ds_load_2addr_b64 v[9:12], v48 offset0:128 offset1:160
	;; [unrolled: 19-line block ×3, first 2 shown]
	ds_load_b128 v[13:16], v36 offset:19440
	s_waitcnt lgkmcnt(0)
	s_barrier
	buffer_gl0_inv
	v_pk_fma_f16 v0, v9, v13, v0 op_sel_hi:[1,0,1]
	v_pk_fma_f16 v36, v9, v13, v37 op_sel:[0,1,0]
	v_pk_fma_f16 v37, v9, v14, v38 op_sel_hi:[1,0,1]
	v_pk_fma_f16 v9, v9, v14, v41 op_sel:[0,1,0]
	v_pk_fma_f16 v38, v10, v13, v39 op_sel_hi:[1,0,1]
	v_pk_fma_f16 v48, v11, v15, v0 op_sel_hi:[1,0,1]
	v_add_f32_e32 v0, v52, v56
	v_pk_fma_f16 v13, v10, v13, v42 op_sel:[0,1,0]
	v_pk_fma_f16 v42, v11, v16, v9 op_sel:[0,1,0]
	v_pk_fma_f16 v39, v10, v14, v40 op_sel_hi:[1,0,1]
	v_pk_fma_f16 v10, v10, v14, v44 op_sel:[0,1,0]
	v_add_f32_e32 v0, v62, v0
	v_pk_fma_f16 v46, v11, v15, v36 op_sel:[0,1,0]
	v_pk_fma_f16 v44, v11, v16, v37 op_sel_hi:[1,0,1]
	v_pk_fma_f16 v49, v12, v15, v38 op_sel_hi:[1,0,1]
	v_pk_fma_f16 v47, v12, v15, v13 op_sel:[0,1,0]
	v_add_f32_e32 v0, v66, v0
	v_pk_fma_f16 v45, v12, v16, v39 op_sel_hi:[1,0,1]
	v_pk_fma_f16 v41, v12, v16, v10 op_sel:[0,1,0]
	s_delay_alu instid0(VALU_DEP_3) | instskip(NEXT) | instid1(VALU_DEP_1)
	v_dual_fmac_f32 v0, v24, v1 :: v_dual_add_f32 v1, v51, v55
	v_add_f32_e32 v1, v61, v1
	s_delay_alu instid0(VALU_DEP_1) | instskip(NEXT) | instid1(VALU_DEP_1)
	v_add_f32_e32 v1, v65, v1
	v_fmac_f32_e32 v1, v23, v2
	s_delay_alu instid0(VALU_DEP_1) | instskip(NEXT) | instid1(VALU_DEP_1)
	v_dual_add_f32 v2, v50, v54 :: v_dual_mov_b32 v23, v1
	v_add_f32_e32 v2, v60, v2
	s_delay_alu instid0(VALU_DEP_1) | instskip(NEXT) | instid1(VALU_DEP_1)
	v_add_f32_e32 v2, v64, v2
	v_dual_fmac_f32 v2, v22, v3 :: v_dual_add_f32 v3, v43, v53
	s_delay_alu instid0(VALU_DEP_1) | instskip(NEXT) | instid1(VALU_DEP_1)
	v_dual_mov_b32 v22, v2 :: v_dual_add_f32 v3, v59, v3
	v_add_f32_e32 v9, v63, v3
	s_delay_alu instid0(VALU_DEP_1) | instskip(SKIP_3) | instid1(VALU_DEP_4)
	v_fmac_f32_e32 v9, v21, v4
	v_dual_mov_b32 v1, v5 :: v_dual_mov_b32 v24, v0
	v_dual_mov_b32 v2, v6 :: v_dual_mov_b32 v3, v7
	;; [unrolled: 1-line block ×3, first 2 shown]
	v_mov_b32_e32 v21, v9
.LBB87_259:
	v_cmp_lt_i32_e32 vcc_lo, v58, v17
	s_cmp_eq_u64 s[24:25], 0
	s_cselect_b32 s0, -1, 0
	s_cmp_lg_u32 s14, 0
	v_cndmask_b32_e32 v0, v5, v58, vcc_lo
	v_cmp_lt_i32_e32 vcc_lo, v57, v17
	s_cselect_b32 s1, -1, 0
	s_delay_alu instid0(SALU_CYCLE_1) | instskip(SKIP_2) | instid1(VALU_DEP_2)
	s_or_b32 s0, s1, s0
	v_cndmask_b32_e32 v9, v5, v57, vcc_lo
	v_cmp_lt_i32_e32 vcc_lo, v20, v17
	v_lshlrev_b32_e32 v9, 2, v9
	v_lshlrev_b32_e32 v0, 2, v0
	ds_bpermute_b32 v7, v0, v23
	s_waitcnt lgkmcnt(0)
	v_add_f32_e32 v7, v23, v7
	ds_bpermute_b32 v6, v0, v24
	ds_bpermute_b32 v8, v0, v22
	;; [unrolled: 1-line block ×4, first 2 shown]
	s_waitcnt lgkmcnt(3)
	v_add_f32_e32 v6, v24, v6
	s_waitcnt lgkmcnt(0)
	v_dual_add_f32 v0, v21, v0 :: v_dual_add_f32 v7, v7, v11
	ds_bpermute_b32 v10, v9, v6
	v_cndmask_b32_e32 v13, v5, v20, vcc_lo
	v_cmp_lt_i32_e32 vcc_lo, v19, v17
	s_waitcnt lgkmcnt(0)
	v_add_f32_e32 v6, v6, v10
	s_delay_alu instid0(VALU_DEP_3)
	v_dual_add_f32 v8, v22, v8 :: v_dual_lshlrev_b32 v13, 2, v13
	ds_bpermute_b32 v12, v9, v8
	ds_bpermute_b32 v9, v9, v0
	;; [unrolled: 1-line block ×3, first 2 shown]
	s_waitcnt lgkmcnt(2)
	v_add_f32_e32 v8, v8, v12
	s_waitcnt lgkmcnt(0)
	v_dual_add_f32 v0, v0, v9 :: v_dual_add_f32 v7, v7, v10
	ds_bpermute_b32 v9, v13, v6
	ds_bpermute_b32 v11, v13, v8
	;; [unrolled: 1-line block ×3, first 2 shown]
	v_cndmask_b32_e32 v13, v5, v19, vcc_lo
	v_cmp_lt_i32_e32 vcc_lo, v18, v17
	s_delay_alu instid0(VALU_DEP_2) | instskip(SKIP_2) | instid1(VALU_DEP_1)
	v_lshlrev_b32_e32 v13, 2, v13
	v_cndmask_b32_e32 v5, v5, v18, vcc_lo
	s_and_b32 vcc_lo, exec_lo, s0
	v_lshlrev_b32_e32 v5, 2, v5
	s_waitcnt lgkmcnt(2)
	v_add_f32_e32 v6, v6, v9
	s_waitcnt lgkmcnt(1)
	v_add_f32_e32 v8, v8, v11
	;; [unrolled: 2-line block ×3, first 2 shown]
	ds_bpermute_b32 v10, v13, v7
	ds_bpermute_b32 v9, v13, v6
	;; [unrolled: 1-line block ×4, first 2 shown]
	s_waitcnt lgkmcnt(2)
	v_dual_add_f32 v7, v7, v10 :: v_dual_add_f32 v6, v6, v9
	s_waitcnt lgkmcnt(0)
	v_add_f32_e32 v0, v0, v12
	ds_bpermute_b32 v10, v5, v7
	ds_bpermute_b32 v9, v5, v6
	v_add_f32_e32 v8, v8, v11
	ds_bpermute_b32 v12, v5, v0
	ds_bpermute_b32 v11, v5, v8
	s_waitcnt lgkmcnt(2)
	v_dual_add_f32 v5, v6, v9 :: v_dual_add_f32 v6, v7, v10
	s_waitcnt lgkmcnt(0)
	v_add_f32_e32 v7, v8, v11
	v_add_f32_e32 v8, v0, v12
	s_cbranch_vccnz .LBB87_261
; %bb.260:
	s_lshl_b64 s[0:1], s[34:35], 2
	v_dual_mov_b32 v0, 0 :: v_dual_max_f32 v9, v1, v1
	s_add_u32 s0, s24, s0
	s_addc_u32 s1, s25, s1
	v_max_f32_e32 v11, v2, v2
	global_load_b32 v0, v0, s[0:1]
	s_waitcnt vmcnt(0)
	v_max_f32_e32 v10, v0, v0
	s_delay_alu instid0(VALU_DEP_1) | instskip(SKIP_1) | instid1(VALU_DEP_2)
	v_dual_max_f32 v12, v3, v3 :: v_dual_max_f32 v13, v9, v10
	v_max_f32_e32 v16, v4, v4
	v_dual_max_f32 v14, v11, v10 :: v_dual_sub_f32 v9, v0, v13
	v_sub_f32_e32 v1, v1, v13
	s_delay_alu instid0(VALU_DEP_4) | instskip(NEXT) | instid1(VALU_DEP_3)
	v_max_f32_e32 v15, v12, v10
	v_mul_f32_e32 v17, 0x3fb8aa3b, v9
	s_delay_alu instid0(VALU_DEP_3) | instskip(NEXT) | instid1(VALU_DEP_3)
	v_mul_f32_e32 v12, 0x3fb8aa3b, v1
	v_dual_max_f32 v16, v16, v10 :: v_dual_sub_f32 v3, v3, v15
	v_dual_sub_f32 v2, v2, v14 :: v_dual_sub_f32 v11, v0, v15
	v_sub_f32_e32 v10, v0, v14
	s_delay_alu instid0(VALU_DEP_3)
	v_sub_f32_e32 v0, v0, v16
	v_sub_f32_e32 v4, v4, v16
	v_fma_f32 v24, 0x3fb8aa3b, v1, -v12
	v_mul_f32_e32 v21, 0x3fb8aa3b, v11
	v_mul_f32_e32 v19, 0x3fb8aa3b, v10
	v_dual_mul_f32 v18, 0x3fb8aa3b, v2 :: v_dual_mul_f32 v23, 0x3fb8aa3b, v0
	v_rndne_f32_e32 v35, v12
	v_fma_f32 v36, 0x3fb8aa3b, v9, -v17
	s_delay_alu instid0(VALU_DEP_4) | instskip(NEXT) | instid1(VALU_DEP_4)
	v_fma_f32 v40, 0x3fb8aa3b, v10, -v19
	v_fma_f32 v38, 0x3fb8aa3b, v2, -v18
	v_rndne_f32_e32 v43, v19
	v_fma_f32 v56, 0x3fb8aa3b, v0, -v23
	v_rndne_f32_e32 v57, v23
	v_mul_f32_e32 v22, 0x3fb8aa3b, v4
	v_rndne_f32_e32 v37, v17
	v_dual_sub_f32 v19, v19, v43 :: v_dual_fmac_f32 v38, 0x32a5705f, v2
	s_delay_alu instid0(VALU_DEP_4) | instskip(SKIP_1) | instid1(VALU_DEP_4)
	v_dual_sub_f32 v23, v23, v57 :: v_dual_fmac_f32 v56, 0x32a5705f, v0
	v_fmac_f32_e32 v40, 0x32a5705f, v10
	v_dual_mul_f32 v20, 0x3fb8aa3b, v3 :: v_dual_sub_f32 v17, v17, v37
	v_fma_f32 v52, 0x3fb8aa3b, v11, -v21
	v_rndne_f32_e32 v53, v21
	v_dual_sub_f32 v12, v12, v35 :: v_dual_add_f32 v23, v23, v56
	v_dual_fmac_f32 v36, 0x32a5705f, v9 :: v_dual_add_f32 v19, v19, v40
	v_fmac_f32_e32 v24, 0x32a5705f, v1
	v_rndne_f32_e32 v39, v18
	v_dual_fmac_f32 v52, 0x32a5705f, v11 :: v_dual_sub_f32 v21, v21, v53
	s_delay_alu instid0(VALU_DEP_4) | instskip(NEXT) | instid1(VALU_DEP_4)
	v_add_f32_e32 v17, v17, v36
	v_add_f32_e32 v12, v12, v24
	s_delay_alu instid0(VALU_DEP_4)
	v_sub_f32_e32 v18, v18, v39
	v_cvt_i32_f32_e32 v35, v35
	v_add_f32_e32 v21, v21, v52
	v_exp_f32_e32 v17, v17
	v_exp_f32_e32 v12, v12
	v_add_f32_e32 v18, v18, v38
	v_fma_f32 v50, 0x3fb8aa3b, v3, -v20
	v_exp_f32_e32 v21, v21
	v_rndne_f32_e32 v51, v20
	v_cvt_i32_f32_e32 v37, v37
	v_cvt_i32_f32_e32 v53, v53
	v_exp_f32_e32 v18, v18
	v_cmp_ngt_f32_e32 vcc_lo, 0xc2ce8ed0, v1
	v_cvt_i32_f32_e32 v39, v39
	v_ldexp_f32 v12, v12, v35
	v_exp_f32_e32 v19, v19
	v_ldexp_f32 v17, v17, v37
	v_ldexp_f32 v21, v21, v53
	v_sub_f32_e32 v20, v20, v51
	v_cndmask_b32_e32 v12, 0, v12, vcc_lo
	v_cmp_ngt_f32_e32 vcc_lo, 0xc2ce8ed0, v9
	v_fmac_f32_e32 v50, 0x32a5705f, v3
	v_fma_f32 v54, 0x3fb8aa3b, v4, -v22
	v_rndne_f32_e32 v55, v22
	v_cvt_i32_f32_e32 v43, v43
	s_delay_alu instid0(VALU_DEP_4)
	v_dual_cndmask_b32 v17, 0, v17 :: v_dual_add_f32 v20, v20, v50
	v_ldexp_f32 v18, v18, v39
	v_cmp_ngt_f32_e32 vcc_lo, 0xc2ce8ed0, v2
	v_sub_f32_e32 v22, v22, v55
	v_ldexp_f32 v19, v19, v43
	v_exp_f32_e32 v20, v20
	v_cvt_i32_f32_e32 v51, v51
	v_cndmask_b32_e32 v18, 0, v18, vcc_lo
	v_cmp_ngt_f32_e32 vcc_lo, 0xc2ce8ed0, v10
	v_fmac_f32_e32 v54, 0x32a5705f, v4
	v_exp_f32_e32 v23, v23
	v_cvt_i32_f32_e32 v24, v55
	v_cvt_i32_f32_e32 v36, v57
	s_delay_alu instid0(VALU_DEP_3) | instskip(NEXT) | instid1(TRANS32_DEP_2)
	v_dual_cndmask_b32 v19, 0, v19 :: v_dual_add_f32 v22, v22, v54
	v_ldexp_f32 v20, v20, v51
	v_cmp_ngt_f32_e32 vcc_lo, 0xc2ce8ed0, v3
	s_delay_alu instid0(VALU_DEP_3) | instskip(NEXT) | instid1(TRANS32_DEP_2)
	v_exp_f32_e32 v22, v22
	v_ldexp_f32 v23, v23, v36
	s_delay_alu instid0(VALU_DEP_3)
	v_cndmask_b32_e32 v20, 0, v20, vcc_lo
	v_cmp_ngt_f32_e32 vcc_lo, 0xc2ce8ed0, v11
	v_cndmask_b32_e32 v21, 0, v21, vcc_lo
	v_cmp_ngt_f32_e32 vcc_lo, 0xc2ce8ed0, v4
	s_waitcnt_depctr 0xfff
	v_ldexp_f32 v22, v22, v24
	s_delay_alu instid0(VALU_DEP_1)
	v_cndmask_b32_e32 v22, 0, v22, vcc_lo
	v_cmp_ngt_f32_e32 vcc_lo, 0xc2ce8ed0, v0
	v_cndmask_b32_e32 v23, 0, v23, vcc_lo
	v_cmp_nlt_f32_e32 vcc_lo, 0x42b17218, v1
	v_cndmask_b32_e32 v1, 0x7f800000, v12, vcc_lo
	v_cmp_nlt_f32_e32 vcc_lo, 0x42b17218, v9
	;; [unrolled: 2-line block ×3, first 2 shown]
	s_delay_alu instid0(VALU_DEP_2) | instskip(SKIP_3) | instid1(VALU_DEP_2)
	v_dual_fmac_f32 v9, v5, v1 :: v_dual_cndmask_b32 v2, 0x7f800000, v18
	v_cmp_nlt_f32_e32 vcc_lo, 0x42b17218, v10
	v_cndmask_b32_e32 v10, 0x7f800000, v19, vcc_lo
	v_cmp_nlt_f32_e32 vcc_lo, 0x42b17218, v3
	v_dual_fmac_f32 v10, v6, v2 :: v_dual_cndmask_b32 v3, 0x7f800000, v20
	v_cmp_nlt_f32_e32 vcc_lo, 0x42b17218, v11
	v_cndmask_b32_e32 v11, 0x7f800000, v21, vcc_lo
	v_cmp_nlt_f32_e32 vcc_lo, 0x42b17218, v4
	s_delay_alu instid0(VALU_DEP_2)
	v_dual_fmac_f32 v11, v7, v3 :: v_dual_cndmask_b32 v4, 0x7f800000, v22
	v_cmp_nlt_f32_e32 vcc_lo, 0x42b17218, v0
	v_cvt_f16_f32_e32 v0, v1
	v_cvt_f16_f32_e32 v1, v2
	;; [unrolled: 1-line block ×4, first 2 shown]
	v_cndmask_b32_e32 v12, 0x7f800000, v23, vcc_lo
	v_pk_mul_f16 v48, v0, v48 op_sel_hi:[0,1]
	v_pk_mul_f16 v46, v1, v46 op_sel_hi:[0,1]
	;; [unrolled: 1-line block ×4, first 2 shown]
	v_fmac_f32_e32 v12, v8, v4
	v_pk_mul_f16 v45, v2, v45 op_sel_hi:[0,1]
	v_pk_mul_f16 v42, v3, v42 op_sel_hi:[0,1]
	;; [unrolled: 1-line block ×3, first 2 shown]
	v_mov_b32_e32 v5, v9
	v_mov_b32_e32 v1, v13
	;; [unrolled: 1-line block ×3, first 2 shown]
	v_pk_mul_f16 v49, v0, v49 op_sel_hi:[0,1]
	v_dual_mov_b32 v6, v10 :: v_dual_mov_b32 v7, v11
	v_mov_b32_e32 v8, v12
	v_mov_b32_e32 v2, v14
	;; [unrolled: 1-line block ×3, first 2 shown]
	s_mov_b32 s0, exec_lo
	v_cmpx_gt_i32_e64 s38, v33
	s_cbranch_execnz .LBB87_262
	s_branch .LBB87_281
.LBB87_261:
	v_dual_mov_b32 v9, v5 :: v_dual_mov_b32 v10, v6
	s_delay_alu instid0(VALU_DEP_2)
	v_dual_mov_b32 v11, v7 :: v_dual_mov_b32 v12, v8
	s_mov_b32 s0, exec_lo
	v_cmpx_gt_i32_e64 s38, v33
	s_cbranch_execz .LBB87_281
.LBB87_262:
	s_load_b32 s1, s[2:3], 0xd4
	v_mov_b32_e32 v0, 1.0
	s_waitcnt lgkmcnt(0)
	s_cmp_lg_u32 s1, 1
	s_cselect_b32 s4, -1, 0
	s_cmp_eq_u32 s1, 1
	s_cselect_b32 s3, -1, 0
	s_and_b32 vcc_lo, exec_lo, s4
	s_cbranch_vccnz .LBB87_264
; %bb.263:
	v_div_scale_f32 v0, null, v9, v9, 1.0
	s_delay_alu instid0(VALU_DEP_1) | instskip(SKIP_2) | instid1(VALU_DEP_1)
	v_rcp_f32_e32 v13, v0
	s_waitcnt_depctr 0xfff
	v_fma_f32 v14, -v0, v13, 1.0
	v_fmac_f32_e32 v13, v14, v13
	v_div_scale_f32 v14, vcc_lo, 1.0, v9, 1.0
	s_delay_alu instid0(VALU_DEP_1) | instskip(NEXT) | instid1(VALU_DEP_1)
	v_mul_f32_e32 v15, v14, v13
	v_fma_f32 v16, -v0, v15, v14
	s_delay_alu instid0(VALU_DEP_1) | instskip(NEXT) | instid1(VALU_DEP_1)
	v_fmac_f32_e32 v15, v16, v13
	v_fma_f32 v0, -v0, v15, v14
	s_delay_alu instid0(VALU_DEP_1) | instskip(NEXT) | instid1(VALU_DEP_1)
	v_div_fmas_f32 v0, v0, v13, v15
	v_div_fixup_f32 v0, v0, v9, 1.0
.LBB87_264:
	s_mul_i32 s2, s33, s38
	v_cvt_f32_f16_e32 v17, v48
	s_add_i32 s2, s2, s11
	v_cvt_f32_f16_e32 v20, v49
	v_add_nc_u32_e32 v9, s2, v31
	v_cmp_eq_u32_e32 vcc_lo, 0, v34
	s_delay_alu instid0(VALU_DEP_2) | instskip(SKIP_2) | instid1(VALU_DEP_2)
	v_mad_u64_u32 v[15:16], null, v9, s39, s[34:35]
	v_lshrrev_b32_e32 v16, 16, v49
	v_lshrrev_b32_e32 v9, 16, v48
	v_cvt_f32_f16_e32 v21, v16
	s_delay_alu instid0(VALU_DEP_4) | instskip(SKIP_1) | instid1(VALU_DEP_4)
	v_mad_u64_u32 v[13:14], null, s1, v15, s[14:15]
	v_dual_mov_b32 v15, 0 :: v_dual_mul_f32 v16, v0, v20
	v_cvt_f32_f16_e32 v9, v9
	s_delay_alu instid0(VALU_DEP_3) | instskip(NEXT) | instid1(VALU_DEP_1)
	v_lshl_add_u32 v14, v13, 7, v28
	v_lshlrev_b64 v[18:19], 2, v[14:15]
	v_mul_f32_e32 v14, v0, v17
	s_delay_alu instid0(VALU_DEP_4) | instskip(SKIP_1) | instid1(VALU_DEP_4)
	v_mul_f32_e32 v15, v0, v9
	v_mul_f32_e32 v17, v0, v21
	v_add_co_u32 v18, s0, s28, v18
	s_delay_alu instid0(VALU_DEP_1)
	v_add_co_ci_u32_e64 v19, s0, s29, v19, s0
	s_and_b32 s0, vcc_lo, s4
	global_store_b128 v[18:19], v[14:17], off
	s_and_saveexec_b32 s4, s0
	s_cbranch_execz .LBB87_266
; %bb.265:
	v_ashrrev_i32_e32 v14, 31, v13
	v_mov_b32_e32 v0, v1
	v_mov_b32_e32 v1, v5
	s_delay_alu instid0(VALU_DEP_3) | instskip(NEXT) | instid1(VALU_DEP_1)
	v_lshlrev_b64 v[13:14], 3, v[13:14]
	v_add_co_u32 v13, vcc_lo, s30, v13
	s_delay_alu instid0(VALU_DEP_2)
	v_add_co_ci_u32_e32 v14, vcc_lo, s31, v14, vcc_lo
	global_store_b64 v[13:14], v[0:1], off
.LBB87_266:
	s_or_b32 exec_lo, exec_lo, s4
	v_cmp_gt_i32_e32 vcc_lo, s38, v32
	s_and_b32 exec_lo, exec_lo, vcc_lo
	s_cbranch_execz .LBB87_281
; %bb.267:
	v_cndmask_b32_e64 v9, 0, 1, s3
	v_mov_b32_e32 v5, 1.0
	s_and_not1_b32 vcc_lo, exec_lo, s3
	s_cbranch_vccnz .LBB87_269
; %bb.268:
	v_div_scale_f32 v0, null, v10, v10, 1.0
	s_delay_alu instid0(VALU_DEP_1) | instskip(SKIP_2) | instid1(VALU_DEP_1)
	v_rcp_f32_e32 v1, v0
	s_waitcnt_depctr 0xfff
	v_fma_f32 v5, -v0, v1, 1.0
	v_fmac_f32_e32 v1, v5, v1
	v_div_scale_f32 v5, vcc_lo, 1.0, v10, 1.0
	s_delay_alu instid0(VALU_DEP_1) | instskip(NEXT) | instid1(VALU_DEP_1)
	v_mul_f32_e32 v13, v5, v1
	v_fma_f32 v14, -v0, v13, v5
	s_delay_alu instid0(VALU_DEP_1) | instskip(NEXT) | instid1(VALU_DEP_1)
	v_fmac_f32_e32 v13, v14, v1
	v_fma_f32 v0, -v0, v13, v5
	s_delay_alu instid0(VALU_DEP_1) | instskip(NEXT) | instid1(VALU_DEP_1)
	v_div_fmas_f32 v0, v0, v1, v13
	v_div_fixup_f32 v5, v0, v10, 1.0
.LBB87_269:
	v_cvt_f32_f16_e32 v15, v46
	v_add_nc_u32_e32 v0, s2, v29
	v_cvt_f32_f16_e32 v16, v47
	v_lshrrev_b32_e32 v10, 16, v47
	s_delay_alu instid0(VALU_DEP_3) | instskip(SKIP_1) | instid1(VALU_DEP_3)
	v_mad_u64_u32 v[13:14], null, v0, s39, s[34:35]
	v_mov_b32_e32 v14, 0
	v_cvt_f32_f16_e32 v10, v10
	s_delay_alu instid0(VALU_DEP_3) | instskip(SKIP_1) | instid1(VALU_DEP_1)
	v_mad_u64_u32 v[0:1], null, s1, v13, s[14:15]
	v_lshrrev_b32_e32 v1, 16, v46
	v_cvt_f32_f16_e32 v1, v1
	s_delay_alu instid0(VALU_DEP_3) | instskip(NEXT) | instid1(VALU_DEP_1)
	v_lshl_add_u32 v13, v0, 7, v28
	v_lshlrev_b64 v[17:18], 2, v[13:14]
	v_mul_f32_e32 v13, v5, v15
	v_mul_f32_e32 v15, v5, v16
	;; [unrolled: 1-line block ×4, first 2 shown]
	v_add_co_u32 v17, vcc_lo, s28, v17
	v_add_co_ci_u32_e32 v18, vcc_lo, s29, v18, vcc_lo
	global_store_b128 v[17:18], v[13:16], off
	s_and_saveexec_b32 s3, s0
	s_cbranch_execz .LBB87_271
; %bb.270:
	v_ashrrev_i32_e32 v1, 31, v0
	v_mov_b32_e32 v5, v2
	s_delay_alu instid0(VALU_DEP_2) | instskip(NEXT) | instid1(VALU_DEP_1)
	v_lshlrev_b64 v[0:1], 3, v[0:1]
	v_add_co_u32 v0, vcc_lo, s30, v0
	s_delay_alu instid0(VALU_DEP_2)
	v_add_co_ci_u32_e32 v1, vcc_lo, s31, v1, vcc_lo
	global_store_b64 v[0:1], v[5:6], off
.LBB87_271:
	s_or_b32 exec_lo, exec_lo, s3
	v_cmp_gt_i32_e32 vcc_lo, s38, v30
	s_and_b32 exec_lo, exec_lo, vcc_lo
	s_cbranch_execz .LBB87_281
; %bb.272:
	v_cmp_ne_u32_e32 vcc_lo, 1, v9
	v_mov_b32_e32 v2, 1.0
	s_cbranch_vccnz .LBB87_274
; %bb.273:
	v_div_scale_f32 v0, null, v11, v11, 1.0
	s_delay_alu instid0(VALU_DEP_1) | instskip(SKIP_2) | instid1(VALU_DEP_1)
	v_rcp_f32_e32 v1, v0
	s_waitcnt_depctr 0xfff
	v_fma_f32 v2, -v0, v1, 1.0
	v_fmac_f32_e32 v1, v2, v1
	v_div_scale_f32 v2, vcc_lo, 1.0, v11, 1.0
	s_delay_alu instid0(VALU_DEP_1) | instskip(NEXT) | instid1(VALU_DEP_1)
	v_mul_f32_e32 v5, v2, v1
	v_fma_f32 v6, -v0, v5, v2
	s_delay_alu instid0(VALU_DEP_1) | instskip(NEXT) | instid1(VALU_DEP_1)
	v_fmac_f32_e32 v5, v6, v1
	v_fma_f32 v0, -v0, v5, v2
	s_delay_alu instid0(VALU_DEP_1) | instskip(NEXT) | instid1(VALU_DEP_1)
	v_div_fmas_f32 v0, v0, v1, v5
	v_div_fixup_f32 v2, v0, v11, 1.0
.LBB87_274:
	v_cvt_f32_f16_e32 v14, v45
	v_add_nc_u32_e32 v0, s2, v27
	v_cvt_f32_f16_e32 v11, v44
	v_lshrrev_b32_e32 v10, 16, v45
	s_delay_alu instid0(VALU_DEP_4) | instskip(NEXT) | instid1(VALU_DEP_4)
	v_mul_f32_e32 v15, v2, v14
	v_mad_u64_u32 v[5:6], null, v0, s39, s[34:35]
	s_delay_alu instid0(VALU_DEP_4) | instskip(NEXT) | instid1(VALU_DEP_4)
	v_dual_mov_b32 v6, 0 :: v_dual_mul_f32 v13, v2, v11
	v_cvt_f32_f16_e32 v10, v10
	s_delay_alu instid0(VALU_DEP_3) | instskip(SKIP_1) | instid1(VALU_DEP_3)
	v_mad_u64_u32 v[0:1], null, s1, v5, s[14:15]
	v_lshrrev_b32_e32 v1, 16, v44
	v_mul_f32_e32 v16, v2, v10
	s_delay_alu instid0(VALU_DEP_2) | instskip(NEXT) | instid1(VALU_DEP_4)
	v_cvt_f32_f16_e32 v1, v1
	v_lshl_add_u32 v5, v0, 7, v28
	s_delay_alu instid0(VALU_DEP_2) | instskip(NEXT) | instid1(VALU_DEP_2)
	v_mul_f32_e32 v14, v2, v1
	v_lshlrev_b64 v[5:6], 2, v[5:6]
	s_delay_alu instid0(VALU_DEP_1) | instskip(NEXT) | instid1(VALU_DEP_2)
	v_add_co_u32 v1, vcc_lo, s28, v5
	v_add_co_ci_u32_e32 v2, vcc_lo, s29, v6, vcc_lo
	global_store_b128 v[1:2], v[13:16], off
	s_and_saveexec_b32 s3, s0
	s_cbranch_execz .LBB87_276
; %bb.275:
	v_ashrrev_i32_e32 v1, 31, v0
	v_mov_b32_e32 v6, v3
	s_delay_alu instid0(VALU_DEP_2) | instskip(NEXT) | instid1(VALU_DEP_1)
	v_lshlrev_b64 v[0:1], 3, v[0:1]
	v_add_co_u32 v0, vcc_lo, s30, v0
	s_delay_alu instid0(VALU_DEP_2)
	v_add_co_ci_u32_e32 v1, vcc_lo, s31, v1, vcc_lo
	global_store_b64 v[0:1], v[6:7], off
.LBB87_276:
	s_or_b32 exec_lo, exec_lo, s3
	v_cmp_gt_i32_e32 vcc_lo, s38, v26
	s_and_b32 exec_lo, exec_lo, vcc_lo
	s_cbranch_execz .LBB87_281
; %bb.277:
	v_cmp_ne_u32_e32 vcc_lo, 1, v9
	v_mov_b32_e32 v2, 1.0
	s_cbranch_vccnz .LBB87_279
; %bb.278:
	v_div_scale_f32 v0, null, v12, v12, 1.0
	s_delay_alu instid0(VALU_DEP_1) | instskip(SKIP_2) | instid1(VALU_DEP_1)
	v_rcp_f32_e32 v1, v0
	s_waitcnt_depctr 0xfff
	v_fma_f32 v2, -v0, v1, 1.0
	v_fmac_f32_e32 v1, v2, v1
	v_div_scale_f32 v2, vcc_lo, 1.0, v12, 1.0
	s_delay_alu instid0(VALU_DEP_1) | instskip(NEXT) | instid1(VALU_DEP_1)
	v_mul_f32_e32 v3, v2, v1
	v_fma_f32 v5, -v0, v3, v2
	s_delay_alu instid0(VALU_DEP_1) | instskip(NEXT) | instid1(VALU_DEP_1)
	v_fmac_f32_e32 v3, v5, v1
	v_fma_f32 v0, -v0, v3, v2
	s_delay_alu instid0(VALU_DEP_1) | instskip(NEXT) | instid1(VALU_DEP_1)
	v_div_fmas_f32 v0, v0, v1, v3
	v_div_fixup_f32 v2, v0, v12, 1.0
.LBB87_279:
	v_cvt_f32_f16_e32 v7, v42
	v_add_nc_u32_e32 v0, s2, v25
	v_cvt_f32_f16_e32 v10, v41
	v_lshrrev_b32_e32 v3, 16, v41
	s_delay_alu instid0(VALU_DEP_4) | instskip(NEXT) | instid1(VALU_DEP_4)
	v_mul_f32_e32 v9, v2, v7
	v_mad_u64_u32 v[5:6], null, v0, s39, s[34:35]
	s_delay_alu instid0(VALU_DEP_4) | instskip(NEXT) | instid1(VALU_DEP_4)
	v_dual_mov_b32 v6, 0 :: v_dual_mul_f32 v11, v2, v10
	v_cvt_f32_f16_e32 v3, v3
	s_delay_alu instid0(VALU_DEP_3) | instskip(SKIP_1) | instid1(VALU_DEP_3)
	v_mad_u64_u32 v[0:1], null, s1, v5, s[14:15]
	v_lshrrev_b32_e32 v1, 16, v42
	v_mul_f32_e32 v12, v2, v3
	s_delay_alu instid0(VALU_DEP_2) | instskip(NEXT) | instid1(VALU_DEP_4)
	v_cvt_f32_f16_e32 v1, v1
	v_lshl_add_u32 v5, v0, 7, v28
	s_delay_alu instid0(VALU_DEP_2) | instskip(NEXT) | instid1(VALU_DEP_2)
	v_mul_f32_e32 v10, v2, v1
	v_lshlrev_b64 v[5:6], 2, v[5:6]
	s_delay_alu instid0(VALU_DEP_1) | instskip(NEXT) | instid1(VALU_DEP_2)
	v_add_co_u32 v1, vcc_lo, s28, v5
	v_add_co_ci_u32_e32 v2, vcc_lo, s29, v6, vcc_lo
	global_store_b128 v[1:2], v[9:12], off
	s_and_b32 exec_lo, exec_lo, s0
	s_cbranch_execz .LBB87_281
; %bb.280:
	v_ashrrev_i32_e32 v1, 31, v0
	v_mov_b32_e32 v7, v4
	s_delay_alu instid0(VALU_DEP_2) | instskip(NEXT) | instid1(VALU_DEP_1)
	v_lshlrev_b64 v[0:1], 3, v[0:1]
	v_add_co_u32 v0, vcc_lo, s30, v0
	s_delay_alu instid0(VALU_DEP_2)
	v_add_co_ci_u32_e32 v1, vcc_lo, s31, v1, vcc_lo
	global_store_b64 v[0:1], v[7:8], off
	s_nop 0
	s_sendmsg sendmsg(MSG_DEALLOC_VGPRS)
	s_endpgm
.LBB87_281:
	s_nop 0
	s_sendmsg sendmsg(MSG_DEALLOC_VGPRS)
	s_endpgm
	.section	.rodata,"a",@progbits
	.p2align	6, 0x0
	.amdhsa_kernel _ZL15flash_attn_tileILi128ELi128ELi32ELi1ELb1EEvPKcS1_S1_S1_S1_PKiPfP15HIP_vector_typeIfLj2EEffffjfiS5_IjLj3EEiiiiiiiiiiiliiliiiiil
		.amdhsa_group_segment_fixed_size 43008
		.amdhsa_private_segment_fixed_size 0
		.amdhsa_kernarg_size 464
		.amdhsa_user_sgpr_count 13
		.amdhsa_user_sgpr_dispatch_ptr 1
		.amdhsa_user_sgpr_queue_ptr 0
		.amdhsa_user_sgpr_kernarg_segment_ptr 1
		.amdhsa_user_sgpr_dispatch_id 0
		.amdhsa_user_sgpr_private_segment_size 0
		.amdhsa_wavefront_size32 1
		.amdhsa_uses_dynamic_stack 0
		.amdhsa_enable_private_segment 0
		.amdhsa_system_sgpr_workgroup_id_x 1
		.amdhsa_system_sgpr_workgroup_id_y 1
		.amdhsa_system_sgpr_workgroup_id_z 1
		.amdhsa_system_sgpr_workgroup_info 0
		.amdhsa_system_vgpr_workitem_id 2
		.amdhsa_next_free_vgpr 130
		.amdhsa_next_free_sgpr 50
		.amdhsa_reserve_vcc 1
		.amdhsa_float_round_mode_32 0
		.amdhsa_float_round_mode_16_64 0
		.amdhsa_float_denorm_mode_32 3
		.amdhsa_float_denorm_mode_16_64 3
		.amdhsa_dx10_clamp 1
		.amdhsa_ieee_mode 1
		.amdhsa_fp16_overflow 0
		.amdhsa_workgroup_processor_mode 1
		.amdhsa_memory_ordered 1
		.amdhsa_forward_progress 0
		.amdhsa_shared_vgpr_count 0
		.amdhsa_exception_fp_ieee_invalid_op 0
		.amdhsa_exception_fp_denorm_src 0
		.amdhsa_exception_fp_ieee_div_zero 0
		.amdhsa_exception_fp_ieee_overflow 0
		.amdhsa_exception_fp_ieee_underflow 0
		.amdhsa_exception_fp_ieee_inexact 0
		.amdhsa_exception_int_div_zero 0
	.end_amdhsa_kernel
	.section	.text._ZL15flash_attn_tileILi128ELi128ELi32ELi1ELb1EEvPKcS1_S1_S1_S1_PKiPfP15HIP_vector_typeIfLj2EEffffjfiS5_IjLj3EEiiiiiiiiiiiliiliiiiil,"axG",@progbits,_ZL15flash_attn_tileILi128ELi128ELi32ELi1ELb1EEvPKcS1_S1_S1_S1_PKiPfP15HIP_vector_typeIfLj2EEffffjfiS5_IjLj3EEiiiiiiiiiiiliiliiiiil,comdat
.Lfunc_end87:
	.size	_ZL15flash_attn_tileILi128ELi128ELi32ELi1ELb1EEvPKcS1_S1_S1_S1_PKiPfP15HIP_vector_typeIfLj2EEffffjfiS5_IjLj3EEiiiiiiiiiiiliiliiiiil, .Lfunc_end87-_ZL15flash_attn_tileILi128ELi128ELi32ELi1ELb1EEvPKcS1_S1_S1_S1_PKiPfP15HIP_vector_typeIfLj2EEffffjfiS5_IjLj3EEiiiiiiiiiiiliiliiiiil
                                        ; -- End function
	.section	.AMDGPU.csdata,"",@progbits
; Kernel info:
; codeLenInByte = 91404
; NumSgprs: 52
; NumVgprs: 130
; ScratchSize: 0
; MemoryBound: 0
; FloatMode: 240
; IeeeMode: 1
; LDSByteSize: 43008 bytes/workgroup (compile time only)
; SGPRBlocks: 6
; VGPRBlocks: 16
; NumSGPRsForWavesPerEU: 52
; NumVGPRsForWavesPerEU: 130
; Occupancy: 6
; WaveLimiterHint : 0
; COMPUTE_PGM_RSRC2:SCRATCH_EN: 0
; COMPUTE_PGM_RSRC2:USER_SGPR: 13
; COMPUTE_PGM_RSRC2:TRAP_HANDLER: 0
; COMPUTE_PGM_RSRC2:TGID_X_EN: 1
; COMPUTE_PGM_RSRC2:TGID_Y_EN: 1
; COMPUTE_PGM_RSRC2:TGID_Z_EN: 1
; COMPUTE_PGM_RSRC2:TIDIG_COMP_CNT: 2
	.section	.text._ZL15flash_attn_tileILi128ELi128ELi16ELi1ELb1EEvPKcS1_S1_S1_S1_PKiPfP15HIP_vector_typeIfLj2EEffffjfiS5_IjLj3EEiiiiiiiiiiiliiliiiiil,"axG",@progbits,_ZL15flash_attn_tileILi128ELi128ELi16ELi1ELb1EEvPKcS1_S1_S1_S1_PKiPfP15HIP_vector_typeIfLj2EEffffjfiS5_IjLj3EEiiiiiiiiiiiliiliiiiil,comdat
	.globl	_ZL15flash_attn_tileILi128ELi128ELi16ELi1ELb1EEvPKcS1_S1_S1_S1_PKiPfP15HIP_vector_typeIfLj2EEffffjfiS5_IjLj3EEiiiiiiiiiiiliiliiiiil ; -- Begin function _ZL15flash_attn_tileILi128ELi128ELi16ELi1ELb1EEvPKcS1_S1_S1_S1_PKiPfP15HIP_vector_typeIfLj2EEffffjfiS5_IjLj3EEiiiiiiiiiiiliiliiiiil
	.p2align	8
	.type	_ZL15flash_attn_tileILi128ELi128ELi16ELi1ELb1EEvPKcS1_S1_S1_S1_PKiPfP15HIP_vector_typeIfLj2EEffffjfiS5_IjLj3EEiiiiiiiiiiiliiliiiiil,@function
_ZL15flash_attn_tileILi128ELi128ELi16ELi1ELb1EEvPKcS1_S1_S1_S1_PKiPfP15HIP_vector_typeIfLj2EEffffjfiS5_IjLj3EEiiiiiiiiiiiliiliiiiil: ; @_ZL15flash_attn_tileILi128ELi128ELi16ELi1ELb1EEvPKcS1_S1_S1_S1_PKiPfP15HIP_vector_typeIfLj2EEffffjfiS5_IjLj3EEiiiiiiiiiiiliiliiiiil
; %bb.0:
	s_clause 0x3
	s_load_b128 s[36:39], s[0:1], 0x5c
	s_load_b64 s[42:43], s[0:1], 0x80
	s_load_b512 s[16:31], s[0:1], 0x0
	s_load_b64 s[44:45], s[0:1], 0xb8
	s_mov_b64 s[40:41], 0
	s_waitcnt lgkmcnt(0)
	v_cvt_f32_u32_e32 v1, s39
	s_sub_i32 s3, 0, s39
	s_delay_alu instid0(VALU_DEP_1) | instskip(SKIP_2) | instid1(VALU_DEP_1)
	v_rcp_iflag_f32_e32 v1, v1
	s_waitcnt_depctr 0xfff
	v_mul_f32_e32 v1, 0x4f7ffffe, v1
	v_cvt_u32_f32_e32 v1, v1
	s_delay_alu instid0(VALU_DEP_1) | instskip(NEXT) | instid1(VALU_DEP_1)
	v_readfirstlane_b32 s2, v1
	s_mul_i32 s3, s3, s2
	s_delay_alu instid0(SALU_CYCLE_1) | instskip(NEXT) | instid1(SALU_CYCLE_1)
	s_mul_hi_u32 s3, s2, s3
	s_add_i32 s2, s2, s3
	s_delay_alu instid0(SALU_CYCLE_1) | instskip(NEXT) | instid1(SALU_CYCLE_1)
	s_mul_hi_u32 s2, s15, s2
	s_mul_i32 s3, s2, s39
	s_add_i32 s4, s2, 1
	s_sub_i32 s3, s15, s3
	s_delay_alu instid0(SALU_CYCLE_1)
	s_sub_i32 s5, s3, s39
	s_cmp_ge_u32 s3, s39
	s_cselect_b32 s2, s4, s2
	s_cselect_b32 s3, s5, s3
	s_add_i32 s4, s2, 1
	s_cmp_ge_u32 s3, s39
	s_cselect_b32 s33, s4, s2
	s_abs_i32 s2, s43
	s_abs_i32 s6, s39
	v_cvt_f32_u32_e32 v1, s2
	s_sub_i32 s4, 0, s2
	s_mul_i32 s5, s33, s39
	s_delay_alu instid0(SALU_CYCLE_1) | instskip(NEXT) | instid1(VALU_DEP_1)
	s_sub_i32 s34, s15, s5
	v_rcp_iflag_f32_e32 v1, v1
	s_waitcnt_depctr 0xfff
	v_mul_f32_e32 v1, 0x4f7ffffe, v1
	s_delay_alu instid0(VALU_DEP_1) | instskip(NEXT) | instid1(VALU_DEP_1)
	v_cvt_u32_f32_e32 v1, v1
	v_readfirstlane_b32 s3, v1
	s_delay_alu instid0(VALU_DEP_1) | instskip(NEXT) | instid1(SALU_CYCLE_1)
	s_mul_i32 s4, s4, s3
	s_mul_hi_u32 s4, s3, s4
	s_delay_alu instid0(SALU_CYCLE_1) | instskip(SKIP_4) | instid1(SALU_CYCLE_1)
	s_add_i32 s3, s3, s4
	s_xor_b32 s4, s39, s43
	s_mul_hi_u32 s3, s6, s3
	s_ashr_i32 s4, s4, 31
	s_mul_i32 s5, s3, s2
	s_sub_i32 s5, s6, s5
	s_add_i32 s6, s3, 1
	s_sub_i32 s7, s5, s2
	s_cmp_ge_u32 s5, s2
	s_cselect_b32 s3, s6, s3
	s_cselect_b32 s5, s7, s5
	s_add_i32 s6, s3, 1
	s_cmp_ge_u32 s5, s2
	s_cselect_b32 s2, s6, s3
	s_abs_i32 s43, s34
	s_xor_b32 s2, s2, s4
	s_delay_alu instid0(SALU_CYCLE_1) | instskip(NEXT) | instid1(SALU_CYCLE_1)
	s_sub_i32 s46, s2, s4
	s_abs_i32 s12, s46
	s_delay_alu instid0(SALU_CYCLE_1) | instskip(SKIP_1) | instid1(VALU_DEP_1)
	v_cvt_f32_u32_e32 v1, s12
	s_sub_i32 s3, 0, s12
	v_rcp_iflag_f32_e32 v1, v1
	s_waitcnt_depctr 0xfff
	v_mul_f32_e32 v1, 0x4f7ffffe, v1
	s_delay_alu instid0(VALU_DEP_1) | instskip(NEXT) | instid1(VALU_DEP_1)
	v_cvt_u32_f32_e32 v1, v1
	v_readfirstlane_b32 s2, v1
	s_delay_alu instid0(VALU_DEP_1) | instskip(NEXT) | instid1(SALU_CYCLE_1)
	s_mul_i32 s3, s3, s2
	s_mul_hi_u32 s3, s2, s3
	s_delay_alu instid0(SALU_CYCLE_1)
	s_add_i32 s2, s2, s3
	s_cmp_eq_u64 s[22:23], 0
	s_cbranch_scc1 .LBB88_2
; %bb.1:
	s_abs_i32 s3, s44
	s_abs_i32 s6, s33
	v_cvt_f32_u32_e32 v1, s3
	s_sub_i32 s5, 0, s3
	s_delay_alu instid0(VALU_DEP_1) | instskip(SKIP_2) | instid1(VALU_DEP_1)
	v_rcp_iflag_f32_e32 v1, v1
	s_waitcnt_depctr 0xfff
	v_mul_f32_e32 v1, 0x4f7ffffe, v1
	v_cvt_u32_f32_e32 v1, v1
	s_delay_alu instid0(VALU_DEP_1) | instskip(NEXT) | instid1(VALU_DEP_1)
	v_readfirstlane_b32 s4, v1
	s_mul_i32 s5, s5, s4
	s_delay_alu instid0(SALU_CYCLE_1) | instskip(NEXT) | instid1(SALU_CYCLE_1)
	s_mul_hi_u32 s5, s4, s5
	s_add_i32 s7, s4, s5
	s_load_b64 s[4:5], s[0:1], 0xc8
	s_mul_hi_u32 s7, s6, s7
	s_delay_alu instid0(SALU_CYCLE_1) | instskip(NEXT) | instid1(SALU_CYCLE_1)
	s_mul_i32 s7, s7, s3
	s_sub_i32 s6, s6, s7
	s_ashr_i32 s7, s33, 31
	s_sub_i32 s8, s6, s3
	s_cmp_ge_u32 s6, s3
	s_cselect_b32 s6, s8, s6
	s_delay_alu instid0(SALU_CYCLE_1) | instskip(SKIP_2) | instid1(SALU_CYCLE_1)
	s_sub_i32 s8, s6, s3
	s_cmp_ge_u32 s6, s3
	s_cselect_b32 s3, s8, s6
	s_xor_b32 s3, s3, s7
	s_delay_alu instid0(SALU_CYCLE_1)
	s_sub_i32 s3, s3, s7
	s_waitcnt lgkmcnt(0)
	s_mul_i32 s5, s3, s5
	s_mul_hi_u32 s6, s3, s4
	s_ashr_i32 s7, s3, 31
	s_add_i32 s5, s6, s5
	s_mul_i32 s7, s7, s4
	s_mul_i32 s3, s3, s4
	s_add_i32 s5, s5, s7
	s_add_u32 s40, s22, s3
	s_addc_u32 s41, s23, s5
.LBB88_2:
	s_clause 0x1
	s_load_b128 s[8:11], s[0:1], 0x40
	s_load_b64 s[22:23], s[0:1], 0x50
	v_mov_b32_e32 v43, 1.0
	s_waitcnt lgkmcnt(0)
	v_cmp_le_f32_e64 s3, s9, 0
	s_mul_hi_u32 s9, s43, s2
	s_delay_alu instid0(VALU_DEP_1)
	s_and_b32 vcc_lo, exec_lo, s3
	s_cbranch_vccnz .LBB88_4
; %bb.3:
	s_sub_i32 s2, s34, s22
	s_add_i32 s3, s34, 1
	s_lshl_b32 s2, s2, 1
	v_mov_b32_e32 v1, s10
	s_or_b32 s2, s2, 1
	s_cmp_lt_u32 s34, s22
	s_cselect_b32 vcc_lo, -1, 0
	s_delay_alu instid0(VALU_DEP_1)
	v_cndmask_b32_e32 v3, s11, v1, vcc_lo
	s_and_b32 s4, vcc_lo, exec_lo
	s_cselect_b32 s2, s3, s2
	s_mov_b32 s3, 0x3e76c4e1
	v_cvt_f32_i32_e32 v1, s2
	v_cmp_neq_f32_e32 vcc_lo, 1.0, v3
	s_delay_alu instid0(VALU_DEP_2) | instskip(NEXT) | instid1(VALU_DEP_1)
	v_cndmask_b32_e32 v4, 1.0, v1, vcc_lo
	v_cmp_eq_f32_e32 vcc_lo, 0, v4
	v_cndmask_b32_e64 v5, |v3|, 1.0, vcc_lo
	s_delay_alu instid0(VALU_DEP_1) | instskip(NEXT) | instid1(VALU_DEP_1)
	v_frexp_mant_f32_e32 v1, v5
	v_cmp_gt_f32_e64 s2, 0x3f2aaaab, v1
	s_delay_alu instid0(VALU_DEP_1) | instskip(NEXT) | instid1(VALU_DEP_1)
	v_cndmask_b32_e64 v2, 1.0, 2.0, s2
	v_mul_f32_e32 v1, v1, v2
	s_delay_alu instid0(VALU_DEP_1) | instskip(SKIP_1) | instid1(VALU_DEP_2)
	v_add_f32_e32 v2, 1.0, v1
	v_add_f32_e32 v7, -1.0, v1
	v_rcp_f32_e32 v6, v2
	s_waitcnt_depctr 0xfff
	v_mul_f32_e32 v8, v7, v6
	s_delay_alu instid0(VALU_DEP_1) | instskip(NEXT) | instid1(VALU_DEP_1)
	v_dual_add_f32 v9, -1.0, v2 :: v_dual_mul_f32 v10, v2, v8
	v_sub_f32_e32 v1, v1, v9
	v_cndmask_b32_e64 v3, v3, 1.0, vcc_lo
	s_delay_alu instid0(VALU_DEP_3) | instskip(NEXT) | instid1(VALU_DEP_2)
	v_fma_f32 v2, v8, v2, -v10
	v_cmp_eq_f32_e64 s4, 0, v3
	s_delay_alu instid0(VALU_DEP_2) | instskip(NEXT) | instid1(VALU_DEP_1)
	v_fmac_f32_e32 v2, v8, v1
	v_add_f32_e32 v1, v10, v2
	s_delay_alu instid0(VALU_DEP_1) | instskip(NEXT) | instid1(VALU_DEP_1)
	v_dual_sub_f32 v10, v1, v10 :: v_dual_sub_f32 v9, v7, v1
	v_dual_sub_f32 v2, v10, v2 :: v_dual_sub_f32 v7, v7, v9
	s_delay_alu instid0(VALU_DEP_1) | instskip(NEXT) | instid1(VALU_DEP_1)
	v_sub_f32_e32 v1, v7, v1
	v_add_f32_e32 v1, v2, v1
	s_delay_alu instid0(VALU_DEP_1) | instskip(NEXT) | instid1(VALU_DEP_1)
	v_add_f32_e32 v1, v9, v1
	v_mul_f32_e32 v1, v6, v1
	s_delay_alu instid0(VALU_DEP_1) | instskip(NEXT) | instid1(VALU_DEP_1)
	v_add_f32_e32 v6, v8, v1
	v_sub_f32_e32 v2, v6, v8
	v_mul_f32_e32 v7, v6, v6
	s_delay_alu instid0(VALU_DEP_2) | instskip(NEXT) | instid1(VALU_DEP_2)
	v_sub_f32_e32 v8, v1, v2
	v_fma_f32 v9, v6, v6, -v7
	s_delay_alu instid0(VALU_DEP_2) | instskip(NEXT) | instid1(VALU_DEP_1)
	v_add_f32_e32 v1, v8, v8
	v_fmac_f32_e32 v9, v6, v1
	v_cvt_f64_f32_e32 v[1:2], v5
	s_delay_alu instid0(VALU_DEP_2) | instskip(NEXT) | instid1(VALU_DEP_1)
	v_add_f32_e32 v10, v7, v9
	v_fmaak_f32 v11, s3, v10, 0x3e91f4c4
	v_sub_f32_e32 v7, v10, v7
	v_mul_f32_e32 v14, v6, v10
	s_delay_alu instid0(VALU_DEP_3) | instskip(NEXT) | instid1(VALU_DEP_3)
	v_fmaak_f32 v11, v10, v11, 0x3ecccdef
	v_sub_f32_e32 v7, v9, v7
	s_delay_alu instid0(VALU_DEP_2) | instskip(NEXT) | instid1(VALU_DEP_1)
	v_mul_f32_e32 v12, v10, v11
	v_fma_f32 v9, v10, v11, -v12
	s_delay_alu instid0(VALU_DEP_1) | instskip(NEXT) | instid1(VALU_DEP_1)
	v_fmac_f32_e32 v9, v7, v11
	v_add_f32_e32 v11, v12, v9
	v_frexp_exp_i32_f64_e32 v1, v[1:2]
	s_delay_alu instid0(VALU_DEP_2) | instskip(NEXT) | instid1(VALU_DEP_1)
	v_sub_f32_e32 v12, v11, v12
	v_sub_f32_e32 v2, v9, v12
	v_fma_f32 v12, v10, v6, -v14
	s_delay_alu instid0(VALU_DEP_2) | instskip(NEXT) | instid1(VALU_DEP_2)
	v_add_f32_e32 v2, 0x31739010, v2
	v_dual_add_f32 v13, 0x3f2aaaaa, v11 :: v_dual_fmac_f32 v12, v10, v8
	v_ldexp_f32 v8, v8, 1
	s_delay_alu instid0(VALU_DEP_2) | instskip(NEXT) | instid1(VALU_DEP_1)
	v_dual_add_f32 v9, 0xbf2aaaaa, v13 :: v_dual_fmac_f32 v12, v7, v6
	v_sub_f32_e32 v9, v11, v9
	s_delay_alu instid0(VALU_DEP_1) | instskip(NEXT) | instid1(VALU_DEP_3)
	v_add_f32_e32 v2, v2, v9
	v_add_f32_e32 v9, v14, v12
	s_delay_alu instid0(VALU_DEP_2) | instskip(NEXT) | instid1(VALU_DEP_1)
	v_add_f32_e32 v7, v13, v2
	v_sub_f32_e32 v10, v13, v7
	s_delay_alu instid0(VALU_DEP_3) | instskip(SKIP_2) | instid1(VALU_DEP_4)
	v_mul_f32_e32 v11, v9, v7
	v_sub_f32_e32 v13, v9, v14
	v_subrev_co_ci_u32_e64 v1, s2, 0, v1, s2
	v_add_f32_e32 v2, v2, v10
	s_delay_alu instid0(VALU_DEP_4) | instskip(NEXT) | instid1(VALU_DEP_4)
	v_fma_f32 v10, v9, v7, -v11
	v_sub_f32_e32 v12, v12, v13
	s_delay_alu instid0(VALU_DEP_4) | instskip(NEXT) | instid1(VALU_DEP_3)
	v_cvt_f32_i32_e32 v1, v1
	v_fmac_f32_e32 v10, v9, v2
	v_ldexp_f32 v2, v6, 1
	s_delay_alu instid0(VALU_DEP_2) | instskip(NEXT) | instid1(VALU_DEP_1)
	v_fmac_f32_e32 v10, v12, v7
	v_add_f32_e32 v6, v11, v10
	s_delay_alu instid0(VALU_DEP_1) | instskip(NEXT) | instid1(VALU_DEP_1)
	v_add_f32_e32 v7, v2, v6
	v_dual_sub_f32 v2, v7, v2 :: v_dual_sub_f32 v9, v6, v11
	s_delay_alu instid0(VALU_DEP_1) | instskip(NEXT) | instid1(VALU_DEP_2)
	v_sub_f32_e32 v2, v6, v2
	v_sub_f32_e32 v9, v10, v9
	s_delay_alu instid0(VALU_DEP_1) | instskip(NEXT) | instid1(VALU_DEP_1)
	v_add_f32_e32 v6, v8, v9
	v_dual_mul_f32 v11, 0x3f317218, v1 :: v_dual_add_f32 v2, v6, v2
	s_delay_alu instid0(VALU_DEP_1) | instskip(NEXT) | instid1(VALU_DEP_2)
	v_fma_f32 v10, 0x3f317218, v1, -v11
	v_add_f32_e32 v8, v7, v2
	s_delay_alu instid0(VALU_DEP_1) | instskip(NEXT) | instid1(VALU_DEP_1)
	v_sub_f32_e32 v7, v8, v7
	v_dual_fmamk_f32 v1, v1, 0xb102e308, v10 :: v_dual_sub_f32 v2, v2, v7
	s_delay_alu instid0(VALU_DEP_1) | instskip(NEXT) | instid1(VALU_DEP_1)
	v_add_f32_e32 v6, v11, v1
	v_add_f32_e32 v9, v6, v8
	s_delay_alu instid0(VALU_DEP_1) | instskip(NEXT) | instid1(VALU_DEP_1)
	v_dual_sub_f32 v11, v6, v11 :: v_dual_sub_f32 v10, v9, v6
	v_sub_f32_e32 v12, v9, v10
	s_delay_alu instid0(VALU_DEP_2) | instskip(NEXT) | instid1(VALU_DEP_2)
	v_sub_f32_e32 v1, v1, v11
	v_dual_sub_f32 v7, v8, v10 :: v_dual_sub_f32 v6, v6, v12
	s_delay_alu instid0(VALU_DEP_2) | instskip(NEXT) | instid1(VALU_DEP_2)
	v_add_f32_e32 v8, v1, v2
	v_add_f32_e32 v6, v7, v6
	s_delay_alu instid0(VALU_DEP_1) | instskip(NEXT) | instid1(VALU_DEP_1)
	v_add_f32_e32 v6, v8, v6
	v_dual_sub_f32 v7, v8, v1 :: v_dual_add_f32 v10, v9, v6
	s_delay_alu instid0(VALU_DEP_1) | instskip(SKIP_1) | instid1(VALU_DEP_3)
	v_sub_f32_e32 v8, v8, v7
	v_sub_f32_e32 v2, v2, v7
	;; [unrolled: 1-line block ×3, first 2 shown]
	s_delay_alu instid0(VALU_DEP_3) | instskip(NEXT) | instid1(VALU_DEP_1)
	v_sub_f32_e32 v1, v1, v8
	v_add_f32_e32 v1, v2, v1
	s_delay_alu instid0(VALU_DEP_3) | instskip(NEXT) | instid1(VALU_DEP_1)
	v_sub_f32_e32 v2, v6, v7
	v_add_f32_e32 v1, v1, v2
	s_delay_alu instid0(VALU_DEP_1) | instskip(NEXT) | instid1(VALU_DEP_1)
	v_add_f32_e32 v2, v10, v1
	v_mul_f32_e32 v7, v4, v2
	v_sub_f32_e32 v6, v2, v10
	s_delay_alu instid0(VALU_DEP_2) | instskip(NEXT) | instid1(VALU_DEP_2)
	v_fma_f32 v2, v4, v2, -v7
	v_sub_f32_e32 v1, v1, v6
	v_cmp_class_f32_e64 s2, v7, 0x204
	s_delay_alu instid0(VALU_DEP_2) | instskip(NEXT) | instid1(VALU_DEP_1)
	v_fmac_f32_e32 v2, v4, v1
	v_add_f32_e32 v1, v7, v2
	s_delay_alu instid0(VALU_DEP_1) | instskip(NEXT) | instid1(VALU_DEP_1)
	v_cndmask_b32_e64 v6, v1, v7, s2
	v_cmp_eq_f32_e64 s2, 0x42b17218, v6
	s_delay_alu instid0(VALU_DEP_1) | instskip(SKIP_1) | instid1(VALU_DEP_2)
	v_cndmask_b32_e64 v8, 0, 0x37000000, s2
	v_cmp_neq_f32_e64 s2, 0x7f800000, |v6|
	v_sub_f32_e32 v9, v6, v8
	v_trunc_f32_e32 v6, v4
	s_delay_alu instid0(VALU_DEP_2) | instskip(NEXT) | instid1(VALU_DEP_1)
	v_mul_f32_e32 v10, 0x3fb8aa3b, v9
	v_fma_f32 v11, 0x3fb8aa3b, v9, -v10
	v_rndne_f32_e32 v12, v10
	s_delay_alu instid0(VALU_DEP_1) | instskip(NEXT) | instid1(VALU_DEP_1)
	v_dual_fmamk_f32 v11, v9, 0x32a5705f, v11 :: v_dual_sub_f32 v10, v10, v12
	v_add_f32_e32 v10, v10, v11
	v_sub_f32_e32 v1, v1, v7
	v_cvt_i32_f32_e32 v7, v12
	s_delay_alu instid0(VALU_DEP_3) | instskip(NEXT) | instid1(VALU_DEP_2)
	v_exp_f32_e32 v10, v10
	v_sub_f32_e32 v1, v2, v1
	s_delay_alu instid0(VALU_DEP_1)
	v_cndmask_b32_e64 v1, 0, v1, s2
	v_cmp_ngt_f32_e64 s2, 0xc2ce8ed0, v9
	s_waitcnt_depctr 0xfff
	v_ldexp_f32 v2, v10, v7
	v_mul_f32_e32 v7, 0.5, v4
	v_add_f32_e32 v1, v8, v1
	s_delay_alu instid0(VALU_DEP_3) | instskip(NEXT) | instid1(VALU_DEP_3)
	v_cndmask_b32_e64 v2, 0, v2, s2
	v_trunc_f32_e32 v10, v7
	v_cmp_nlt_f32_e64 s2, 0x42b17218, v9
	s_delay_alu instid0(VALU_DEP_2) | instskip(NEXT) | instid1(VALU_DEP_2)
	v_cmp_neq_f32_e64 s3, v10, v7
	v_cndmask_b32_e64 v2, 0x7f800000, v2, s2
	v_cmp_eq_f32_e64 s2, v6, v4
	s_delay_alu instid0(VALU_DEP_2) | instskip(NEXT) | instid1(VALU_DEP_2)
	v_fma_f32 v1, v2, v1, v2
	s_and_b32 vcc_lo, s2, s3
	v_cmp_class_f32_e64 s3, v2, 0x204
	v_cndmask_b32_e32 v6, 1.0, v3, vcc_lo
	s_delay_alu instid0(VALU_DEP_2) | instskip(SKIP_1) | instid1(VALU_DEP_2)
	v_cndmask_b32_e64 v1, v1, v2, s3
	v_cmp_gt_f32_e64 s3, 0, v4
	v_bfi_b32 v1, 0x7fffffff, v1, v6
	v_cndmask_b32_e32 v6, 0, v3, vcc_lo
	s_delay_alu instid0(VALU_DEP_3)
	s_xor_b32 s3, s3, s4
	v_cmp_eq_f32_e32 vcc_lo, 0x7f800000, v5
	v_cndmask_b32_e64 v2, 0x7f800000, 0, s3
	v_cndmask_b32_e64 v4, 0x7fc00000, v1, s2
	v_cmp_gt_f32_e64 s2, 0, v3
	s_or_b32 vcc_lo, vcc_lo, s4
	s_delay_alu instid0(VALU_DEP_3) | instskip(NEXT) | instid1(VALU_DEP_2)
	v_bfi_b32 v2, 0x7fffffff, v2, v6
	v_cndmask_b32_e64 v1, v1, v4, s2
	s_delay_alu instid0(VALU_DEP_1) | instskip(SKIP_1) | instid1(VALU_DEP_2)
	v_cndmask_b32_e32 v1, v1, v2, vcc_lo
	v_cmp_o_f32_e32 vcc_lo, v3, v3
	v_cndmask_b32_e32 v43, 0x7fc00000, v1, vcc_lo
.LBB88_4:
	v_bfe_u32 v2, v0, 10, 10
	s_lshl_b32 s15, s13, 4
	s_load_b128 s[4:7], s[0:1], 0x70
	s_ashr_i32 s35, s34, 31
	s_ashr_i32 s10, s46, 31
	v_lshlrev_b32_e32 v36, 1, v2
	v_and_b32_e32 v38, 0x3ff, v0
	s_delay_alu instid0(VALU_DEP_2) | instskip(SKIP_1) | instid1(VALU_DEP_3)
	v_add_nc_u32_e32 v39, s15, v36
	v_or_b32_e32 v34, 1, v36
	v_lshlrev_b32_e32 v13, 1, v38
	s_delay_alu instid0(VALU_DEP_3) | instskip(NEXT) | instid1(VALU_DEP_3)
	v_mul_hi_u32 v1, v39, s36
	v_add_nc_u32_e32 v35, s15, v34
	v_lshlrev_b32_e32 v15, 6, v34
	s_delay_alu instid0(VALU_DEP_2) | instskip(SKIP_2) | instid1(VALU_DEP_4)
	v_mul_hi_u32 v3, v35, s36
	s_waitcnt lgkmcnt(0)
	s_mul_i32 s2, s33, s6
	v_add_nc_u32_e32 v1, v39, v1
	s_mul_i32 s3, s34, s5
	s_ashr_i32 s5, s2, 31
	s_add_u32 s2, s16, s2
	s_addc_u32 s5, s17, s5
	v_lshrrev_b32_e32 v1, s37, v1
	v_add_nc_u32_e32 v3, v35, v3
	s_ashr_i32 s6, s3, 31
	s_add_u32 s2, s2, s3
	s_addc_u32 s3, s5, s6
	v_mul_lo_u32 v1, v1, s38
	v_lshrrev_b32_e32 v3, s37, v3
	s_ashr_i32 s5, s4, 31
	s_delay_alu instid0(SALU_CYCLE_1) | instskip(SKIP_1) | instid1(VALU_DEP_2)
	v_alignbit_b32 v7, s5, s4, 2
	s_lshr_b32 s4, s5, 2
	v_mul_lo_u32 v5, v3, s38
	s_cmp_eq_u64 s[26:27], 0
	s_delay_alu instid0(VALU_DEP_4) | instskip(NEXT) | instid1(VALU_DEP_1)
	v_sub_nc_u32_e32 v49, v39, v1
	v_mad_u64_u32 v[3:4], null, v7, v49, 0
	s_delay_alu instid0(VALU_DEP_3) | instskip(NEXT) | instid1(VALU_DEP_1)
	v_sub_nc_u32_e32 v10, v35, v5
	v_mad_u64_u32 v[5:6], null, v7, v10, 0
	s_delay_alu instid0(VALU_DEP_3) | instskip(NEXT) | instid1(VALU_DEP_1)
	v_mov_b32_e32 v1, v4
	v_mad_u64_u32 v[7:8], null, s4, v49, v[1:2]
	s_delay_alu instid0(VALU_DEP_3) | instskip(NEXT) | instid1(VALU_DEP_1)
	v_mov_b32_e32 v1, v6
	v_mad_u64_u32 v[8:9], null, s4, v10, v[1:2]
	s_delay_alu instid0(VALU_DEP_3) | instskip(NEXT) | instid1(VALU_DEP_1)
	v_dual_mov_b32 v4, v7 :: v_dual_lshlrev_b32 v7, 4, v38
	v_lshlrev_b64 v[0:1], 2, v[3:4]
	s_delay_alu instid0(VALU_DEP_3) | instskip(NEXT) | instid1(VALU_DEP_3)
	v_mov_b32_e32 v6, v8
	v_add_co_u32 v7, s2, s2, v7
	s_delay_alu instid0(VALU_DEP_1) | instskip(NEXT) | instid1(VALU_DEP_3)
	v_add_co_ci_u32_e64 v8, null, s3, 0, s2
	v_lshlrev_b64 v[3:4], 2, v[5:6]
	s_delay_alu instid0(VALU_DEP_3) | instskip(NEXT) | instid1(VALU_DEP_3)
	v_add_co_u32 v0, vcc_lo, v7, v0
	v_add_co_ci_u32_e32 v1, vcc_lo, v8, v1, vcc_lo
	s_mov_b32 s3, 0
	s_delay_alu instid0(VALU_DEP_3) | instskip(NEXT) | instid1(VALU_DEP_4)
	v_add_co_u32 v7, vcc_lo, v7, v3
	v_add_co_ci_u32_e32 v8, vcc_lo, v8, v4, vcc_lo
	s_clause 0x1
	global_load_b128 v[3:6], v[0:1], off
	global_load_b128 v[7:10], v[7:8], off
	v_lshlrev_b32_e32 v0, 7, v2
	s_delay_alu instid0(VALU_DEP_1)
	v_add_lshl_u32 v14, v0, v13, 2
	s_waitcnt vmcnt(1)
	v_fma_mixlo_f16 v1, v5, s8, 0
	v_fma_mixlo_f16 v0, v3, s8, 0
	s_waitcnt vmcnt(0)
	v_fma_mixlo_f16 v12, v9, s8, 0
	v_fma_mixlo_f16 v11, v7, s8, 0
	v_add_lshl_u32 v3, v15, v13, 2
	v_fma_mixhi_f16 v1, v6, s8, 0
	v_fma_mixhi_f16 v0, v4, s8, 0
	;; [unrolled: 1-line block ×4, first 2 shown]
	ds_store_b64 v14, v[0:1] offset:38912
	ds_store_b64 v3, v[11:12] offset:38912
	s_waitcnt lgkmcnt(0)
	s_barrier
	buffer_gl0_inv
	s_cbranch_scc1 .LBB88_6
; %bb.5:
	s_load_b32 s2, s[0:1], 0xd0
	s_waitcnt lgkmcnt(0)
	s_mul_i32 s2, s2, s33
	s_delay_alu instid0(SALU_CYCLE_1) | instskip(NEXT) | instid1(SALU_CYCLE_1)
	s_add_i32 s2, s2, s13
	s_lshl_b64 s[2:3], s[2:3], 2
	s_delay_alu instid0(SALU_CYCLE_1)
	s_add_u32 s2, s26, s2
	s_addc_u32 s3, s27, s3
	s_load_b32 s42, s[2:3], 0x0
.LBB88_6:
	s_clause 0x1
	s_load_b64 s[2:3], s[0:1], 0x8c
	s_load_b128 s[4:7], s[0:1], 0x98
	s_ashr_i32 s11, s33, 31
	s_load_b64 s[26:27], s[0:1], 0xa8
	s_ashr_i32 s17, s45, 1
	s_mul_i32 s13, s9, s12
	v_dual_mov_b32 v52, 0 :: v_dual_lshlrev_b32 v37, 2, v38
	v_mov_b32_e32 v47, 0
	v_lshrrev_b32_e32 v53, 4, v38
	v_mul_u32_u24_e32 v50, 0x110, v38
	s_delay_alu instid0(VALU_DEP_4)
	v_and_b32_e32 v54, 60, v37
	v_lshlrev_b32_e32 v41, 9, v2
	v_or_b32_e32 v46, 1, v39
	v_lshlrev_b32_e32 v42, 3, v38
	v_mbcnt_lo_u32_b32 v40, -1, 0
	s_mov_b32 s44, 0xfeffffff
	s_waitcnt lgkmcnt(0)
	s_ashr_i32 s8, s2, 2
	s_mul_i32 s2, s33, s5
	s_mul_hi_u32 s5, s33, s4
	s_ashr_i32 s22, s6, 2
	s_mul_i32 s6, s11, s4
	s_add_i32 s2, s5, s2
	s_mul_i32 s4, s33, s4
	s_add_i32 s2, s2, s6
	s_add_u32 s4, s18, s4
	s_addc_u32 s2, s19, s2
	s_sub_i32 s6, s43, s13
	s_xor_b32 s5, s35, s10
	s_add_i32 s10, s9, 1
	s_sub_i32 s13, s6, s12
	s_cmp_ge_u32 s6, s12
	s_mul_i32 s11, s11, s26
	s_cselect_b32 s9, s10, s9
	s_cselect_b32 s6, s13, s6
	s_add_i32 s10, s9, 1
	s_cmp_ge_u32 s6, s12
	s_mul_i32 s12, s33, s26
	s_cselect_b32 s6, s10, s9
	s_mul_i32 s9, s33, s27
	s_xor_b32 s6, s6, s5
	s_mul_hi_u32 s10, s33, s26
	s_sub_i32 s6, s6, s5
	s_delay_alu instid0(SALU_CYCLE_1)
	s_mul_i32 s3, s6, s3
	s_mul_i32 s6, s6, s7
	s_ashr_i32 s5, s3, 31
	s_add_u32 s4, s4, s3
	s_addc_u32 s5, s2, s5
	s_add_i32 s2, s10, s9
	s_delay_alu instid0(SALU_CYCLE_1)
	s_add_i32 s2, s2, s11
	s_add_u32 s3, s20, s12
	s_addc_u32 s2, s21, s2
	s_ashr_i32 s7, s6, 31
	s_add_u32 s19, s3, s6
	s_addc_u32 s18, s2, s7
	s_lshl_b32 s16, s14, 7
	s_add_i32 s6, s42, 0xffffff80
	s_delay_alu instid0(SALU_CYCLE_1)
	s_cmp_ge_i32 s16, s6
	s_cbranch_scc1 .LBB88_60
; %bb.7:
	v_dual_mov_b32 v44, 0 :: v_dual_add_nc_u32 v1, v53, v36
	s_lshl_b32 s2, s8, 4
	s_cmp_lg_u64 s[40:41], 0
	v_mul_hi_u32 v3, s36, v46
	s_delay_alu instid0(VALU_DEP_2)
	v_mul_lo_u32 v0, s8, v1
	v_mul_lo_u32 v18, s22, v1
	s_cselect_b32 s7, -1, 0
	s_lshl_b32 s3, s22, 4
	v_dual_mov_b32 v45, 0 :: v_dual_lshlrev_b32 v2, 2, v54
	v_mov_b32_e32 v80, 0xfeffffff
	v_mul_lo_u32 v56, v49, s17
	v_dual_mov_b32 v47, 0 :: v_dual_add_nc_u32 v4, s2, v0
	v_add_nc_u32_e32 v20, s3, v18
	v_mad_u32_u24 v58, 0x110, v1, v2
	v_lshl_or_b32 v59, v1, 8, v2
	s_delay_alu instid0(VALU_DEP_4) | instskip(NEXT) | instid1(VALU_DEP_4)
	v_dual_mov_b32 v79, 0xfeffffff :: v_dual_add_nc_u32 v6, s2, v4
	v_add_nc_u32_e32 v22, s3, v20
	v_add_nc_u32_e32 v1, v46, v3
	v_ashrrev_i32_e32 v19, 31, v18
	s_delay_alu instid0(VALU_DEP_4)
	v_add_nc_u32_e32 v8, s2, v6
	v_ashrrev_i32_e32 v5, 31, v4
	v_add_nc_u32_e32 v24, s3, v22
	v_lshrrev_b32_e32 v1, s37, v1
	v_ashrrev_i32_e32 v7, 31, v6
	v_add_nc_u32_e32 v10, s2, v8
	v_ashrrev_i32_e32 v9, 31, v8
	v_add_nc_u32_e32 v26, s3, v24
	v_mul_lo_u32 v2, v1, s38
	v_ashrrev_i32_e32 v1, 31, v0
	v_add_nc_u32_e32 v12, s2, v10
	v_ashrrev_i32_e32 v11, 31, v10
	v_add_nc_u32_e32 v28, s3, v26
	v_ashrrev_i32_e32 v21, 31, v20
	v_ashrrev_i32_e32 v23, 31, v22
	v_add_nc_u32_e32 v14, s2, v12
	v_sub_nc_u32_e32 v2, v46, v2
	v_add_nc_u32_e32 v30, s3, v28
	v_ashrrev_i32_e32 v13, 31, v12
	v_ashrrev_i32_e32 v25, 31, v24
	v_add_nc_u32_e32 v16, s2, v14
	v_ashrrev_i32_e32 v15, 31, v14
	v_add_nc_u32_e32 v32, s3, v30
	v_ashrrev_i32_e32 v27, 31, v26
	v_ashrrev_i32_e32 v29, 31, v28
	;; [unrolled: 1-line block ×5, first 2 shown]
	s_add_u32 s2, s0, 0xd0
	v_mul_lo_u32 v68, v2, s17
	s_addc_u32 s3, s1, 0
	s_add_u32 s9, s40, 64
	s_addc_u32 s10, s41, 0
	v_lshlrev_b64 v[2:3], 2, v[0:1]
	v_lshlrev_b64 v[4:5], 2, v[4:5]
	;; [unrolled: 1-line block ×16, first 2 shown]
	v_dual_mov_b32 v48, 0 :: v_dual_add_nc_u32 v55, 0x9800, v41
	v_dual_mov_b32 v78, 0 :: v_dual_add_nc_u32 v57, 0x8800, v41
	v_dual_mov_b32 v77, 0 :: v_dual_add_nc_u32 v60, 0x1100, v58
	v_add_nc_u32_e32 v61, 0x2200, v58
	v_add_nc_u32_e32 v62, 0x3300, v58
	;; [unrolled: 1-line block ×13, first 2 shown]
	s_add_u32 s11, s40, 0x80
	v_lshlrev_b32_e32 v75, 2, v54
	v_mbcnt_lo_u32_b32 v76, -1, 0
	s_addc_u32 s12, s41, 0
	s_add_u32 s13, s40, 0xc0
	s_addc_u32 s20, s41, 0
	s_mov_b32 s21, 0xbbbac73d
.LBB88_8:                               ; =>This Inner Loop Header: Depth=1
	s_mul_hi_i32 s27, s16, s8
	s_mul_i32 s26, s16, s8
	s_delay_alu instid0(SALU_CYCLE_1) | instskip(NEXT) | instid1(SALU_CYCLE_1)
	s_lshl_b64 s[26:27], s[26:27], 2
	s_add_u32 s26, s4, s26
	s_addc_u32 s27, s5, s27
	v_add_co_u32 v0, vcc_lo, s26, v2
	v_add_co_ci_u32_e32 v1, vcc_lo, s27, v3, vcc_lo
	v_add_co_u32 v51, vcc_lo, s26, v4
	v_add_co_ci_u32_e32 v52, vcc_lo, s27, v5, vcc_lo
	s_delay_alu instid0(VALU_DEP_4) | instskip(NEXT) | instid1(VALU_DEP_4)
	v_add_co_u32 v0, vcc_lo, v0, v75
	v_add_co_ci_u32_e32 v1, vcc_lo, 0, v1, vcc_lo
	s_delay_alu instid0(VALU_DEP_4) | instskip(NEXT) | instid1(VALU_DEP_4)
	v_add_co_u32 v51, vcc_lo, v51, v75
	v_add_co_ci_u32_e32 v52, vcc_lo, 0, v52, vcc_lo
	s_clause 0x1
	global_load_b128 v[81:84], v[0:1], off
	global_load_b128 v[85:88], v[51:52], off
	v_add_co_u32 v0, vcc_lo, s26, v6
	v_add_co_ci_u32_e32 v1, vcc_lo, s27, v7, vcc_lo
	v_add_co_u32 v51, vcc_lo, s26, v8
	v_add_co_ci_u32_e32 v52, vcc_lo, s27, v9, vcc_lo
	s_delay_alu instid0(VALU_DEP_4) | instskip(NEXT) | instid1(VALU_DEP_4)
	v_add_co_u32 v0, vcc_lo, v0, v75
	v_add_co_ci_u32_e32 v1, vcc_lo, 0, v1, vcc_lo
	s_delay_alu instid0(VALU_DEP_4) | instskip(NEXT) | instid1(VALU_DEP_4)
	v_add_co_u32 v51, vcc_lo, v51, v75
	v_add_co_ci_u32_e32 v52, vcc_lo, 0, v52, vcc_lo
	v_add_co_u32 v89, vcc_lo, s26, v10
	v_add_co_ci_u32_e32 v90, vcc_lo, s27, v11, vcc_lo
	v_add_co_u32 v91, vcc_lo, s26, v12
	v_add_co_ci_u32_e32 v92, vcc_lo, s27, v13, vcc_lo
	s_delay_alu instid0(VALU_DEP_4) | instskip(NEXT) | instid1(VALU_DEP_4)
	v_add_co_u32 v97, vcc_lo, v89, v75
	v_add_co_ci_u32_e32 v98, vcc_lo, 0, v90, vcc_lo
	s_delay_alu instid0(VALU_DEP_4) | instskip(NEXT) | instid1(VALU_DEP_4)
	v_add_co_u32 v101, vcc_lo, v91, v75
	v_add_co_ci_u32_e32 v102, vcc_lo, 0, v92, vcc_lo
	;; [unrolled: 10-line block ×3, first 2 shown]
	s_clause 0x5
	global_load_b128 v[89:92], v[0:1], off
	global_load_b128 v[93:96], v[51:52], off
	;; [unrolled: 1-line block ×6, first 2 shown]
	v_dual_mov_b32 v51, 0 :: v_dual_mov_b32 v52, 0
	s_waitcnt vmcnt(7)
	ds_store_b128 v58, v[81:84]
	s_waitcnt vmcnt(6)
	ds_store_b128 v60, v[85:88]
	;; [unrolled: 2-line block ×8, first 2 shown]
	s_waitcnt lgkmcnt(0)
	s_barrier
	buffer_gl0_inv
	ds_load_b128 v[87:90], v50
	ds_load_b128 v[91:94], v55
	ds_load_b128 v[95:98], v55 offset:256
	ds_load_b128 v[99:102], v50 offset:8704
	v_dual_mov_b32 v83, 0 :: v_dual_mov_b32 v84, 0
	ds_load_b128 v[103:106], v50 offset:17408
	ds_load_b128 v[107:110], v50 offset:26112
	s_waitcnt lgkmcnt(4)
	;;#ASMSTART
	v_dot2_f32_f16 v83, v87, v91, v83
	;;#ASMEND
	;;#ASMSTART
	v_dot2_f32_f16 v83, v88, v92, v83
	;;#ASMEND
	;;#ASMSTART
	v_dot2_f32_f16 v83, v89, v93, v83
	;;#ASMEND
	;;#ASMSTART
	v_dot2_f32_f16 v83, v90, v94, v83
	;;#ASMEND
	s_waitcnt lgkmcnt(3)
	;;#ASMSTART
	v_dot2_f32_f16 v51, v87, v95, v51
	;;#ASMEND
	;;#ASMSTART
	v_dot2_f32_f16 v51, v88, v96, v51
	;;#ASMEND
	;;#ASMSTART
	v_dot2_f32_f16 v51, v89, v97, v51
	;;#ASMEND
	;;#ASMSTART
	v_dot2_f32_f16 v51, v90, v98, v51
	;;#ASMEND
	;; [unrolled: 13-line block ×3, first 2 shown]
	;;#ASMSTART
	v_dot2_f32_f16 v52, v99, v95, v52
	;;#ASMEND
	;;#ASMSTART
	v_dot2_f32_f16 v52, v100, v96, v52
	;;#ASMEND
	v_dual_mov_b32 v85, 0 :: v_dual_mov_b32 v86, 0
	;;#ASMSTART
	v_dot2_f32_f16 v52, v101, v97, v52
	;;#ASMEND
	;;#ASMSTART
	v_dot2_f32_f16 v52, v102, v98, v52
	;;#ASMEND
	s_waitcnt lgkmcnt(1)
	;;#ASMSTART
	v_dot2_f32_f16 v85, v103, v91, v85
	;;#ASMEND
	;;#ASMSTART
	v_dot2_f32_f16 v85, v104, v92, v85
	;;#ASMEND
	v_dual_mov_b32 v81, 0 :: v_dual_mov_b32 v82, 0
	;;#ASMSTART
	v_dot2_f32_f16 v85, v105, v93, v85
	;;#ASMEND
	;;#ASMSTART
	v_dot2_f32_f16 v85, v106, v94, v85
	;;#ASMEND
	;; [unrolled: 3-line block ×6, first 2 shown]
	s_waitcnt lgkmcnt(0)
	;;#ASMSTART
	v_dot2_f32_f16 v86, v107, v91, v86
	;;#ASMEND
	;;#ASMSTART
	v_dot2_f32_f16 v86, v108, v92, v86
	;;#ASMEND
	;; [unrolled: 3-line block ×8, first 2 shown]
	ds_load_b128 v[87:90], v50 offset:16
	ds_load_b128 v[91:94], v55 offset:16
	;; [unrolled: 1-line block ×6, first 2 shown]
	s_waitcnt lgkmcnt(4)
	;;#ASMSTART
	v_dot2_f32_f16 v83, v87, v91, v83
	;;#ASMEND
	;;#ASMSTART
	v_dot2_f32_f16 v83, v88, v92, v83
	;;#ASMEND
	;;#ASMSTART
	v_dot2_f32_f16 v83, v89, v93, v83
	;;#ASMEND
	;;#ASMSTART
	v_dot2_f32_f16 v83, v90, v94, v83
	;;#ASMEND
	s_waitcnt lgkmcnt(3)
	;;#ASMSTART
	v_dot2_f32_f16 v51, v87, v95, v51
	;;#ASMEND
	;;#ASMSTART
	v_dot2_f32_f16 v51, v88, v96, v51
	;;#ASMEND
	;;#ASMSTART
	v_dot2_f32_f16 v51, v89, v97, v51
	;;#ASMEND
	;;#ASMSTART
	v_dot2_f32_f16 v51, v90, v98, v51
	;;#ASMEND
	s_waitcnt lgkmcnt(2)
	;;#ASMSTART
	v_dot2_f32_f16 v84, v99, v91, v84
	;;#ASMEND
	;;#ASMSTART
	v_dot2_f32_f16 v84, v100, v92, v84
	;;#ASMEND
	;;#ASMSTART
	v_dot2_f32_f16 v84, v101, v93, v84
	;;#ASMEND
	;;#ASMSTART
	v_dot2_f32_f16 v84, v102, v94, v84
	;;#ASMEND
	;;#ASMSTART
	v_dot2_f32_f16 v52, v99, v95, v52
	;;#ASMEND
	;;#ASMSTART
	v_dot2_f32_f16 v52, v100, v96, v52
	;;#ASMEND
	;; [unrolled: 3-line block ×4, first 2 shown]
	s_waitcnt lgkmcnt(1)
	;;#ASMSTART
	v_dot2_f32_f16 v85, v103, v91, v85
	;;#ASMEND
	;;#ASMSTART
	v_dot2_f32_f16 v85, v104, v92, v85
	;;#ASMEND
	;; [unrolled: 3-line block ×8, first 2 shown]
	s_waitcnt lgkmcnt(0)
	;;#ASMSTART
	v_dot2_f32_f16 v86, v107, v91, v86
	;;#ASMEND
	;;#ASMSTART
	v_dot2_f32_f16 v86, v108, v92, v86
	;;#ASMEND
	;;#ASMSTART
	v_dot2_f32_f16 v86, v109, v93, v86
	;;#ASMEND
	;;#ASMSTART
	v_dot2_f32_f16 v86, v110, v94, v86
	;;#ASMEND
	;;#ASMSTART
	v_dot2_f32_f16 v82, v107, v95, v82
	;;#ASMEND
	;;#ASMSTART
	v_dot2_f32_f16 v82, v108, v96, v82
	;;#ASMEND
	;;#ASMSTART
	v_dot2_f32_f16 v82, v109, v97, v82
	;;#ASMEND
	;;#ASMSTART
	v_dot2_f32_f16 v82, v110, v98, v82
	;;#ASMEND
	ds_load_b128 v[87:90], v50 offset:32
	ds_load_b128 v[91:94], v55 offset:32
	;; [unrolled: 1-line block ×6, first 2 shown]
	s_waitcnt lgkmcnt(4)
	;;#ASMSTART
	v_dot2_f32_f16 v83, v87, v91, v83
	;;#ASMEND
	;;#ASMSTART
	v_dot2_f32_f16 v83, v88, v92, v83
	;;#ASMEND
	;;#ASMSTART
	v_dot2_f32_f16 v83, v89, v93, v83
	;;#ASMEND
	;;#ASMSTART
	v_dot2_f32_f16 v83, v90, v94, v83
	;;#ASMEND
	s_waitcnt lgkmcnt(3)
	;;#ASMSTART
	v_dot2_f32_f16 v51, v87, v95, v51
	;;#ASMEND
	;;#ASMSTART
	v_dot2_f32_f16 v51, v88, v96, v51
	;;#ASMEND
	;;#ASMSTART
	v_dot2_f32_f16 v51, v89, v97, v51
	;;#ASMEND
	;;#ASMSTART
	v_dot2_f32_f16 v51, v90, v98, v51
	;;#ASMEND
	;; [unrolled: 13-line block ×3, first 2 shown]
	;;#ASMSTART
	v_dot2_f32_f16 v52, v99, v95, v52
	;;#ASMEND
	;;#ASMSTART
	v_dot2_f32_f16 v52, v100, v96, v52
	;;#ASMEND
	;; [unrolled: 3-line block ×4, first 2 shown]
	s_waitcnt lgkmcnt(1)
	;;#ASMSTART
	v_dot2_f32_f16 v85, v103, v91, v85
	;;#ASMEND
	;;#ASMSTART
	v_dot2_f32_f16 v85, v104, v92, v85
	;;#ASMEND
	;; [unrolled: 3-line block ×8, first 2 shown]
	s_waitcnt lgkmcnt(0)
	;;#ASMSTART
	v_dot2_f32_f16 v86, v107, v91, v86
	;;#ASMEND
	;;#ASMSTART
	v_dot2_f32_f16 v86, v108, v92, v86
	;;#ASMEND
	;; [unrolled: 3-line block ×8, first 2 shown]
	ds_load_b128 v[87:90], v50 offset:48
	ds_load_b128 v[91:94], v55 offset:48
	;; [unrolled: 1-line block ×6, first 2 shown]
	s_waitcnt lgkmcnt(4)
	;;#ASMSTART
	v_dot2_f32_f16 v83, v87, v91, v83
	;;#ASMEND
	;;#ASMSTART
	v_dot2_f32_f16 v83, v88, v92, v83
	;;#ASMEND
	;;#ASMSTART
	v_dot2_f32_f16 v83, v89, v93, v83
	;;#ASMEND
	;;#ASMSTART
	v_dot2_f32_f16 v83, v90, v94, v83
	;;#ASMEND
	s_waitcnt lgkmcnt(3)
	;;#ASMSTART
	v_dot2_f32_f16 v51, v87, v95, v51
	;;#ASMEND
	;;#ASMSTART
	v_dot2_f32_f16 v51, v88, v96, v51
	;;#ASMEND
	;;#ASMSTART
	v_dot2_f32_f16 v51, v89, v97, v51
	;;#ASMEND
	;;#ASMSTART
	v_dot2_f32_f16 v51, v90, v98, v51
	;;#ASMEND
	;; [unrolled: 13-line block ×3, first 2 shown]
	;;#ASMSTART
	v_dot2_f32_f16 v52, v99, v95, v52
	;;#ASMEND
	;;#ASMSTART
	v_dot2_f32_f16 v52, v100, v96, v52
	;;#ASMEND
	;; [unrolled: 3-line block ×4, first 2 shown]
	s_waitcnt lgkmcnt(1)
	;;#ASMSTART
	v_dot2_f32_f16 v85, v103, v91, v85
	;;#ASMEND
	;;#ASMSTART
	v_dot2_f32_f16 v85, v104, v92, v85
	;;#ASMEND
	;; [unrolled: 3-line block ×8, first 2 shown]
	s_waitcnt lgkmcnt(0)
	;;#ASMSTART
	v_dot2_f32_f16 v86, v107, v91, v86
	;;#ASMEND
	;;#ASMSTART
	v_dot2_f32_f16 v86, v108, v92, v86
	;;#ASMEND
	;; [unrolled: 3-line block ×8, first 2 shown]
	ds_load_b128 v[87:90], v50 offset:64
	ds_load_b128 v[91:94], v55 offset:64
	;; [unrolled: 1-line block ×6, first 2 shown]
	s_waitcnt lgkmcnt(4)
	;;#ASMSTART
	v_dot2_f32_f16 v83, v87, v91, v83
	;;#ASMEND
	;;#ASMSTART
	v_dot2_f32_f16 v83, v88, v92, v83
	;;#ASMEND
	;;#ASMSTART
	v_dot2_f32_f16 v83, v89, v93, v83
	;;#ASMEND
	;;#ASMSTART
	v_dot2_f32_f16 v83, v90, v94, v83
	;;#ASMEND
	s_waitcnt lgkmcnt(3)
	;;#ASMSTART
	v_dot2_f32_f16 v51, v87, v95, v51
	;;#ASMEND
	;;#ASMSTART
	v_dot2_f32_f16 v51, v88, v96, v51
	;;#ASMEND
	;;#ASMSTART
	v_dot2_f32_f16 v51, v89, v97, v51
	;;#ASMEND
	;;#ASMSTART
	v_dot2_f32_f16 v51, v90, v98, v51
	;;#ASMEND
	;; [unrolled: 13-line block ×3, first 2 shown]
	;;#ASMSTART
	v_dot2_f32_f16 v52, v99, v95, v52
	;;#ASMEND
	;;#ASMSTART
	v_dot2_f32_f16 v52, v100, v96, v52
	;;#ASMEND
	;; [unrolled: 3-line block ×4, first 2 shown]
	s_waitcnt lgkmcnt(1)
	;;#ASMSTART
	v_dot2_f32_f16 v85, v103, v91, v85
	;;#ASMEND
	;;#ASMSTART
	v_dot2_f32_f16 v85, v104, v92, v85
	;;#ASMEND
	;; [unrolled: 3-line block ×8, first 2 shown]
	s_waitcnt lgkmcnt(0)
	;;#ASMSTART
	v_dot2_f32_f16 v86, v107, v91, v86
	;;#ASMEND
	;;#ASMSTART
	v_dot2_f32_f16 v86, v108, v92, v86
	;;#ASMEND
	;; [unrolled: 3-line block ×8, first 2 shown]
	ds_load_b128 v[87:90], v50 offset:80
	ds_load_b128 v[91:94], v55 offset:80
	;; [unrolled: 1-line block ×6, first 2 shown]
	s_waitcnt lgkmcnt(4)
	;;#ASMSTART
	v_dot2_f32_f16 v83, v87, v91, v83
	;;#ASMEND
	;;#ASMSTART
	v_dot2_f32_f16 v83, v88, v92, v83
	;;#ASMEND
	;;#ASMSTART
	v_dot2_f32_f16 v83, v89, v93, v83
	;;#ASMEND
	;;#ASMSTART
	v_dot2_f32_f16 v83, v90, v94, v83
	;;#ASMEND
	s_waitcnt lgkmcnt(3)
	;;#ASMSTART
	v_dot2_f32_f16 v51, v87, v95, v51
	;;#ASMEND
	;;#ASMSTART
	v_dot2_f32_f16 v51, v88, v96, v51
	;;#ASMEND
	;;#ASMSTART
	v_dot2_f32_f16 v51, v89, v97, v51
	;;#ASMEND
	;;#ASMSTART
	v_dot2_f32_f16 v51, v90, v98, v51
	;;#ASMEND
	;; [unrolled: 13-line block ×3, first 2 shown]
	;;#ASMSTART
	v_dot2_f32_f16 v52, v99, v95, v52
	;;#ASMEND
	;;#ASMSTART
	v_dot2_f32_f16 v52, v100, v96, v52
	;;#ASMEND
	;; [unrolled: 3-line block ×4, first 2 shown]
	s_waitcnt lgkmcnt(1)
	;;#ASMSTART
	v_dot2_f32_f16 v85, v103, v91, v85
	;;#ASMEND
	;;#ASMSTART
	v_dot2_f32_f16 v85, v104, v92, v85
	;;#ASMEND
	;; [unrolled: 3-line block ×8, first 2 shown]
	s_waitcnt lgkmcnt(0)
	;;#ASMSTART
	v_dot2_f32_f16 v86, v107, v91, v86
	;;#ASMEND
	;;#ASMSTART
	v_dot2_f32_f16 v86, v108, v92, v86
	;;#ASMEND
	;; [unrolled: 3-line block ×8, first 2 shown]
	ds_load_b128 v[87:90], v50 offset:96
	ds_load_b128 v[91:94], v55 offset:96
	;; [unrolled: 1-line block ×6, first 2 shown]
	s_waitcnt lgkmcnt(4)
	;;#ASMSTART
	v_dot2_f32_f16 v83, v87, v91, v83
	;;#ASMEND
	;;#ASMSTART
	v_dot2_f32_f16 v83, v88, v92, v83
	;;#ASMEND
	;;#ASMSTART
	v_dot2_f32_f16 v83, v89, v93, v83
	;;#ASMEND
	;;#ASMSTART
	v_dot2_f32_f16 v83, v90, v94, v83
	;;#ASMEND
	s_waitcnt lgkmcnt(3)
	;;#ASMSTART
	v_dot2_f32_f16 v51, v87, v95, v51
	;;#ASMEND
	;;#ASMSTART
	v_dot2_f32_f16 v51, v88, v96, v51
	;;#ASMEND
	;;#ASMSTART
	v_dot2_f32_f16 v51, v89, v97, v51
	;;#ASMEND
	;;#ASMSTART
	v_dot2_f32_f16 v51, v90, v98, v51
	;;#ASMEND
	;; [unrolled: 13-line block ×3, first 2 shown]
	;;#ASMSTART
	v_dot2_f32_f16 v52, v99, v95, v52
	;;#ASMEND
	;;#ASMSTART
	v_dot2_f32_f16 v52, v100, v96, v52
	;;#ASMEND
	;; [unrolled: 3-line block ×4, first 2 shown]
	s_waitcnt lgkmcnt(1)
	;;#ASMSTART
	v_dot2_f32_f16 v85, v103, v91, v85
	;;#ASMEND
	;;#ASMSTART
	v_dot2_f32_f16 v85, v104, v92, v85
	;;#ASMEND
	;; [unrolled: 3-line block ×8, first 2 shown]
	s_waitcnt lgkmcnt(0)
	;;#ASMSTART
	v_dot2_f32_f16 v86, v107, v91, v86
	;;#ASMEND
	;;#ASMSTART
	v_dot2_f32_f16 v86, v108, v92, v86
	;;#ASMEND
	;;#ASMSTART
	v_dot2_f32_f16 v86, v109, v93, v86
	;;#ASMEND
	;;#ASMSTART
	v_dot2_f32_f16 v86, v110, v94, v86
	;;#ASMEND
	;;#ASMSTART
	v_dot2_f32_f16 v82, v107, v95, v82
	;;#ASMEND
	;;#ASMSTART
	v_dot2_f32_f16 v82, v108, v96, v82
	;;#ASMEND
	;;#ASMSTART
	v_dot2_f32_f16 v82, v109, v97, v82
	;;#ASMEND
	;;#ASMSTART
	v_dot2_f32_f16 v82, v110, v98, v82
	;;#ASMEND
	ds_load_b128 v[87:90], v50 offset:112
	ds_load_b128 v[91:94], v55 offset:112
	;; [unrolled: 1-line block ×6, first 2 shown]
	s_waitcnt lgkmcnt(4)
	;;#ASMSTART
	v_dot2_f32_f16 v83, v87, v91, v83
	;;#ASMEND
	;;#ASMSTART
	v_dot2_f32_f16 v83, v88, v92, v83
	;;#ASMEND
	;;#ASMSTART
	v_dot2_f32_f16 v83, v89, v93, v83
	;;#ASMEND
	;;#ASMSTART
	v_dot2_f32_f16 v83, v90, v94, v83
	;;#ASMEND
	s_waitcnt lgkmcnt(3)
	;;#ASMSTART
	v_dot2_f32_f16 v51, v87, v95, v51
	;;#ASMEND
	;;#ASMSTART
	v_dot2_f32_f16 v51, v88, v96, v51
	;;#ASMEND
	;;#ASMSTART
	v_dot2_f32_f16 v51, v89, v97, v51
	;;#ASMEND
	;;#ASMSTART
	v_dot2_f32_f16 v51, v90, v98, v51
	;;#ASMEND
	;; [unrolled: 13-line block ×3, first 2 shown]
	;;#ASMSTART
	v_dot2_f32_f16 v52, v99, v95, v52
	;;#ASMEND
	;;#ASMSTART
	v_dot2_f32_f16 v52, v100, v96, v52
	;;#ASMEND
	;; [unrolled: 3-line block ×4, first 2 shown]
	s_waitcnt lgkmcnt(1)
	;;#ASMSTART
	v_dot2_f32_f16 v85, v103, v91, v85
	;;#ASMEND
	;;#ASMSTART
	v_dot2_f32_f16 v85, v104, v92, v85
	;;#ASMEND
	;; [unrolled: 3-line block ×8, first 2 shown]
	s_waitcnt lgkmcnt(0)
	;;#ASMSTART
	v_dot2_f32_f16 v86, v107, v91, v86
	;;#ASMEND
	;;#ASMSTART
	v_dot2_f32_f16 v86, v108, v92, v86
	;;#ASMEND
	;; [unrolled: 3-line block ×8, first 2 shown]
	ds_load_b128 v[87:90], v50 offset:128
	ds_load_b128 v[91:94], v55 offset:128
	;; [unrolled: 1-line block ×6, first 2 shown]
	s_waitcnt lgkmcnt(4)
	;;#ASMSTART
	v_dot2_f32_f16 v83, v87, v91, v83
	;;#ASMEND
	;;#ASMSTART
	v_dot2_f32_f16 v83, v88, v92, v83
	;;#ASMEND
	;;#ASMSTART
	v_dot2_f32_f16 v83, v89, v93, v83
	;;#ASMEND
	;;#ASMSTART
	v_dot2_f32_f16 v83, v90, v94, v83
	;;#ASMEND
	s_waitcnt lgkmcnt(3)
	;;#ASMSTART
	v_dot2_f32_f16 v51, v87, v95, v51
	;;#ASMEND
	;;#ASMSTART
	v_dot2_f32_f16 v51, v88, v96, v51
	;;#ASMEND
	;;#ASMSTART
	v_dot2_f32_f16 v51, v89, v97, v51
	;;#ASMEND
	;;#ASMSTART
	v_dot2_f32_f16 v51, v90, v98, v51
	;;#ASMEND
	s_waitcnt lgkmcnt(2)
	;;#ASMSTART
	v_dot2_f32_f16 v84, v99, v91, v84
	;;#ASMEND
	;;#ASMSTART
	v_dot2_f32_f16 v84, v100, v92, v84
	;;#ASMEND
	;;#ASMSTART
	v_dot2_f32_f16 v84, v101, v93, v84
	;;#ASMEND
	;;#ASMSTART
	v_dot2_f32_f16 v84, v102, v94, v84
	;;#ASMEND
	;;#ASMSTART
	v_dot2_f32_f16 v52, v99, v95, v52
	;;#ASMEND
	;;#ASMSTART
	v_dot2_f32_f16 v52, v100, v96, v52
	;;#ASMEND
	;; [unrolled: 3-line block ×4, first 2 shown]
	s_waitcnt lgkmcnt(1)
	;;#ASMSTART
	v_dot2_f32_f16 v85, v103, v91, v85
	;;#ASMEND
	;;#ASMSTART
	v_dot2_f32_f16 v85, v104, v92, v85
	;;#ASMEND
	;; [unrolled: 3-line block ×8, first 2 shown]
	s_waitcnt lgkmcnt(0)
	;;#ASMSTART
	v_dot2_f32_f16 v86, v107, v91, v86
	;;#ASMEND
	;;#ASMSTART
	v_dot2_f32_f16 v86, v108, v92, v86
	;;#ASMEND
	;; [unrolled: 3-line block ×8, first 2 shown]
	ds_load_b128 v[87:90], v50 offset:144
	ds_load_b128 v[91:94], v55 offset:144
	;; [unrolled: 1-line block ×6, first 2 shown]
	s_waitcnt lgkmcnt(4)
	;;#ASMSTART
	v_dot2_f32_f16 v83, v87, v91, v83
	;;#ASMEND
	;;#ASMSTART
	v_dot2_f32_f16 v83, v88, v92, v83
	;;#ASMEND
	;;#ASMSTART
	v_dot2_f32_f16 v83, v89, v93, v83
	;;#ASMEND
	;;#ASMSTART
	v_dot2_f32_f16 v83, v90, v94, v83
	;;#ASMEND
	s_waitcnt lgkmcnt(3)
	;;#ASMSTART
	v_dot2_f32_f16 v51, v87, v95, v51
	;;#ASMEND
	;;#ASMSTART
	v_dot2_f32_f16 v51, v88, v96, v51
	;;#ASMEND
	;;#ASMSTART
	v_dot2_f32_f16 v51, v89, v97, v51
	;;#ASMEND
	;;#ASMSTART
	v_dot2_f32_f16 v51, v90, v98, v51
	;;#ASMEND
	;; [unrolled: 13-line block ×3, first 2 shown]
	;;#ASMSTART
	v_dot2_f32_f16 v52, v99, v95, v52
	;;#ASMEND
	;;#ASMSTART
	v_dot2_f32_f16 v52, v100, v96, v52
	;;#ASMEND
	;; [unrolled: 3-line block ×4, first 2 shown]
	s_waitcnt lgkmcnt(1)
	;;#ASMSTART
	v_dot2_f32_f16 v85, v103, v91, v85
	;;#ASMEND
	;;#ASMSTART
	v_dot2_f32_f16 v85, v104, v92, v85
	;;#ASMEND
	;; [unrolled: 3-line block ×8, first 2 shown]
	s_waitcnt lgkmcnt(0)
	;;#ASMSTART
	v_dot2_f32_f16 v86, v107, v91, v86
	;;#ASMEND
	;;#ASMSTART
	v_dot2_f32_f16 v86, v108, v92, v86
	;;#ASMEND
	;; [unrolled: 3-line block ×8, first 2 shown]
	ds_load_b128 v[87:90], v50 offset:160
	ds_load_b128 v[91:94], v55 offset:160
	ds_load_b128 v[95:98], v55 offset:416
	ds_load_b128 v[99:102], v50 offset:8864
	ds_load_b128 v[103:106], v50 offset:17568
	ds_load_b128 v[107:110], v50 offset:26272
	s_waitcnt lgkmcnt(4)
	;;#ASMSTART
	v_dot2_f32_f16 v83, v87, v91, v83
	;;#ASMEND
	;;#ASMSTART
	v_dot2_f32_f16 v83, v88, v92, v83
	;;#ASMEND
	;;#ASMSTART
	v_dot2_f32_f16 v83, v89, v93, v83
	;;#ASMEND
	;;#ASMSTART
	v_dot2_f32_f16 v83, v90, v94, v83
	;;#ASMEND
	s_waitcnt lgkmcnt(3)
	;;#ASMSTART
	v_dot2_f32_f16 v51, v87, v95, v51
	;;#ASMEND
	;;#ASMSTART
	v_dot2_f32_f16 v51, v88, v96, v51
	;;#ASMEND
	;;#ASMSTART
	v_dot2_f32_f16 v51, v89, v97, v51
	;;#ASMEND
	;;#ASMSTART
	v_dot2_f32_f16 v51, v90, v98, v51
	;;#ASMEND
	;; [unrolled: 13-line block ×3, first 2 shown]
	;;#ASMSTART
	v_dot2_f32_f16 v52, v99, v95, v52
	;;#ASMEND
	;;#ASMSTART
	v_dot2_f32_f16 v52, v100, v96, v52
	;;#ASMEND
	;; [unrolled: 3-line block ×4, first 2 shown]
	s_waitcnt lgkmcnt(1)
	;;#ASMSTART
	v_dot2_f32_f16 v85, v103, v91, v85
	;;#ASMEND
	;;#ASMSTART
	v_dot2_f32_f16 v85, v104, v92, v85
	;;#ASMEND
	;; [unrolled: 3-line block ×8, first 2 shown]
	s_waitcnt lgkmcnt(0)
	;;#ASMSTART
	v_dot2_f32_f16 v86, v107, v91, v86
	;;#ASMEND
	;;#ASMSTART
	v_dot2_f32_f16 v86, v108, v92, v86
	;;#ASMEND
	;; [unrolled: 3-line block ×8, first 2 shown]
	ds_load_b128 v[87:90], v50 offset:176
	ds_load_b128 v[91:94], v55 offset:176
	;; [unrolled: 1-line block ×6, first 2 shown]
	s_waitcnt lgkmcnt(4)
	;;#ASMSTART
	v_dot2_f32_f16 v83, v87, v91, v83
	;;#ASMEND
	;;#ASMSTART
	v_dot2_f32_f16 v83, v88, v92, v83
	;;#ASMEND
	;;#ASMSTART
	v_dot2_f32_f16 v83, v89, v93, v83
	;;#ASMEND
	;;#ASMSTART
	v_dot2_f32_f16 v83, v90, v94, v83
	;;#ASMEND
	s_waitcnt lgkmcnt(3)
	;;#ASMSTART
	v_dot2_f32_f16 v51, v87, v95, v51
	;;#ASMEND
	;;#ASMSTART
	v_dot2_f32_f16 v51, v88, v96, v51
	;;#ASMEND
	;;#ASMSTART
	v_dot2_f32_f16 v51, v89, v97, v51
	;;#ASMEND
	;;#ASMSTART
	v_dot2_f32_f16 v51, v90, v98, v51
	;;#ASMEND
	;; [unrolled: 13-line block ×3, first 2 shown]
	;;#ASMSTART
	v_dot2_f32_f16 v52, v99, v95, v52
	;;#ASMEND
	;;#ASMSTART
	v_dot2_f32_f16 v52, v100, v96, v52
	;;#ASMEND
	;; [unrolled: 3-line block ×4, first 2 shown]
	s_waitcnt lgkmcnt(1)
	;;#ASMSTART
	v_dot2_f32_f16 v85, v103, v91, v85
	;;#ASMEND
	;;#ASMSTART
	v_dot2_f32_f16 v85, v104, v92, v85
	;;#ASMEND
	;;#ASMSTART
	v_dot2_f32_f16 v85, v105, v93, v85
	;;#ASMEND
	;;#ASMSTART
	v_dot2_f32_f16 v85, v106, v94, v85
	;;#ASMEND
	;;#ASMSTART
	v_dot2_f32_f16 v81, v103, v95, v81
	;;#ASMEND
	;;#ASMSTART
	v_dot2_f32_f16 v81, v104, v96, v81
	;;#ASMEND
	;;#ASMSTART
	v_dot2_f32_f16 v81, v105, v97, v81
	;;#ASMEND
	;;#ASMSTART
	v_dot2_f32_f16 v81, v106, v98, v81
	;;#ASMEND
	s_waitcnt lgkmcnt(0)
	;;#ASMSTART
	v_dot2_f32_f16 v86, v107, v91, v86
	;;#ASMEND
	;;#ASMSTART
	v_dot2_f32_f16 v86, v108, v92, v86
	;;#ASMEND
	;; [unrolled: 3-line block ×8, first 2 shown]
	ds_load_b128 v[87:90], v50 offset:192
	ds_load_b128 v[91:94], v55 offset:192
	ds_load_b128 v[95:98], v55 offset:448
	ds_load_b128 v[99:102], v50 offset:8896
	ds_load_b128 v[103:106], v50 offset:17600
	ds_load_b128 v[107:110], v50 offset:26304
	s_waitcnt lgkmcnt(4)
	;;#ASMSTART
	v_dot2_f32_f16 v83, v87, v91, v83
	;;#ASMEND
	;;#ASMSTART
	v_dot2_f32_f16 v83, v88, v92, v83
	;;#ASMEND
	;;#ASMSTART
	v_dot2_f32_f16 v83, v89, v93, v83
	;;#ASMEND
	;;#ASMSTART
	v_dot2_f32_f16 v83, v90, v94, v83
	;;#ASMEND
	s_waitcnt lgkmcnt(3)
	;;#ASMSTART
	v_dot2_f32_f16 v51, v87, v95, v51
	;;#ASMEND
	;;#ASMSTART
	v_dot2_f32_f16 v51, v88, v96, v51
	;;#ASMEND
	;;#ASMSTART
	v_dot2_f32_f16 v51, v89, v97, v51
	;;#ASMEND
	;;#ASMSTART
	v_dot2_f32_f16 v51, v90, v98, v51
	;;#ASMEND
	;; [unrolled: 13-line block ×3, first 2 shown]
	;;#ASMSTART
	v_dot2_f32_f16 v52, v99, v95, v52
	;;#ASMEND
	;;#ASMSTART
	v_dot2_f32_f16 v52, v100, v96, v52
	;;#ASMEND
	;; [unrolled: 3-line block ×4, first 2 shown]
	s_waitcnt lgkmcnt(1)
	;;#ASMSTART
	v_dot2_f32_f16 v85, v103, v91, v85
	;;#ASMEND
	;;#ASMSTART
	v_dot2_f32_f16 v85, v104, v92, v85
	;;#ASMEND
	;; [unrolled: 3-line block ×8, first 2 shown]
	s_waitcnt lgkmcnt(0)
	;;#ASMSTART
	v_dot2_f32_f16 v86, v107, v91, v86
	;;#ASMEND
	;;#ASMSTART
	v_dot2_f32_f16 v86, v108, v92, v86
	;;#ASMEND
	;; [unrolled: 3-line block ×8, first 2 shown]
	ds_load_b128 v[87:90], v50 offset:208
	ds_load_b128 v[91:94], v55 offset:208
	;; [unrolled: 1-line block ×6, first 2 shown]
	s_waitcnt lgkmcnt(4)
	;;#ASMSTART
	v_dot2_f32_f16 v83, v87, v91, v83
	;;#ASMEND
	;;#ASMSTART
	v_dot2_f32_f16 v83, v88, v92, v83
	;;#ASMEND
	;;#ASMSTART
	v_dot2_f32_f16 v83, v89, v93, v83
	;;#ASMEND
	;;#ASMSTART
	v_dot2_f32_f16 v83, v90, v94, v83
	;;#ASMEND
	s_waitcnt lgkmcnt(3)
	;;#ASMSTART
	v_dot2_f32_f16 v51, v87, v95, v51
	;;#ASMEND
	;;#ASMSTART
	v_dot2_f32_f16 v51, v88, v96, v51
	;;#ASMEND
	;;#ASMSTART
	v_dot2_f32_f16 v51, v89, v97, v51
	;;#ASMEND
	;;#ASMSTART
	v_dot2_f32_f16 v51, v90, v98, v51
	;;#ASMEND
	;; [unrolled: 13-line block ×3, first 2 shown]
	;;#ASMSTART
	v_dot2_f32_f16 v52, v99, v95, v52
	;;#ASMEND
	;;#ASMSTART
	v_dot2_f32_f16 v52, v100, v96, v52
	;;#ASMEND
	;; [unrolled: 3-line block ×4, first 2 shown]
	s_waitcnt lgkmcnt(1)
	;;#ASMSTART
	v_dot2_f32_f16 v85, v103, v91, v85
	;;#ASMEND
	;;#ASMSTART
	v_dot2_f32_f16 v85, v104, v92, v85
	;;#ASMEND
	;; [unrolled: 3-line block ×8, first 2 shown]
	s_waitcnt lgkmcnt(0)
	;;#ASMSTART
	v_dot2_f32_f16 v86, v107, v91, v86
	;;#ASMEND
	;;#ASMSTART
	v_dot2_f32_f16 v86, v108, v92, v86
	;;#ASMEND
	;;#ASMSTART
	v_dot2_f32_f16 v86, v109, v93, v86
	;;#ASMEND
	;;#ASMSTART
	v_dot2_f32_f16 v86, v110, v94, v86
	;;#ASMEND
	;;#ASMSTART
	v_dot2_f32_f16 v82, v107, v95, v82
	;;#ASMEND
	;;#ASMSTART
	v_dot2_f32_f16 v82, v108, v96, v82
	;;#ASMEND
	;;#ASMSTART
	v_dot2_f32_f16 v82, v109, v97, v82
	;;#ASMEND
	;;#ASMSTART
	v_dot2_f32_f16 v82, v110, v98, v82
	;;#ASMEND
	ds_load_b128 v[87:90], v50 offset:224
	ds_load_b128 v[91:94], v55 offset:224
	;; [unrolled: 1-line block ×6, first 2 shown]
	s_waitcnt lgkmcnt(4)
	;;#ASMSTART
	v_dot2_f32_f16 v83, v87, v91, v83
	;;#ASMEND
	;;#ASMSTART
	v_dot2_f32_f16 v83, v88, v92, v83
	;;#ASMEND
	;;#ASMSTART
	v_dot2_f32_f16 v83, v89, v93, v83
	;;#ASMEND
	;;#ASMSTART
	v_dot2_f32_f16 v83, v90, v94, v83
	;;#ASMEND
	s_waitcnt lgkmcnt(3)
	;;#ASMSTART
	v_dot2_f32_f16 v51, v87, v95, v51
	;;#ASMEND
	;;#ASMSTART
	v_dot2_f32_f16 v51, v88, v96, v51
	;;#ASMEND
	;;#ASMSTART
	v_dot2_f32_f16 v51, v89, v97, v51
	;;#ASMEND
	;;#ASMSTART
	v_dot2_f32_f16 v51, v90, v98, v51
	;;#ASMEND
	;; [unrolled: 13-line block ×3, first 2 shown]
	;;#ASMSTART
	v_dot2_f32_f16 v52, v99, v95, v52
	;;#ASMEND
	;;#ASMSTART
	v_dot2_f32_f16 v52, v100, v96, v52
	;;#ASMEND
	;; [unrolled: 3-line block ×4, first 2 shown]
	s_waitcnt lgkmcnt(1)
	;;#ASMSTART
	v_dot2_f32_f16 v85, v103, v91, v85
	;;#ASMEND
	;;#ASMSTART
	v_dot2_f32_f16 v85, v104, v92, v85
	;;#ASMEND
	;; [unrolled: 3-line block ×8, first 2 shown]
	s_waitcnt lgkmcnt(0)
	;;#ASMSTART
	v_dot2_f32_f16 v86, v107, v91, v86
	;;#ASMEND
	;;#ASMSTART
	v_dot2_f32_f16 v86, v108, v92, v86
	;;#ASMEND
	;; [unrolled: 3-line block ×8, first 2 shown]
	ds_load_b128 v[87:90], v50 offset:240
	ds_load_b128 v[91:94], v55 offset:240
	;; [unrolled: 1-line block ×6, first 2 shown]
	s_waitcnt lgkmcnt(4)
	;;#ASMSTART
	v_dot2_f32_f16 v83, v87, v91, v83
	;;#ASMEND
	;;#ASMSTART
	v_dot2_f32_f16 v83, v88, v92, v83
	;;#ASMEND
	;;#ASMSTART
	v_dot2_f32_f16 v83, v89, v93, v83
	;;#ASMEND
	;;#ASMSTART
	v_dot2_f32_f16 v83, v90, v94, v83
	;;#ASMEND
	s_waitcnt lgkmcnt(3)
	;;#ASMSTART
	v_dot2_f32_f16 v51, v87, v95, v51
	;;#ASMEND
	;;#ASMSTART
	v_dot2_f32_f16 v51, v88, v96, v51
	;;#ASMEND
	;;#ASMSTART
	v_dot2_f32_f16 v51, v89, v97, v51
	;;#ASMEND
	;;#ASMSTART
	v_dot2_f32_f16 v51, v90, v98, v51
	;;#ASMEND
	;; [unrolled: 13-line block ×3, first 2 shown]
	;;#ASMSTART
	v_dot2_f32_f16 v52, v99, v95, v52
	;;#ASMEND
	;;#ASMSTART
	v_dot2_f32_f16 v52, v100, v96, v52
	;;#ASMEND
	;; [unrolled: 3-line block ×4, first 2 shown]
	s_waitcnt lgkmcnt(1)
	;;#ASMSTART
	v_dot2_f32_f16 v85, v103, v91, v85
	;;#ASMEND
	;;#ASMSTART
	v_dot2_f32_f16 v85, v104, v92, v85
	;;#ASMEND
	;;#ASMSTART
	v_dot2_f32_f16 v85, v105, v93, v85
	;;#ASMEND
	;;#ASMSTART
	v_dot2_f32_f16 v85, v106, v94, v85
	;;#ASMEND
	;;#ASMSTART
	v_dot2_f32_f16 v81, v103, v95, v81
	;;#ASMEND
	;;#ASMSTART
	v_dot2_f32_f16 v81, v104, v96, v81
	;;#ASMEND
	;;#ASMSTART
	v_dot2_f32_f16 v81, v105, v97, v81
	;;#ASMEND
	;;#ASMSTART
	v_dot2_f32_f16 v81, v106, v98, v81
	;;#ASMEND
	s_waitcnt lgkmcnt(0)
	;;#ASMSTART
	v_dot2_f32_f16 v86, v107, v91, v86
	;;#ASMEND
	v_cmp_ngt_f32_e64 s26, 0x3f200000, |v83|
	;;#ASMSTART
	v_dot2_f32_f16 v86, v108, v92, v86
	;;#ASMEND
	;;#ASMSTART
	v_dot2_f32_f16 v86, v109, v93, v86
	;;#ASMEND
	;; [unrolled: 3-line block ×7, first 2 shown]
                                        ; implicit-def: $vgpr91
	s_and_saveexec_b32 s27, s26
	s_delay_alu instid0(SALU_CYCLE_1)
	s_xor_b32 s26, exec_lo, s27
	s_cbranch_execz .LBB88_10
; %bb.9:                                ;   in Loop: Header=BB88_8 Depth=1
	v_add_f32_e64 v0, |v83|, |v83|
	s_delay_alu instid0(VALU_DEP_1) | instskip(SKIP_1) | instid1(VALU_DEP_2)
	v_mul_f32_e32 v1, 0x3fb8aa3b, v0
	v_cmp_ngt_f32_e32 vcc_lo, 0xc2ce8ed0, v0
	v_rndne_f32_e32 v87, v1
	v_fma_f32 v88, 0x3fb8aa3b, v0, -v1
	s_delay_alu instid0(VALU_DEP_1) | instskip(SKIP_1) | instid1(VALU_DEP_2)
	v_dual_sub_f32 v1, v1, v87 :: v_dual_fmac_f32 v88, 0x32a5705f, v0
	v_cvt_i32_f32_e32 v87, v87
	v_add_f32_e32 v1, v1, v88
	s_delay_alu instid0(VALU_DEP_1) | instskip(SKIP_2) | instid1(VALU_DEP_1)
	v_exp_f32_e32 v1, v1
	s_waitcnt_depctr 0xfff
	v_ldexp_f32 v1, v1, v87
	v_cndmask_b32_e32 v1, 0, v1, vcc_lo
	v_cmp_nlt_f32_e32 vcc_lo, 0x42b17218, v0
	s_delay_alu instid0(VALU_DEP_2) | instskip(NEXT) | instid1(VALU_DEP_1)
	v_cndmask_b32_e32 v0, 0x7f800000, v1, vcc_lo
	v_add_f32_e32 v0, 1.0, v0
	s_delay_alu instid0(VALU_DEP_1)
	v_rcp_f32_e32 v0, v0
	s_waitcnt_depctr 0xfff
	v_fma_f32 v91, v0, -2.0, 1.0
.LBB88_10:                              ;   in Loop: Header=BB88_8 Depth=1
	s_and_not1_saveexec_b32 s26, s26
; %bb.11:                               ;   in Loop: Header=BB88_8 Depth=1
	v_mul_f32_e32 v0, v83, v83
	s_delay_alu instid0(VALU_DEP_1) | instskip(NEXT) | instid1(VALU_DEP_1)
	v_fmaak_f32 v1, s21, v0, 0x3ca908c9
	v_fmaak_f32 v1, v0, v1, 0xbd5c1c4e
	s_delay_alu instid0(VALU_DEP_1) | instskip(NEXT) | instid1(VALU_DEP_1)
	v_fmaak_f32 v1, v0, v1, 0x3e088382
	v_fmaak_f32 v1, v0, v1, 0xbeaaaa99
	s_delay_alu instid0(VALU_DEP_1) | instskip(NEXT) | instid1(VALU_DEP_1)
	v_mul_f32_e64 v1, |v83|, v1
	v_fma_f32 v91, v0, v1, |v83|
; %bb.12:                               ;   in Loop: Header=BB88_8 Depth=1
	s_or_b32 exec_lo, exec_lo, s26
	v_add_nc_u32_e32 v92, s16, v38
	s_and_not1_b32 vcc_lo, exec_lo, s7
	s_delay_alu instid0(VALU_DEP_1) | instskip(NEXT) | instid1(VALU_DEP_1)
	v_add_nc_u32_e32 v0, v92, v56
	v_ashrrev_i32_e32 v1, 31, v0
	s_cbranch_vccnz .LBB88_58
; %bb.13:                               ;   in Loop: Header=BB88_8 Depth=1
	s_delay_alu instid0(VALU_DEP_1) | instskip(NEXT) | instid1(VALU_DEP_1)
	v_lshlrev_b64 v[87:88], 1, v[0:1]
	v_add_co_u32 v87, vcc_lo, s40, v87
	s_delay_alu instid0(VALU_DEP_2) | instskip(SKIP_3) | instid1(VALU_DEP_1)
	v_add_co_ci_u32_e32 v88, vcc_lo, s41, v88, vcc_lo
	flat_load_u16 v87, v[87:88]
	s_waitcnt vmcnt(0) lgkmcnt(0)
	v_cvt_f32_f16_e32 v87, v87
	v_mul_f32_e32 v87, v43, v87
	v_cmp_ngt_f32_e64 s26, 0x3f200000, |v84|
                                        ; implicit-def: $vgpr93
	s_delay_alu instid0(VALU_DEP_1) | instskip(NEXT) | instid1(SALU_CYCLE_1)
	s_and_saveexec_b32 s27, s26
	s_xor_b32 s26, exec_lo, s27
	s_cbranch_execz .LBB88_15
.LBB88_14:                              ;   in Loop: Header=BB88_8 Depth=1
	v_add_f32_e64 v88, |v84|, |v84|
	s_delay_alu instid0(VALU_DEP_1) | instskip(SKIP_1) | instid1(VALU_DEP_2)
	v_mul_f32_e32 v89, 0x3fb8aa3b, v88
	v_cmp_ngt_f32_e32 vcc_lo, 0xc2ce8ed0, v88
	v_rndne_f32_e32 v90, v89
	v_fma_f32 v93, 0x3fb8aa3b, v88, -v89
	s_delay_alu instid0(VALU_DEP_2) | instskip(NEXT) | instid1(VALU_DEP_2)
	v_sub_f32_e32 v89, v89, v90
	v_fmac_f32_e32 v93, 0x32a5705f, v88
	v_cvt_i32_f32_e32 v90, v90
	s_delay_alu instid0(VALU_DEP_2) | instskip(NEXT) | instid1(VALU_DEP_1)
	v_add_f32_e32 v89, v89, v93
	v_exp_f32_e32 v89, v89
	s_waitcnt_depctr 0xfff
	v_ldexp_f32 v89, v89, v90
	s_delay_alu instid0(VALU_DEP_1) | instskip(SKIP_1) | instid1(VALU_DEP_2)
	v_cndmask_b32_e32 v89, 0, v89, vcc_lo
	v_cmp_nlt_f32_e32 vcc_lo, 0x42b17218, v88
	v_cndmask_b32_e32 v88, 0x7f800000, v89, vcc_lo
	s_delay_alu instid0(VALU_DEP_1) | instskip(NEXT) | instid1(VALU_DEP_1)
	v_add_f32_e32 v88, 1.0, v88
	v_rcp_f32_e32 v88, v88
	s_waitcnt_depctr 0xfff
	v_fma_f32 v93, v88, -2.0, 1.0
.LBB88_15:                              ;   in Loop: Header=BB88_8 Depth=1
	s_and_not1_saveexec_b32 s26, s26
	s_cbranch_execz .LBB88_18
; %bb.16:                               ;   in Loop: Header=BB88_8 Depth=1
	v_mul_f32_e32 v88, v84, v84
	s_delay_alu instid0(VALU_DEP_1) | instskip(NEXT) | instid1(VALU_DEP_1)
	v_fmaak_f32 v89, s21, v88, 0x3ca908c9
	v_fmaak_f32 v89, v88, v89, 0xbd5c1c4e
	s_delay_alu instid0(VALU_DEP_1) | instskip(NEXT) | instid1(VALU_DEP_1)
	v_fmaak_f32 v89, v88, v89, 0x3e088382
	v_fmaak_f32 v89, v88, v89, 0xbeaaaa99
	s_delay_alu instid0(VALU_DEP_1) | instskip(NEXT) | instid1(VALU_DEP_1)
	v_mul_f32_e64 v89, |v84|, v89
	v_fma_f32 v93, v88, v89, |v84|
	s_or_b32 exec_lo, exec_lo, s26
	s_delay_alu instid0(SALU_CYCLE_1)
	s_and_not1_b32 vcc_lo, exec_lo, s7
	s_cbranch_vccz .LBB88_19
.LBB88_17:                              ;   in Loop: Header=BB88_8 Depth=1
	v_mov_b32_e32 v88, 0
	v_cmp_ngt_f32_e64 s26, 0x3f200000, |v85|
                                        ; implicit-def: $vgpr94
	s_delay_alu instid0(VALU_DEP_1) | instskip(NEXT) | instid1(SALU_CYCLE_1)
	s_and_saveexec_b32 s27, s26
	s_xor_b32 s26, exec_lo, s27
	s_cbranch_execz .LBB88_21
	s_branch .LBB88_20
.LBB88_18:                              ;   in Loop: Header=BB88_8 Depth=1
	s_or_b32 exec_lo, exec_lo, s26
	s_delay_alu instid0(SALU_CYCLE_1)
	s_and_not1_b32 vcc_lo, exec_lo, s7
	s_cbranch_vccnz .LBB88_17
.LBB88_19:                              ;   in Loop: Header=BB88_8 Depth=1
	v_lshlrev_b64 v[88:89], 1, v[0:1]
	s_delay_alu instid0(VALU_DEP_1) | instskip(NEXT) | instid1(VALU_DEP_2)
	v_add_co_u32 v88, vcc_lo, s9, v88
	v_add_co_ci_u32_e32 v89, vcc_lo, s10, v89, vcc_lo
	flat_load_u16 v88, v[88:89]
	s_waitcnt vmcnt(0) lgkmcnt(0)
	v_cvt_f32_f16_e32 v88, v88
	s_delay_alu instid0(VALU_DEP_1) | instskip(SKIP_1) | instid1(VALU_DEP_1)
	v_mul_f32_e32 v88, v43, v88
	v_cmp_ngt_f32_e64 s26, 0x3f200000, |v85|
                                        ; implicit-def: $vgpr94
	s_and_saveexec_b32 s27, s26
	s_delay_alu instid0(SALU_CYCLE_1)
	s_xor_b32 s26, exec_lo, s27
	s_cbranch_execz .LBB88_21
.LBB88_20:                              ;   in Loop: Header=BB88_8 Depth=1
	v_add_f32_e64 v89, |v85|, |v85|
	s_delay_alu instid0(VALU_DEP_1) | instskip(SKIP_1) | instid1(VALU_DEP_2)
	v_mul_f32_e32 v90, 0x3fb8aa3b, v89
	v_cmp_ngt_f32_e32 vcc_lo, 0xc2ce8ed0, v89
	v_rndne_f32_e32 v94, v90
	v_fma_f32 v95, 0x3fb8aa3b, v89, -v90
	s_delay_alu instid0(VALU_DEP_1) | instskip(SKIP_1) | instid1(VALU_DEP_2)
	v_dual_sub_f32 v90, v90, v94 :: v_dual_fmac_f32 v95, 0x32a5705f, v89
	v_cvt_i32_f32_e32 v94, v94
	v_add_f32_e32 v90, v90, v95
	s_delay_alu instid0(VALU_DEP_1) | instskip(SKIP_2) | instid1(VALU_DEP_1)
	v_exp_f32_e32 v90, v90
	s_waitcnt_depctr 0xfff
	v_ldexp_f32 v90, v90, v94
	v_cndmask_b32_e32 v90, 0, v90, vcc_lo
	v_cmp_nlt_f32_e32 vcc_lo, 0x42b17218, v89
	s_delay_alu instid0(VALU_DEP_2) | instskip(NEXT) | instid1(VALU_DEP_1)
	v_cndmask_b32_e32 v89, 0x7f800000, v90, vcc_lo
	v_add_f32_e32 v89, 1.0, v89
	s_delay_alu instid0(VALU_DEP_1)
	v_rcp_f32_e32 v89, v89
	s_waitcnt_depctr 0xfff
	v_fma_f32 v94, v89, -2.0, 1.0
.LBB88_21:                              ;   in Loop: Header=BB88_8 Depth=1
	s_and_not1_saveexec_b32 s26, s26
	s_cbranch_execz .LBB88_24
; %bb.22:                               ;   in Loop: Header=BB88_8 Depth=1
	v_mul_f32_e32 v89, v85, v85
	s_delay_alu instid0(VALU_DEP_1) | instskip(NEXT) | instid1(VALU_DEP_1)
	v_fmaak_f32 v90, s21, v89, 0x3ca908c9
	v_fmaak_f32 v90, v89, v90, 0xbd5c1c4e
	s_delay_alu instid0(VALU_DEP_1) | instskip(NEXT) | instid1(VALU_DEP_1)
	v_fmaak_f32 v90, v89, v90, 0x3e088382
	v_fmaak_f32 v90, v89, v90, 0xbeaaaa99
	s_delay_alu instid0(VALU_DEP_1) | instskip(NEXT) | instid1(VALU_DEP_1)
	v_mul_f32_e64 v90, |v85|, v90
	v_fma_f32 v94, v89, v90, |v85|
	s_or_b32 exec_lo, exec_lo, s26
	s_delay_alu instid0(SALU_CYCLE_1)
	s_and_not1_b32 vcc_lo, exec_lo, s7
	s_cbranch_vccz .LBB88_25
.LBB88_23:                              ;   in Loop: Header=BB88_8 Depth=1
	v_mov_b32_e32 v89, 0
	v_cmp_ngt_f32_e64 s26, 0x3f200000, |v86|
                                        ; implicit-def: $vgpr95
	s_delay_alu instid0(VALU_DEP_1) | instskip(NEXT) | instid1(SALU_CYCLE_1)
	s_and_saveexec_b32 s27, s26
	s_xor_b32 s26, exec_lo, s27
	s_cbranch_execz .LBB88_27
	s_branch .LBB88_26
.LBB88_24:                              ;   in Loop: Header=BB88_8 Depth=1
	s_or_b32 exec_lo, exec_lo, s26
	s_delay_alu instid0(SALU_CYCLE_1)
	s_and_not1_b32 vcc_lo, exec_lo, s7
	s_cbranch_vccnz .LBB88_23
.LBB88_25:                              ;   in Loop: Header=BB88_8 Depth=1
	v_lshlrev_b64 v[89:90], 1, v[0:1]
	s_delay_alu instid0(VALU_DEP_1) | instskip(NEXT) | instid1(VALU_DEP_2)
	v_add_co_u32 v89, vcc_lo, s11, v89
	v_add_co_ci_u32_e32 v90, vcc_lo, s12, v90, vcc_lo
	flat_load_u16 v89, v[89:90]
	s_waitcnt vmcnt(0) lgkmcnt(0)
	v_cvt_f32_f16_e32 v89, v89
	s_delay_alu instid0(VALU_DEP_1) | instskip(SKIP_1) | instid1(VALU_DEP_1)
	v_mul_f32_e32 v89, v43, v89
	v_cmp_ngt_f32_e64 s26, 0x3f200000, |v86|
                                        ; implicit-def: $vgpr95
	s_and_saveexec_b32 s27, s26
	s_delay_alu instid0(SALU_CYCLE_1)
	s_xor_b32 s26, exec_lo, s27
	s_cbranch_execz .LBB88_27
.LBB88_26:                              ;   in Loop: Header=BB88_8 Depth=1
	v_add_f32_e64 v90, |v86|, |v86|
	s_delay_alu instid0(VALU_DEP_1) | instskip(SKIP_1) | instid1(VALU_DEP_2)
	v_mul_f32_e32 v95, 0x3fb8aa3b, v90
	v_cmp_ngt_f32_e32 vcc_lo, 0xc2ce8ed0, v90
	v_rndne_f32_e32 v96, v95
	v_fma_f32 v97, 0x3fb8aa3b, v90, -v95
	s_delay_alu instid0(VALU_DEP_2) | instskip(NEXT) | instid1(VALU_DEP_2)
	v_sub_f32_e32 v95, v95, v96
	v_fmac_f32_e32 v97, 0x32a5705f, v90
	v_cvt_i32_f32_e32 v96, v96
	s_delay_alu instid0(VALU_DEP_2) | instskip(NEXT) | instid1(VALU_DEP_1)
	v_add_f32_e32 v95, v95, v97
	v_exp_f32_e32 v95, v95
	s_waitcnt_depctr 0xfff
	v_ldexp_f32 v95, v95, v96
	s_delay_alu instid0(VALU_DEP_1) | instskip(SKIP_1) | instid1(VALU_DEP_2)
	v_cndmask_b32_e32 v95, 0, v95, vcc_lo
	v_cmp_nlt_f32_e32 vcc_lo, 0x42b17218, v90
	v_cndmask_b32_e32 v90, 0x7f800000, v95, vcc_lo
	s_delay_alu instid0(VALU_DEP_1) | instskip(NEXT) | instid1(VALU_DEP_1)
	v_add_f32_e32 v90, 1.0, v90
	v_rcp_f32_e32 v90, v90
	s_waitcnt_depctr 0xfff
	v_fma_f32 v95, v90, -2.0, 1.0
.LBB88_27:                              ;   in Loop: Header=BB88_8 Depth=1
	s_and_not1_saveexec_b32 s26, s26
	s_cbranch_execz .LBB88_30
; %bb.28:                               ;   in Loop: Header=BB88_8 Depth=1
	v_mul_f32_e32 v90, v86, v86
	s_delay_alu instid0(VALU_DEP_1) | instskip(NEXT) | instid1(VALU_DEP_1)
	v_fmaak_f32 v95, s21, v90, 0x3ca908c9
	v_fmaak_f32 v95, v90, v95, 0xbd5c1c4e
	s_delay_alu instid0(VALU_DEP_1) | instskip(NEXT) | instid1(VALU_DEP_1)
	v_fmaak_f32 v95, v90, v95, 0x3e088382
	v_fmaak_f32 v95, v90, v95, 0xbeaaaa99
	s_delay_alu instid0(VALU_DEP_1) | instskip(NEXT) | instid1(VALU_DEP_1)
	v_mul_f32_e64 v95, |v86|, v95
	v_fma_f32 v95, v90, v95, |v86|
	s_or_b32 exec_lo, exec_lo, s26
	s_delay_alu instid0(SALU_CYCLE_1)
	s_and_not1_b32 vcc_lo, exec_lo, s7
	s_cbranch_vccz .LBB88_31
.LBB88_29:                              ;   in Loop: Header=BB88_8 Depth=1
	v_mov_b32_e32 v90, 0
	s_branch .LBB88_32
.LBB88_30:                              ;   in Loop: Header=BB88_8 Depth=1
	s_or_b32 exec_lo, exec_lo, s26
	s_delay_alu instid0(SALU_CYCLE_1)
	s_and_not1_b32 vcc_lo, exec_lo, s7
	s_cbranch_vccnz .LBB88_29
.LBB88_31:                              ;   in Loop: Header=BB88_8 Depth=1
	v_lshlrev_b64 v[0:1], 1, v[0:1]
	s_delay_alu instid0(VALU_DEP_1) | instskip(NEXT) | instid1(VALU_DEP_2)
	v_add_co_u32 v0, vcc_lo, s13, v0
	v_add_co_ci_u32_e32 v1, vcc_lo, s20, v1, vcc_lo
	flat_load_u16 v0, v[0:1]
	s_waitcnt vmcnt(0) lgkmcnt(0)
	v_cvt_f32_f16_e32 v0, v0
	s_delay_alu instid0(VALU_DEP_1)
	v_mul_f32_e32 v90, v43, v0
.LBB88_32:                              ;   in Loop: Header=BB88_8 Depth=1
	v_bfi_b32 v0, 0x7fffffff, v91, v83
	v_bfi_b32 v1, 0x7fffffff, v93, v84
	;; [unrolled: 1-line block ×3, first 2 shown]
	v_cmp_ngt_f32_e64 s26, 0x3f200000, |v51|
	s_delay_alu instid0(VALU_DEP_3) | instskip(SKIP_3) | instid1(VALU_DEP_4)
	v_dual_fmac_f32 v87, s23, v0 :: v_dual_fmac_f32 v88, s23, v1
	v_bfi_b32 v0, 0x7fffffff, v95, v86
	v_xor_b32_e32 v1, 16, v76
	v_fmac_f32_e32 v89, s23, v83
	v_dual_add_f32 v83, 0x40051340, v87 :: v_dual_add_f32 v84, 0x40051340, v88
	s_delay_alu instid0(VALU_DEP_4) | instskip(NEXT) | instid1(VALU_DEP_4)
	v_fmac_f32_e32 v90, s23, v0
	v_cmp_gt_i32_e32 vcc_lo, 32, v1
                                        ; implicit-def: $vgpr95
	s_delay_alu instid0(VALU_DEP_3) | instskip(NEXT) | instid1(VALU_DEP_3)
	v_max3_f32 v83, v80, v83, v84
	v_add_f32_e32 v84, 0x40051340, v90
	v_cndmask_b32_e32 v0, v76, v1, vcc_lo
	v_add_f32_e32 v1, 0x40051340, v89
	s_delay_alu instid0(VALU_DEP_2) | instskip(NEXT) | instid1(VALU_DEP_2)
	v_lshlrev_b32_e32 v85, 2, v0
	v_max3_f32 v0, v83, v1, v84
	v_xor_b32_e32 v83, 8, v76
	ds_bpermute_b32 v1, v85, v0
	v_cmp_gt_i32_e32 vcc_lo, 32, v83
	v_cndmask_b32_e32 v83, v76, v83, vcc_lo
	s_delay_alu instid0(VALU_DEP_1) | instskip(SKIP_1) | instid1(VALU_DEP_1)
	v_lshlrev_b32_e32 v86, 2, v83
	v_xor_b32_e32 v83, 4, v76
	v_cmp_gt_i32_e32 vcc_lo, 32, v83
	s_waitcnt lgkmcnt(0)
	v_max_f32_e32 v1, v1, v1
	v_cndmask_b32_e32 v83, v76, v83, vcc_lo
	s_delay_alu instid0(VALU_DEP_1) | instskip(SKIP_4) | instid1(VALU_DEP_1)
	v_dual_max_f32 v0, v0, v1 :: v_dual_lshlrev_b32 v91, 2, v83
	v_xor_b32_e32 v83, 2, v76
	ds_bpermute_b32 v1, v86, v0
	v_cmp_gt_i32_e32 vcc_lo, 32, v83
	v_cndmask_b32_e32 v83, v76, v83, vcc_lo
	v_lshlrev_b32_e32 v84, 2, v83
	v_xor_b32_e32 v83, 1, v76
	s_delay_alu instid0(VALU_DEP_1) | instskip(SKIP_3) | instid1(VALU_DEP_1)
	v_cmp_gt_i32_e32 vcc_lo, 32, v83
	s_waitcnt lgkmcnt(0)
	v_max_f32_e32 v1, v1, v1
	v_cndmask_b32_e32 v83, v76, v83, vcc_lo
	v_dual_max_f32 v0, v0, v1 :: v_dual_lshlrev_b32 v83, 2, v83
	ds_bpermute_b32 v1, v91, v0
	s_waitcnt lgkmcnt(0)
	v_max_f32_e32 v1, v1, v1
	s_delay_alu instid0(VALU_DEP_1) | instskip(SKIP_3) | instid1(VALU_DEP_1)
	v_max_f32_e32 v0, v0, v1
	ds_bpermute_b32 v1, v84, v0
	s_waitcnt lgkmcnt(0)
	v_max_f32_e32 v1, v1, v1
	v_max_f32_e32 v93, v0, v1
	ds_bpermute_b32 v94, v83, v93
	s_and_saveexec_b32 s27, s26
	s_delay_alu instid0(SALU_CYCLE_1)
	s_xor_b32 s26, exec_lo, s27
	s_cbranch_execz .LBB88_34
; %bb.33:                               ;   in Loop: Header=BB88_8 Depth=1
	v_add_f32_e64 v0, |v51|, |v51|
	s_delay_alu instid0(VALU_DEP_1) | instskip(SKIP_1) | instid1(VALU_DEP_2)
	v_mul_f32_e32 v1, 0x3fb8aa3b, v0
	v_cmp_ngt_f32_e32 vcc_lo, 0xc2ce8ed0, v0
	v_rndne_f32_e32 v95, v1
	v_fma_f32 v96, 0x3fb8aa3b, v0, -v1
	s_delay_alu instid0(VALU_DEP_1) | instskip(SKIP_1) | instid1(VALU_DEP_2)
	v_dual_sub_f32 v1, v1, v95 :: v_dual_fmac_f32 v96, 0x32a5705f, v0
	v_cvt_i32_f32_e32 v95, v95
	v_add_f32_e32 v1, v1, v96
	s_delay_alu instid0(VALU_DEP_1) | instskip(SKIP_2) | instid1(VALU_DEP_1)
	v_exp_f32_e32 v1, v1
	s_waitcnt_depctr 0xfff
	v_ldexp_f32 v1, v1, v95
	v_cndmask_b32_e32 v1, 0, v1, vcc_lo
	v_cmp_nlt_f32_e32 vcc_lo, 0x42b17218, v0
	s_delay_alu instid0(VALU_DEP_2) | instskip(NEXT) | instid1(VALU_DEP_1)
	v_cndmask_b32_e32 v0, 0x7f800000, v1, vcc_lo
	v_add_f32_e32 v0, 1.0, v0
	s_delay_alu instid0(VALU_DEP_1)
	v_rcp_f32_e32 v0, v0
	s_waitcnt_depctr 0xfff
	v_fma_f32 v95, v0, -2.0, 1.0
.LBB88_34:                              ;   in Loop: Header=BB88_8 Depth=1
	s_and_not1_saveexec_b32 s26, s26
; %bb.35:                               ;   in Loop: Header=BB88_8 Depth=1
	v_mul_f32_e32 v0, v51, v51
	s_delay_alu instid0(VALU_DEP_1) | instskip(NEXT) | instid1(VALU_DEP_1)
	v_fmaak_f32 v1, s21, v0, 0x3ca908c9
	v_fmaak_f32 v1, v0, v1, 0xbd5c1c4e
	s_delay_alu instid0(VALU_DEP_1) | instskip(NEXT) | instid1(VALU_DEP_1)
	v_fmaak_f32 v1, v0, v1, 0x3e088382
	v_fmaak_f32 v1, v0, v1, 0xbeaaaa99
	s_delay_alu instid0(VALU_DEP_1) | instskip(NEXT) | instid1(VALU_DEP_1)
	v_mul_f32_e64 v1, |v51|, v1
	v_fma_f32 v95, v0, v1, |v51|
; %bb.36:                               ;   in Loop: Header=BB88_8 Depth=1
	s_or_b32 exec_lo, exec_lo, s26
	v_add_nc_u32_e32 v0, v92, v68
	s_and_not1_b32 vcc_lo, exec_lo, s7
	s_delay_alu instid0(VALU_DEP_1)
	v_ashrrev_i32_e32 v1, 31, v0
	s_cbranch_vccnz .LBB88_59
; %bb.37:                               ;   in Loop: Header=BB88_8 Depth=1
	s_delay_alu instid0(VALU_DEP_1) | instskip(NEXT) | instid1(VALU_DEP_1)
	v_lshlrev_b64 v[96:97], 1, v[0:1]
	v_add_co_u32 v96, vcc_lo, s40, v96
	s_delay_alu instid0(VALU_DEP_2) | instskip(SKIP_3) | instid1(VALU_DEP_1)
	v_add_co_ci_u32_e32 v97, vcc_lo, s41, v97, vcc_lo
	flat_load_u16 v92, v[96:97]
	s_waitcnt vmcnt(0) lgkmcnt(0)
	v_cvt_f32_f16_e32 v92, v92
	v_mul_f32_e32 v92, v43, v92
	v_cmp_ngt_f32_e64 s26, 0x3f200000, |v52|
                                        ; implicit-def: $vgpr97
	s_delay_alu instid0(VALU_DEP_1) | instskip(NEXT) | instid1(SALU_CYCLE_1)
	s_and_saveexec_b32 s27, s26
	s_xor_b32 s26, exec_lo, s27
	s_cbranch_execz .LBB88_39
.LBB88_38:                              ;   in Loop: Header=BB88_8 Depth=1
	v_add_f32_e64 v96, |v52|, |v52|
	s_delay_alu instid0(VALU_DEP_1) | instskip(SKIP_1) | instid1(VALU_DEP_2)
	v_mul_f32_e32 v97, 0x3fb8aa3b, v96
	v_cmp_ngt_f32_e32 vcc_lo, 0xc2ce8ed0, v96
	v_rndne_f32_e32 v98, v97
	v_fma_f32 v99, 0x3fb8aa3b, v96, -v97
	s_delay_alu instid0(VALU_DEP_2) | instskip(NEXT) | instid1(VALU_DEP_2)
	v_sub_f32_e32 v97, v97, v98
	v_fmac_f32_e32 v99, 0x32a5705f, v96
	v_cvt_i32_f32_e32 v98, v98
	s_delay_alu instid0(VALU_DEP_2) | instskip(NEXT) | instid1(VALU_DEP_1)
	v_add_f32_e32 v97, v97, v99
	v_exp_f32_e32 v97, v97
	s_waitcnt_depctr 0xfff
	v_ldexp_f32 v97, v97, v98
	s_delay_alu instid0(VALU_DEP_1) | instskip(SKIP_1) | instid1(VALU_DEP_2)
	v_cndmask_b32_e32 v97, 0, v97, vcc_lo
	v_cmp_nlt_f32_e32 vcc_lo, 0x42b17218, v96
	v_cndmask_b32_e32 v96, 0x7f800000, v97, vcc_lo
	s_delay_alu instid0(VALU_DEP_1) | instskip(NEXT) | instid1(VALU_DEP_1)
	v_add_f32_e32 v96, 1.0, v96
	v_rcp_f32_e32 v96, v96
	s_waitcnt_depctr 0xfff
	v_fma_f32 v97, v96, -2.0, 1.0
.LBB88_39:                              ;   in Loop: Header=BB88_8 Depth=1
	s_and_not1_saveexec_b32 s26, s26
	s_cbranch_execz .LBB88_42
; %bb.40:                               ;   in Loop: Header=BB88_8 Depth=1
	v_mul_f32_e32 v96, v52, v52
	s_delay_alu instid0(VALU_DEP_1) | instskip(NEXT) | instid1(VALU_DEP_1)
	v_fmaak_f32 v97, s21, v96, 0x3ca908c9
	v_fmaak_f32 v97, v96, v97, 0xbd5c1c4e
	s_delay_alu instid0(VALU_DEP_1) | instskip(NEXT) | instid1(VALU_DEP_1)
	v_fmaak_f32 v97, v96, v97, 0x3e088382
	v_fmaak_f32 v97, v96, v97, 0xbeaaaa99
	s_delay_alu instid0(VALU_DEP_1) | instskip(NEXT) | instid1(VALU_DEP_1)
	v_mul_f32_e64 v97, |v52|, v97
	v_fma_f32 v97, v96, v97, |v52|
	s_or_b32 exec_lo, exec_lo, s26
	s_delay_alu instid0(SALU_CYCLE_1)
	s_and_not1_b32 vcc_lo, exec_lo, s7
	s_cbranch_vccz .LBB88_43
.LBB88_41:                              ;   in Loop: Header=BB88_8 Depth=1
	v_mov_b32_e32 v96, 0
	v_cmp_ngt_f32_e64 s26, 0x3f200000, |v81|
                                        ; implicit-def: $vgpr99
	s_delay_alu instid0(VALU_DEP_1) | instskip(NEXT) | instid1(SALU_CYCLE_1)
	s_and_saveexec_b32 s27, s26
	s_xor_b32 s26, exec_lo, s27
	s_cbranch_execz .LBB88_45
	s_branch .LBB88_44
.LBB88_42:                              ;   in Loop: Header=BB88_8 Depth=1
	s_or_b32 exec_lo, exec_lo, s26
	s_delay_alu instid0(SALU_CYCLE_1)
	s_and_not1_b32 vcc_lo, exec_lo, s7
	s_cbranch_vccnz .LBB88_41
.LBB88_43:                              ;   in Loop: Header=BB88_8 Depth=1
	v_lshlrev_b64 v[98:99], 1, v[0:1]
	s_delay_alu instid0(VALU_DEP_1) | instskip(NEXT) | instid1(VALU_DEP_2)
	v_add_co_u32 v98, vcc_lo, s9, v98
	v_add_co_ci_u32_e32 v99, vcc_lo, s10, v99, vcc_lo
	flat_load_u16 v96, v[98:99]
	s_waitcnt vmcnt(0) lgkmcnt(0)
	v_cvt_f32_f16_e32 v96, v96
	s_delay_alu instid0(VALU_DEP_1) | instskip(SKIP_1) | instid1(VALU_DEP_1)
	v_mul_f32_e32 v96, v43, v96
	v_cmp_ngt_f32_e64 s26, 0x3f200000, |v81|
                                        ; implicit-def: $vgpr99
	s_and_saveexec_b32 s27, s26
	s_delay_alu instid0(SALU_CYCLE_1)
	s_xor_b32 s26, exec_lo, s27
	s_cbranch_execz .LBB88_45
.LBB88_44:                              ;   in Loop: Header=BB88_8 Depth=1
	v_add_f32_e64 v98, |v81|, |v81|
	s_delay_alu instid0(VALU_DEP_1) | instskip(SKIP_1) | instid1(VALU_DEP_2)
	v_mul_f32_e32 v99, 0x3fb8aa3b, v98
	v_cmp_ngt_f32_e32 vcc_lo, 0xc2ce8ed0, v98
	v_rndne_f32_e32 v100, v99
	v_fma_f32 v101, 0x3fb8aa3b, v98, -v99
	s_delay_alu instid0(VALU_DEP_2) | instskip(NEXT) | instid1(VALU_DEP_2)
	v_sub_f32_e32 v99, v99, v100
	v_fmac_f32_e32 v101, 0x32a5705f, v98
	v_cvt_i32_f32_e32 v100, v100
	s_delay_alu instid0(VALU_DEP_2) | instskip(NEXT) | instid1(VALU_DEP_1)
	v_add_f32_e32 v99, v99, v101
	v_exp_f32_e32 v99, v99
	s_waitcnt_depctr 0xfff
	v_ldexp_f32 v99, v99, v100
	s_delay_alu instid0(VALU_DEP_1) | instskip(SKIP_1) | instid1(VALU_DEP_2)
	v_cndmask_b32_e32 v99, 0, v99, vcc_lo
	v_cmp_nlt_f32_e32 vcc_lo, 0x42b17218, v98
	v_cndmask_b32_e32 v98, 0x7f800000, v99, vcc_lo
	s_delay_alu instid0(VALU_DEP_1) | instskip(NEXT) | instid1(VALU_DEP_1)
	v_add_f32_e32 v98, 1.0, v98
	v_rcp_f32_e32 v98, v98
	s_waitcnt_depctr 0xfff
	v_fma_f32 v99, v98, -2.0, 1.0
.LBB88_45:                              ;   in Loop: Header=BB88_8 Depth=1
	s_and_not1_saveexec_b32 s26, s26
	s_cbranch_execz .LBB88_48
; %bb.46:                               ;   in Loop: Header=BB88_8 Depth=1
	v_mul_f32_e32 v98, v81, v81
	s_delay_alu instid0(VALU_DEP_1) | instskip(NEXT) | instid1(VALU_DEP_1)
	v_fmaak_f32 v99, s21, v98, 0x3ca908c9
	v_fmaak_f32 v99, v98, v99, 0xbd5c1c4e
	s_delay_alu instid0(VALU_DEP_1) | instskip(NEXT) | instid1(VALU_DEP_1)
	v_fmaak_f32 v99, v98, v99, 0x3e088382
	v_fmaak_f32 v99, v98, v99, 0xbeaaaa99
	s_delay_alu instid0(VALU_DEP_1) | instskip(NEXT) | instid1(VALU_DEP_1)
	v_mul_f32_e64 v99, |v81|, v99
	v_fma_f32 v99, v98, v99, |v81|
	s_or_b32 exec_lo, exec_lo, s26
	s_delay_alu instid0(SALU_CYCLE_1)
	s_and_not1_b32 vcc_lo, exec_lo, s7
	s_cbranch_vccz .LBB88_49
.LBB88_47:                              ;   in Loop: Header=BB88_8 Depth=1
	v_mov_b32_e32 v98, 0
	v_cmp_ngt_f32_e64 s26, 0x3f200000, |v82|
                                        ; implicit-def: $vgpr101
	s_delay_alu instid0(VALU_DEP_1) | instskip(NEXT) | instid1(SALU_CYCLE_1)
	s_and_saveexec_b32 s27, s26
	s_xor_b32 s26, exec_lo, s27
	s_cbranch_execz .LBB88_51
	s_branch .LBB88_50
.LBB88_48:                              ;   in Loop: Header=BB88_8 Depth=1
	s_or_b32 exec_lo, exec_lo, s26
	s_delay_alu instid0(SALU_CYCLE_1)
	s_and_not1_b32 vcc_lo, exec_lo, s7
	s_cbranch_vccnz .LBB88_47
.LBB88_49:                              ;   in Loop: Header=BB88_8 Depth=1
	v_lshlrev_b64 v[100:101], 1, v[0:1]
	s_delay_alu instid0(VALU_DEP_1) | instskip(NEXT) | instid1(VALU_DEP_2)
	v_add_co_u32 v100, vcc_lo, s11, v100
	v_add_co_ci_u32_e32 v101, vcc_lo, s12, v101, vcc_lo
	flat_load_u16 v98, v[100:101]
	s_waitcnt vmcnt(0) lgkmcnt(0)
	v_cvt_f32_f16_e32 v98, v98
	s_delay_alu instid0(VALU_DEP_1) | instskip(SKIP_1) | instid1(VALU_DEP_1)
	v_mul_f32_e32 v98, v43, v98
	v_cmp_ngt_f32_e64 s26, 0x3f200000, |v82|
                                        ; implicit-def: $vgpr101
	s_and_saveexec_b32 s27, s26
	s_delay_alu instid0(SALU_CYCLE_1)
	s_xor_b32 s26, exec_lo, s27
	s_cbranch_execz .LBB88_51
.LBB88_50:                              ;   in Loop: Header=BB88_8 Depth=1
	v_add_f32_e64 v100, |v82|, |v82|
	s_delay_alu instid0(VALU_DEP_1) | instskip(SKIP_1) | instid1(VALU_DEP_2)
	v_mul_f32_e32 v101, 0x3fb8aa3b, v100
	v_cmp_ngt_f32_e32 vcc_lo, 0xc2ce8ed0, v100
	v_rndne_f32_e32 v102, v101
	v_fma_f32 v103, 0x3fb8aa3b, v100, -v101
	s_delay_alu instid0(VALU_DEP_2) | instskip(NEXT) | instid1(VALU_DEP_2)
	v_sub_f32_e32 v101, v101, v102
	v_fmac_f32_e32 v103, 0x32a5705f, v100
	v_cvt_i32_f32_e32 v102, v102
	s_delay_alu instid0(VALU_DEP_2) | instskip(NEXT) | instid1(VALU_DEP_1)
	v_add_f32_e32 v101, v101, v103
	v_exp_f32_e32 v101, v101
	s_waitcnt_depctr 0xfff
	v_ldexp_f32 v101, v101, v102
	s_delay_alu instid0(VALU_DEP_1) | instskip(SKIP_1) | instid1(VALU_DEP_2)
	v_cndmask_b32_e32 v101, 0, v101, vcc_lo
	v_cmp_nlt_f32_e32 vcc_lo, 0x42b17218, v100
	v_cndmask_b32_e32 v100, 0x7f800000, v101, vcc_lo
	s_delay_alu instid0(VALU_DEP_1) | instskip(NEXT) | instid1(VALU_DEP_1)
	v_add_f32_e32 v100, 1.0, v100
	v_rcp_f32_e32 v100, v100
	s_waitcnt_depctr 0xfff
	v_fma_f32 v101, v100, -2.0, 1.0
.LBB88_51:                              ;   in Loop: Header=BB88_8 Depth=1
	s_and_not1_saveexec_b32 s26, s26
	s_cbranch_execz .LBB88_54
; %bb.52:                               ;   in Loop: Header=BB88_8 Depth=1
	v_mul_f32_e32 v100, v82, v82
	s_delay_alu instid0(VALU_DEP_1) | instskip(NEXT) | instid1(VALU_DEP_1)
	v_fmaak_f32 v101, s21, v100, 0x3ca908c9
	v_fmaak_f32 v101, v100, v101, 0xbd5c1c4e
	s_delay_alu instid0(VALU_DEP_1) | instskip(NEXT) | instid1(VALU_DEP_1)
	v_fmaak_f32 v101, v100, v101, 0x3e088382
	v_fmaak_f32 v101, v100, v101, 0xbeaaaa99
	s_delay_alu instid0(VALU_DEP_1) | instskip(NEXT) | instid1(VALU_DEP_1)
	v_mul_f32_e64 v101, |v82|, v101
	v_fma_f32 v101, v100, v101, |v82|
	s_or_b32 exec_lo, exec_lo, s26
	s_delay_alu instid0(SALU_CYCLE_1)
	s_and_not1_b32 vcc_lo, exec_lo, s7
	s_cbranch_vccz .LBB88_55
.LBB88_53:                              ;   in Loop: Header=BB88_8 Depth=1
	v_mov_b32_e32 v100, 0
	s_branch .LBB88_56
.LBB88_54:                              ;   in Loop: Header=BB88_8 Depth=1
	s_or_b32 exec_lo, exec_lo, s26
	s_delay_alu instid0(SALU_CYCLE_1)
	s_and_not1_b32 vcc_lo, exec_lo, s7
	s_cbranch_vccnz .LBB88_53
.LBB88_55:                              ;   in Loop: Header=BB88_8 Depth=1
	v_lshlrev_b64 v[0:1], 1, v[0:1]
	s_delay_alu instid0(VALU_DEP_1) | instskip(NEXT) | instid1(VALU_DEP_2)
	v_add_co_u32 v0, vcc_lo, s13, v0
	v_add_co_ci_u32_e32 v1, vcc_lo, s20, v1, vcc_lo
	flat_load_u16 v0, v[0:1]
	s_waitcnt vmcnt(0) lgkmcnt(0)
	v_cvt_f32_f16_e32 v0, v0
	s_delay_alu instid0(VALU_DEP_1)
	v_mul_f32_e32 v100, v43, v0
.LBB88_56:                              ;   in Loop: Header=BB88_8 Depth=1
	s_mul_hi_i32 s27, s16, s22
	s_mul_i32 s26, s16, s22
	s_waitcnt lgkmcnt(0)
	s_lshl_b64 s[26:27], s[26:27], 2
	s_barrier
	s_add_u32 s26, s19, s26
	s_addc_u32 s27, s18, s27
	v_add_co_u32 v0, vcc_lo, s26, v18
	v_add_co_ci_u32_e32 v1, vcc_lo, s27, v19, vcc_lo
	v_add_co_u32 v102, vcc_lo, s26, v20
	v_add_co_ci_u32_e32 v103, vcc_lo, s27, v21, vcc_lo
	s_delay_alu instid0(VALU_DEP_4) | instskip(NEXT) | instid1(VALU_DEP_4)
	v_add_co_u32 v0, vcc_lo, v0, v75
	v_add_co_ci_u32_e32 v1, vcc_lo, 0, v1, vcc_lo
	s_delay_alu instid0(VALU_DEP_4) | instskip(NEXT) | instid1(VALU_DEP_4)
	v_add_co_u32 v106, vcc_lo, v102, v75
	v_add_co_ci_u32_e32 v107, vcc_lo, 0, v103, vcc_lo
	buffer_gl0_inv
	s_clause 0x1
	global_load_b128 v[102:105], v[0:1], off
	global_load_b128 v[106:109], v[106:107], off
	v_add_co_u32 v0, vcc_lo, s26, v22
	v_add_co_ci_u32_e32 v1, vcc_lo, s27, v23, vcc_lo
	v_add_co_u32 v110, vcc_lo, s26, v24
	v_add_co_ci_u32_e32 v111, vcc_lo, s27, v25, vcc_lo
	s_delay_alu instid0(VALU_DEP_4) | instskip(NEXT) | instid1(VALU_DEP_4)
	v_add_co_u32 v0, vcc_lo, v0, v75
	v_add_co_ci_u32_e32 v1, vcc_lo, 0, v1, vcc_lo
	s_delay_alu instid0(VALU_DEP_4) | instskip(NEXT) | instid1(VALU_DEP_4)
	v_add_co_u32 v114, vcc_lo, v110, v75
	v_add_co_ci_u32_e32 v115, vcc_lo, 0, v111, vcc_lo
	v_add_co_u32 v110, vcc_lo, s26, v26
	v_add_co_ci_u32_e32 v111, vcc_lo, s27, v27, vcc_lo
	v_add_co_u32 v112, vcc_lo, s26, v28
	v_add_co_ci_u32_e32 v113, vcc_lo, s27, v29, vcc_lo
	s_delay_alu instid0(VALU_DEP_4) | instskip(NEXT) | instid1(VALU_DEP_4)
	v_add_co_u32 v118, vcc_lo, v110, v75
	v_add_co_ci_u32_e32 v119, vcc_lo, 0, v111, vcc_lo
	s_delay_alu instid0(VALU_DEP_4) | instskip(NEXT) | instid1(VALU_DEP_4)
	v_add_co_u32 v122, vcc_lo, v112, v75
	v_add_co_ci_u32_e32 v123, vcc_lo, 0, v113, vcc_lo
	;; [unrolled: 10-line block ×3, first 2 shown]
	s_clause 0x5
	global_load_b128 v[110:113], v[0:1], off
	global_load_b128 v[114:117], v[114:115], off
	;; [unrolled: 1-line block ×6, first 2 shown]
	v_bfi_b32 v1, 0x7fffffff, v97, v52
	v_bfi_b32 v0, 0x7fffffff, v95, v51
	;; [unrolled: 1-line block ×4, first 2 shown]
	s_delay_alu instid0(VALU_DEP_4) | instskip(NEXT) | instid1(VALU_DEP_3)
	v_fmac_f32_e32 v96, s23, v1
	v_fmac_f32_e32 v98, s23, v51
	s_delay_alu instid0(VALU_DEP_3) | instskip(NEXT) | instid1(VALU_DEP_3)
	v_fmac_f32_e32 v100, s23, v52
	v_add_f32_e32 v1, 0x40051340, v96
	s_delay_alu instid0(VALU_DEP_3) | instskip(NEXT) | instid1(VALU_DEP_3)
	v_dual_fmac_f32 v92, s23, v0 :: v_dual_add_f32 v51, 0x40051340, v98
	v_add_f32_e32 v52, 0x40051340, v100
	s_delay_alu instid0(VALU_DEP_2) | instskip(NEXT) | instid1(VALU_DEP_1)
	v_add_f32_e32 v0, 0x40051340, v92
	v_max3_f32 v0, v79, v0, v1
	s_delay_alu instid0(VALU_DEP_1) | instskip(SKIP_4) | instid1(VALU_DEP_1)
	v_max3_f32 v0, v0, v51, v52
	v_max_f32_e32 v52, v93, v93
	ds_bpermute_b32 v1, v85, v0
	s_waitcnt lgkmcnt(0)
	v_max_f32_e32 v1, v1, v1
	v_max_f32_e32 v0, v0, v1
	ds_bpermute_b32 v1, v86, v0
	s_waitcnt lgkmcnt(0)
	v_max_f32_e32 v1, v1, v1
	s_delay_alu instid0(VALU_DEP_1) | instskip(SKIP_3) | instid1(VALU_DEP_1)
	v_max_f32_e32 v1, v0, v1
	ds_bpermute_b32 v51, v91, v1
	s_waitcnt lgkmcnt(0)
	v_dual_max_f32 v0, v94, v94 :: v_dual_max_f32 v51, v51, v51
	v_max_f32_e32 v0, v52, v0
	v_add_nc_u32_e32 v86, v57, v37
	s_delay_alu instid0(VALU_DEP_3) | instskip(NEXT) | instid1(VALU_DEP_3)
	v_max_f32_e32 v1, v1, v51
	v_sub_f32_e32 v85, v87, v0
	v_sub_f32_e32 v87, v90, v0
	;; [unrolled: 1-line block ×3, first 2 shown]
	ds_bpermute_b32 v84, v84, v1
	v_mul_f32_e32 v82, 0x3fb8aa3b, v85
	s_delay_alu instid0(VALU_DEP_1) | instskip(SKIP_1) | instid1(VALU_DEP_2)
	v_fma_f32 v93, 0x3fb8aa3b, v85, -v82
	v_dual_sub_f32 v80, v89, v0 :: v_dual_mul_f32 v89, 0x3fb8aa3b, v87
	v_dual_sub_f32 v52, v88, v0 :: v_dual_fmac_f32 v93, 0x32a5705f, v85
	s_delay_alu instid0(VALU_DEP_2) | instskip(NEXT) | instid1(VALU_DEP_2)
	v_fma_f32 v101, 0x3fb8aa3b, v87, -v89
	v_mul_f32_e32 v81, 0x3fb8aa3b, v52
	v_rndne_f32_e32 v134, v89
	v_mul_f32_e32 v88, 0x3fb8aa3b, v80
	v_cmp_ngt_f32_e32 vcc_lo, 0xc2ce8ed0, v52
	v_fmac_f32_e32 v101, 0x32a5705f, v87
	v_fma_f32 v91, 0x3fb8aa3b, v52, -v81
	v_rndne_f32_e32 v51, v81
	v_dual_sub_f32 v89, v89, v134 :: v_dual_mul_f32 v90, 0x3fb8aa3b, v95
	v_fma_f32 v97, 0x3fb8aa3b, v80, -v88
	v_rndne_f32_e32 v99, v88
	s_delay_alu instid0(VALU_DEP_4) | instskip(NEXT) | instid1(VALU_DEP_4)
	v_sub_f32_e32 v81, v81, v51
	v_add_f32_e32 v89, v89, v101
	v_rndne_f32_e32 v94, v82
	v_fmac_f32_e32 v91, 0x32a5705f, v52
	v_fma_f32 v135, 0x3fb8aa3b, v95, -v90
	v_dual_fmac_f32 v97, 0x32a5705f, v80 :: v_dual_sub_f32 v88, v88, v99
	s_delay_alu instid0(VALU_DEP_3) | instskip(SKIP_1) | instid1(VALU_DEP_3)
	v_dual_sub_f32 v82, v82, v94 :: v_dual_add_f32 v81, v81, v91
	s_waitcnt lgkmcnt(0)
	v_dual_max_f32 v84, v84, v84 :: v_dual_fmac_f32 v135, 0x32a5705f, v95
	v_rndne_f32_e32 v136, v90
	s_delay_alu instid0(VALU_DEP_3) | instskip(SKIP_3) | instid1(VALU_DEP_3)
	v_add_f32_e32 v82, v82, v93
	v_exp_f32_e32 v81, v81
	v_cvt_i32_f32_e32 v51, v51
	v_dual_add_f32 v88, v88, v97 :: v_dual_max_f32 v1, v1, v84
	v_exp_f32_e32 v82, v82
	v_cvt_i32_f32_e32 v94, v94
	v_sub_f32_e32 v90, v90, v136
	s_delay_alu instid0(VALU_DEP_3)
	v_exp_f32_e32 v84, v88
	v_exp_f32_e32 v88, v89
	ds_bpermute_b32 v83, v83, v1
	v_ldexp_f32 v51, v81, v51
	v_cvt_i32_f32_e32 v91, v134
	v_cvt_i32_f32_e32 v93, v136
	v_ldexp_f32 v81, v82, v94
	s_delay_alu instid0(VALU_DEP_4) | instskip(SKIP_3) | instid1(VALU_DEP_1)
	v_cndmask_b32_e32 v51, 0, v51, vcc_lo
	v_cmp_ngt_f32_e32 vcc_lo, 0xc2ce8ed0, v85
	v_add_f32_e32 v89, v90, v135
	v_cvt_i32_f32_e32 v90, v99
	v_ldexp_f32 v82, v84, v90
	v_ldexp_f32 v84, v88, v91
	v_cndmask_b32_e32 v88, 0, v81, vcc_lo
	v_cmp_ngt_f32_e32 vcc_lo, 0xc2ce8ed0, v80
	v_exp_f32_e32 v89, v89
	v_cndmask_b32_e32 v81, 0, v82, vcc_lo
	v_cmp_ngt_f32_e32 vcc_lo, 0xc2ce8ed0, v87
	v_cndmask_b32_e32 v84, 0, v84, vcc_lo
	v_cmp_nlt_f32_e32 vcc_lo, 0x42b17218, v52
	s_waitcnt lgkmcnt(0)
	v_max_f32_e32 v52, v83, v83
	s_delay_alu instid0(VALU_DEP_1) | instskip(SKIP_1) | instid1(VALU_DEP_2)
	v_dual_cndmask_b32 v82, 0x7f800000, v51 :: v_dual_max_f32 v1, v1, v52
	v_cmp_nlt_f32_e32 vcc_lo, 0x42b17218, v80
	v_cvt_f16_f32_e32 v80, v82
	s_delay_alu instid0(VALU_DEP_3)
	v_sub_f32_e32 v52, v92, v1
	v_cndmask_b32_e32 v81, 0x7f800000, v81, vcc_lo
	v_cmp_nlt_f32_e32 vcc_lo, 0x42b17218, v87
	v_sub_f32_e32 v91, v98, v1
	v_dual_sub_f32 v92, v100, v1 :: v_dual_cndmask_b32 v51, 0x7f800000, v84
	v_cmp_nlt_f32_e32 vcc_lo, 0x42b17218, v85
	v_sub_f32_e32 v85, v96, v1
	v_dual_sub_f32 v96, v79, v1 :: v_dual_mul_f32 v79, 0x3fb8aa3b, v52
	s_delay_alu instid0(VALU_DEP_4) | instskip(SKIP_2) | instid1(VALU_DEP_4)
	v_mul_f32_e32 v97, 0x3fb8aa3b, v92
	v_cndmask_b32_e32 v83, 0x7f800000, v88, vcc_lo
	v_cmp_ngt_f32_e32 vcc_lo, 0xc2ce8ed0, v52
	v_mul_f32_e32 v98, 0x3fb8aa3b, v96
	v_mul_f32_e32 v94, 0x3fb8aa3b, v91
	;; [unrolled: 1-line block ×3, first 2 shown]
	v_rndne_f32_e32 v100, v79
	v_fma_f32 v99, 0x3fb8aa3b, v52, -v79
	v_rndne_f32_e32 v140, v98
	v_fma_f32 v135, 0x3fb8aa3b, v91, -v94
	v_fma_f32 v101, 0x3fb8aa3b, v85, -v84
	v_rndne_f32_e32 v136, v94
	v_rndne_f32_e32 v134, v84
	v_fma_f32 v139, 0x3fb8aa3b, v96, -v98
	v_dual_fmac_f32 v135, 0x32a5705f, v91 :: v_dual_sub_f32 v98, v98, v140
	s_delay_alu instid0(VALU_DEP_4) | instskip(NEXT) | instid1(VALU_DEP_4)
	v_dual_fmac_f32 v101, 0x32a5705f, v85 :: v_dual_sub_f32 v94, v94, v136
	v_dual_sub_f32 v79, v79, v100 :: v_dual_sub_f32 v84, v84, v134
	v_fmac_f32_e32 v99, 0x32a5705f, v52
	v_fma_f32 v137, 0x3fb8aa3b, v92, -v97
	s_delay_alu instid0(VALU_DEP_4)
	v_add_f32_e32 v94, v94, v135
	v_rndne_f32_e32 v138, v97
	v_add_f32_e32 v84, v84, v101
	v_cvt_i32_f32_e32 v101, v136
	v_fmac_f32_e32 v139, 0x32a5705f, v96
	v_exp_f32_e32 v94, v94
	v_fmac_f32_e32 v137, 0x32a5705f, v92
	v_exp_f32_e32 v84, v84
	v_cvt_f16_f32_e32 v87, v81
	v_add_f32_e32 v98, v98, v139
	v_cvt_f16_f32_e32 v88, v51
	v_cvt_f16_f32_e32 v90, v83
	v_add_f32_e32 v82, v83, v82
	s_delay_alu instid0(TRANS32_DEP_2)
	v_ldexp_f32 v94, v94, v101
	v_add_f32_e32 v79, v79, v99
	v_cvt_i32_f32_e32 v99, v100
	v_cvt_i32_f32_e32 v100, v134
	;; [unrolled: 1-line block ×3, first 2 shown]
	v_add_f32_e32 v81, v81, v82
	v_exp_f32_e32 v79, v79
	s_delay_alu instid0(VALU_DEP_3) | instskip(NEXT) | instid1(VALU_DEP_2)
	v_ldexp_f32 v84, v84, v100
	v_add_f32_e32 v51, v51, v81
	s_waitcnt_depctr 0xfff
	v_ldexp_f32 v79, v79, v99
	s_delay_alu instid0(VALU_DEP_1) | instskip(SKIP_2) | instid1(VALU_DEP_2)
	v_cndmask_b32_e32 v79, 0, v79, vcc_lo
	v_sub_f32_e32 v97, v97, v138
	v_cmp_ngt_f32_e32 vcc_lo, 0xc2ce8ed0, v85
	v_add_f32_e32 v97, v97, v137
	v_cndmask_b32_e32 v99, 0, v84, vcc_lo
	v_cmp_ngt_f32_e32 vcc_lo, 0xc2ce8ed0, v91
	s_delay_alu instid0(VALU_DEP_3) | instskip(SKIP_4) | instid1(VALU_DEP_1)
	v_exp_f32_e32 v97, v97
	v_cndmask_b32_e32 v94, 0, v94, vcc_lo
	v_cmp_ngt_f32_e32 vcc_lo, 0xc2ce8ed0, v92
	s_waitcnt_depctr 0xfff
	v_ldexp_f32 v97, v97, v134
	v_cndmask_b32_e32 v97, 0, v97, vcc_lo
	v_cmp_nlt_f32_e32 vcc_lo, 0x42b17218, v52
	v_cndmask_b32_e32 v84, 0x7f800000, v79, vcc_lo
	v_cmp_nlt_f32_e32 vcc_lo, 0x42b17218, v85
	;; [unrolled: 2-line block ×3, first 2 shown]
	v_exp_f32_e32 v91, v98
	v_cvt_i32_f32_e32 v99, v140
	v_cndmask_b32_e32 v79, 0x7f800000, v94, vcc_lo
	v_cmp_nlt_f32_e32 vcc_lo, 0x42b17218, v92
	v_cvt_f16_f32_e32 v92, v84
	v_cvt_f16_f32_e32 v94, v85
	v_cndmask_b32_e32 v52, 0x7f800000, v97, vcc_lo
	v_cvt_f16_f32_e32 v97, v79
	s_delay_alu instid0(VALU_DEP_4) | instskip(NEXT) | instid1(VALU_DEP_4)
	v_pack_b32_f16 v90, v90, v92
	v_pack_b32_f16 v80, v80, v94
	v_cmp_ngt_f32_e32 vcc_lo, 0xc2ce8ed0, v96
	v_cvt_f16_f32_e32 v98, v52
	v_pack_b32_f16 v87, v87, v97
	v_ldexp_f32 v97, v89, v93
	s_delay_alu instid0(VALU_DEP_3)
	v_pack_b32_f16 v88, v88, v98
	v_ldexp_f32 v98, v91, v99
	ds_store_2addr_b32 v86, v90, v80 offset1:32
	ds_store_2addr_b32 v86, v87, v88 offset0:64 offset1:96
	s_waitcnt vmcnt(7)
	ds_store_b128 v59, v[102:105]
	s_waitcnt vmcnt(6)
	ds_store_b128 v67, v[106:109]
	s_waitcnt vmcnt(5)
	ds_store_b128 v69, v[110:113]
	s_waitcnt vmcnt(4)
	ds_store_b128 v70, v[114:117]
	s_waitcnt vmcnt(3)
	ds_store_b128 v71, v[118:121]
	s_waitcnt vmcnt(2)
	ds_store_b128 v72, v[122:125]
	s_waitcnt vmcnt(1)
	ds_store_b128 v73, v[126:129]
	s_waitcnt vmcnt(0)
	ds_store_b128 v74, v[130:133]
	s_waitcnt lgkmcnt(0)
	s_barrier
	buffer_gl0_inv
	ds_load_2addr_b64 v[87:90], v42 offset1:32
	ds_load_b128 v[91:94], v57
	v_cndmask_b32_e32 v80, 0, v98, vcc_lo
	v_cmp_ngt_f32_e32 vcc_lo, 0xc2ce8ed0, v95
	v_add_nc_u32_e32 v116, 0x1000, v42
	v_add_nc_u32_e32 v117, 0x7000, v42
	;; [unrolled: 1-line block ×3, first 2 shown]
	v_cndmask_b32_e32 v86, 0, v97, vcc_lo
	v_cmp_nlt_f32_e32 vcc_lo, 0x42b17218, v96
	v_cndmask_b32_e32 v80, 0x7f800000, v80, vcc_lo
	v_cmp_nlt_f32_e32 vcc_lo, 0x42b17218, v95
	ds_load_2addr_b64 v[95:98], v42 offset0:64 offset1:96
	ds_load_2addr_b64 v[99:102], v42 offset0:128 offset1:160
	ds_load_b128 v[103:106], v57 offset:16
	ds_load_b128 v[111:114], v57 offset:48
	v_cvt_f16_f32_e32 v107, v80
	v_cndmask_b32_e32 v86, 0x7f800000, v86, vcc_lo
	s_waitcnt lgkmcnt(4)
	v_pk_mul_f16 v109, v87, v91 op_sel_hi:[1,0]
	v_pk_mul_f16 v87, v87, v91 op_sel:[0,1]
	v_pk_mul_f16 v110, v88, v91 op_sel_hi:[1,0]
	v_pk_mul_f16 v44, v107, v44 op_sel_hi:[0,1]
	v_cvt_f16_f32_e32 v108, v86
	v_fmac_f32_e32 v51, v78, v86
	v_pk_fma_f16 v45, v107, v45, v87 op_sel_hi:[0,1,1]
	v_add_f32_e32 v78, v84, v85
	v_pk_fma_f16 v44, v88, v91, v44 op_sel:[0,1,0]
	v_pk_fma_f16 v47, v108, v47, v109 op_sel_hi:[0,1,1]
	v_pk_fma_f16 v48, v108, v48, v110 op_sel_hi:[0,1,1]
	v_pk_fma_f16 v45, v89, v92, v45 op_sel:[0,1,0]
	v_add_f32_e32 v78, v79, v78
	v_pk_fma_f16 v44, v90, v92, v44 op_sel:[0,1,0]
	v_pk_fma_f16 v47, v89, v92, v47 op_sel_hi:[1,0,1]
	v_pk_fma_f16 v48, v90, v92, v48 op_sel_hi:[1,0,1]
	ds_load_2addr_b64 v[87:90], v42 offset0:192 offset1:224
	s_waitcnt lgkmcnt(4)
	v_pk_fma_f16 v45, v95, v93, v45 op_sel:[0,1,0]
	v_pk_fma_f16 v44, v96, v93, v44 op_sel:[0,1,0]
	v_pk_fma_f16 v47, v95, v93, v47 op_sel_hi:[1,0,1]
	v_pk_fma_f16 v48, v96, v93, v48 op_sel_hi:[1,0,1]
	v_add_f32_e32 v52, v52, v78
	v_add_nc_u32_e32 v115, 0x800, v42
	v_pk_fma_f16 v44, v98, v94, v44 op_sel:[0,1,0]
	v_pk_fma_f16 v47, v97, v94, v47 op_sel_hi:[1,0,1]
	v_pk_fma_f16 v45, v97, v94, v45 op_sel:[0,1,0]
	v_fmac_f32_e32 v52, v77, v80
	v_pk_fma_f16 v48, v98, v94, v48 op_sel_hi:[1,0,1]
	ds_load_2addr_b64 v[107:110], v115 offset1:32
	s_waitcnt lgkmcnt(3)
	v_pk_fma_f16 v44, v100, v103, v44 op_sel:[0,1,0]
	ds_load_b128 v[91:94], v57 offset:32
	v_pk_fma_f16 v47, v99, v103, v47 op_sel_hi:[1,0,1]
	v_pk_fma_f16 v45, v99, v103, v45 op_sel:[0,1,0]
	v_pk_fma_f16 v48, v100, v103, v48 op_sel_hi:[1,0,1]
	v_pk_fma_f16 v44, v102, v104, v44 op_sel:[0,1,0]
	ds_load_2addr_b64 v[95:98], v115 offset0:64 offset1:96
	v_pk_fma_f16 v47, v101, v104, v47 op_sel_hi:[1,0,1]
	v_pk_fma_f16 v45, v101, v104, v45 op_sel:[0,1,0]
	v_pk_fma_f16 v48, v102, v104, v48 op_sel_hi:[1,0,1]
	s_waitcnt lgkmcnt(3)
	v_pk_fma_f16 v44, v88, v105, v44 op_sel:[0,1,0]
	ds_load_2addr_b64 v[99:102], v115 offset0:128 offset1:160
	v_pk_fma_f16 v47, v87, v105, v47 op_sel_hi:[1,0,1]
	v_pk_fma_f16 v45, v87, v105, v45 op_sel:[0,1,0]
	v_pk_fma_f16 v48, v88, v105, v48 op_sel_hi:[1,0,1]
	v_pk_fma_f16 v44, v90, v106, v44 op_sel:[0,1,0]
	ds_load_2addr_b64 v[81:84], v117 offset0:192 offset1:224
	v_pk_fma_f16 v47, v89, v106, v47 op_sel_hi:[1,0,1]
	v_pk_fma_f16 v45, v89, v106, v45 op_sel:[0,1,0]
	v_pk_fma_f16 v48, v90, v106, v48 op_sel_hi:[1,0,1]
	ds_load_2addr_b64 v[87:90], v115 offset0:192 offset1:224
	s_waitcnt lgkmcnt(4)
	v_pk_fma_f16 v44, v108, v91, v44 op_sel:[0,1,0]
	v_pk_fma_f16 v47, v107, v91, v47 op_sel_hi:[1,0,1]
	v_pk_fma_f16 v45, v107, v91, v45 op_sel:[0,1,0]
	v_pk_fma_f16 v48, v108, v91, v48 op_sel_hi:[1,0,1]
	ds_load_2addr_b64 v[103:106], v116 offset1:32
	v_pk_fma_f16 v44, v110, v92, v44 op_sel:[0,1,0]
	v_pk_fma_f16 v47, v109, v92, v47 op_sel_hi:[1,0,1]
	v_pk_fma_f16 v45, v109, v92, v45 op_sel:[0,1,0]
	v_pk_fma_f16 v48, v110, v92, v48 op_sel_hi:[1,0,1]
	ds_load_b128 v[107:110], v57 offset:80
	s_waitcnt lgkmcnt(5)
	v_pk_fma_f16 v44, v96, v93, v44 op_sel:[0,1,0]
	v_pk_fma_f16 v47, v95, v93, v47 op_sel_hi:[1,0,1]
	v_pk_fma_f16 v45, v95, v93, v45 op_sel:[0,1,0]
	v_pk_fma_f16 v48, v96, v93, v48 op_sel_hi:[1,0,1]
	v_add_nc_u32_e32 v115, 0x1800, v42
	v_pk_fma_f16 v44, v98, v94, v44 op_sel:[0,1,0]
	v_pk_fma_f16 v47, v97, v94, v47 op_sel_hi:[1,0,1]
	v_pk_fma_f16 v45, v97, v94, v45 op_sel:[0,1,0]
	v_pk_fma_f16 v48, v98, v94, v48 op_sel_hi:[1,0,1]
	ds_load_b128 v[91:94], v57 offset:64
	s_waitcnt lgkmcnt(5)
	v_pk_fma_f16 v44, v100, v111, v44 op_sel:[0,1,0]
	v_pk_fma_f16 v47, v99, v111, v47 op_sel_hi:[1,0,1]
	v_pk_fma_f16 v45, v99, v111, v45 op_sel:[0,1,0]
	v_pk_fma_f16 v48, v100, v111, v48 op_sel_hi:[1,0,1]
	ds_load_2addr_b64 v[95:98], v116 offset0:64 offset1:96
	v_pk_fma_f16 v44, v102, v112, v44 op_sel:[0,1,0]
	v_pk_fma_f16 v47, v101, v112, v47 op_sel_hi:[1,0,1]
	v_pk_fma_f16 v45, v101, v112, v45 op_sel:[0,1,0]
	v_pk_fma_f16 v48, v102, v112, v48 op_sel_hi:[1,0,1]
	ds_load_2addr_b64 v[99:102], v116 offset0:128 offset1:160
	s_waitcnt lgkmcnt(5)
	v_pk_fma_f16 v44, v88, v113, v44 op_sel:[0,1,0]
	v_pk_fma_f16 v47, v87, v113, v47 op_sel_hi:[1,0,1]
	v_pk_fma_f16 v45, v87, v113, v45 op_sel:[0,1,0]
	v_pk_fma_f16 v48, v88, v113, v48 op_sel_hi:[1,0,1]
	s_delay_alu instid0(VALU_DEP_4) | instskip(NEXT) | instid1(VALU_DEP_4)
	v_pk_fma_f16 v44, v90, v114, v44 op_sel:[0,1,0]
	v_pk_fma_f16 v47, v89, v114, v47 op_sel_hi:[1,0,1]
	s_delay_alu instid0(VALU_DEP_4) | instskip(NEXT) | instid1(VALU_DEP_4)
	v_pk_fma_f16 v45, v89, v114, v45 op_sel:[0,1,0]
	v_pk_fma_f16 v48, v90, v114, v48 op_sel_hi:[1,0,1]
	ds_load_2addr_b64 v[87:90], v116 offset0:192 offset1:224
	s_waitcnt lgkmcnt(3)
	v_pk_fma_f16 v44, v104, v91, v44 op_sel:[0,1,0]
	v_pk_fma_f16 v47, v103, v91, v47 op_sel_hi:[1,0,1]
	v_pk_fma_f16 v45, v103, v91, v45 op_sel:[0,1,0]
	v_pk_fma_f16 v48, v104, v91, v48 op_sel_hi:[1,0,1]
	ds_load_b128 v[111:114], v57 offset:112
	v_pk_fma_f16 v44, v106, v92, v44 op_sel:[0,1,0]
	v_pk_fma_f16 v47, v105, v92, v47 op_sel_hi:[1,0,1]
	v_pk_fma_f16 v45, v105, v92, v45 op_sel:[0,1,0]
	v_pk_fma_f16 v48, v106, v92, v48 op_sel_hi:[1,0,1]
	ds_load_2addr_b64 v[103:106], v115 offset1:32
	s_waitcnt lgkmcnt(4)
	v_pk_fma_f16 v44, v96, v93, v44 op_sel:[0,1,0]
	v_pk_fma_f16 v47, v95, v93, v47 op_sel_hi:[1,0,1]
	v_pk_fma_f16 v45, v95, v93, v45 op_sel:[0,1,0]
	v_pk_fma_f16 v48, v96, v93, v48 op_sel_hi:[1,0,1]
	v_add_nc_u32_e32 v116, 0x2000, v42
	v_pk_fma_f16 v44, v98, v94, v44 op_sel:[0,1,0]
	v_pk_fma_f16 v47, v97, v94, v47 op_sel_hi:[1,0,1]
	v_pk_fma_f16 v45, v97, v94, v45 op_sel:[0,1,0]
	v_pk_fma_f16 v48, v98, v94, v48 op_sel_hi:[1,0,1]
	ds_load_b128 v[91:94], v57 offset:96
	s_waitcnt lgkmcnt(4)
	v_pk_fma_f16 v44, v100, v107, v44 op_sel:[0,1,0]
	v_pk_fma_f16 v47, v99, v107, v47 op_sel_hi:[1,0,1]
	v_pk_fma_f16 v45, v99, v107, v45 op_sel:[0,1,0]
	v_pk_fma_f16 v48, v100, v107, v48 op_sel_hi:[1,0,1]
	ds_load_2addr_b64 v[95:98], v115 offset0:64 offset1:96
	v_pk_fma_f16 v44, v102, v108, v44 op_sel:[0,1,0]
	v_pk_fma_f16 v47, v101, v108, v47 op_sel_hi:[1,0,1]
	v_pk_fma_f16 v45, v101, v108, v45 op_sel:[0,1,0]
	v_pk_fma_f16 v48, v102, v108, v48 op_sel_hi:[1,0,1]
	ds_load_2addr_b64 v[99:102], v115 offset0:128 offset1:160
	s_waitcnt lgkmcnt(5)
	v_pk_fma_f16 v44, v88, v109, v44 op_sel:[0,1,0]
	v_pk_fma_f16 v47, v87, v109, v47 op_sel_hi:[1,0,1]
	v_pk_fma_f16 v45, v87, v109, v45 op_sel:[0,1,0]
	v_pk_fma_f16 v48, v88, v109, v48 op_sel_hi:[1,0,1]
	s_delay_alu instid0(VALU_DEP_4) | instskip(NEXT) | instid1(VALU_DEP_4)
	v_pk_fma_f16 v44, v90, v110, v44 op_sel:[0,1,0]
	v_pk_fma_f16 v47, v89, v110, v47 op_sel_hi:[1,0,1]
	s_delay_alu instid0(VALU_DEP_4) | instskip(NEXT) | instid1(VALU_DEP_4)
	v_pk_fma_f16 v45, v89, v110, v45 op_sel:[0,1,0]
	v_pk_fma_f16 v48, v90, v110, v48 op_sel_hi:[1,0,1]
	ds_load_2addr_b64 v[87:90], v115 offset0:192 offset1:224
	s_waitcnt lgkmcnt(3)
	v_pk_fma_f16 v44, v104, v91, v44 op_sel:[0,1,0]
	v_pk_fma_f16 v47, v103, v91, v47 op_sel_hi:[1,0,1]
	v_pk_fma_f16 v45, v103, v91, v45 op_sel:[0,1,0]
	v_pk_fma_f16 v48, v104, v91, v48 op_sel_hi:[1,0,1]
	ds_load_b128 v[107:110], v57 offset:144
	v_pk_fma_f16 v44, v106, v92, v44 op_sel:[0,1,0]
	v_pk_fma_f16 v47, v105, v92, v47 op_sel_hi:[1,0,1]
	v_pk_fma_f16 v45, v105, v92, v45 op_sel:[0,1,0]
	v_pk_fma_f16 v48, v106, v92, v48 op_sel_hi:[1,0,1]
	ds_load_2addr_b64 v[103:106], v116 offset1:32
	;; [unrolled: 45-line block ×11, first 2 shown]
	s_waitcnt lgkmcnt(4)
	v_pk_fma_f16 v44, v96, v93, v44 op_sel:[0,1,0]
	v_pk_fma_f16 v47, v95, v93, v47 op_sel_hi:[1,0,1]
	v_pk_fma_f16 v45, v95, v93, v45 op_sel:[0,1,0]
	v_pk_fma_f16 v48, v96, v93, v48 op_sel_hi:[1,0,1]
	s_delay_alu instid0(VALU_DEP_4) | instskip(NEXT) | instid1(VALU_DEP_4)
	v_pk_fma_f16 v44, v98, v94, v44 op_sel:[0,1,0]
	v_pk_fma_f16 v47, v97, v94, v47 op_sel_hi:[1,0,1]
	s_delay_alu instid0(VALU_DEP_4) | instskip(NEXT) | instid1(VALU_DEP_4)
	v_pk_fma_f16 v45, v97, v94, v45 op_sel:[0,1,0]
	v_pk_fma_f16 v48, v98, v94, v48 op_sel_hi:[1,0,1]
	ds_load_b128 v[91:94], v57 offset:416
	s_waitcnt lgkmcnt(4)
	v_pk_fma_f16 v44, v100, v107, v44 op_sel:[0,1,0]
	v_pk_fma_f16 v47, v99, v107, v47 op_sel_hi:[1,0,1]
	v_pk_fma_f16 v45, v99, v107, v45 op_sel:[0,1,0]
	v_pk_fma_f16 v48, v100, v107, v48 op_sel_hi:[1,0,1]
	ds_load_2addr_b64 v[95:98], v115 offset0:64 offset1:96
	v_pk_fma_f16 v44, v102, v108, v44 op_sel:[0,1,0]
	v_pk_fma_f16 v47, v101, v108, v47 op_sel_hi:[1,0,1]
	v_pk_fma_f16 v45, v101, v108, v45 op_sel:[0,1,0]
	v_pk_fma_f16 v48, v102, v108, v48 op_sel_hi:[1,0,1]
	ds_load_2addr_b64 v[99:102], v115 offset0:128 offset1:160
	s_waitcnt lgkmcnt(5)
	v_pk_fma_f16 v44, v88, v109, v44 op_sel:[0,1,0]
	v_pk_fma_f16 v47, v87, v109, v47 op_sel_hi:[1,0,1]
	v_pk_fma_f16 v45, v87, v109, v45 op_sel:[0,1,0]
	v_pk_fma_f16 v48, v88, v109, v48 op_sel_hi:[1,0,1]
	s_delay_alu instid0(VALU_DEP_4) | instskip(NEXT) | instid1(VALU_DEP_4)
	v_pk_fma_f16 v44, v90, v110, v44 op_sel:[0,1,0]
	v_pk_fma_f16 v47, v89, v110, v47 op_sel_hi:[1,0,1]
	s_delay_alu instid0(VALU_DEP_4) | instskip(NEXT) | instid1(VALU_DEP_4)
	v_pk_fma_f16 v45, v89, v110, v45 op_sel:[0,1,0]
	v_pk_fma_f16 v48, v90, v110, v48 op_sel_hi:[1,0,1]
	ds_load_2addr_b64 v[87:90], v115 offset0:192 offset1:224
	s_waitcnt lgkmcnt(3)
	v_pk_fma_f16 v44, v104, v91, v44 op_sel:[0,1,0]
	v_pk_fma_f16 v47, v103, v91, v47 op_sel_hi:[1,0,1]
	v_pk_fma_f16 v45, v103, v91, v45 op_sel:[0,1,0]
	v_pk_fma_f16 v48, v104, v91, v48 op_sel_hi:[1,0,1]
	ds_load_b128 v[107:110], v57 offset:464
	v_pk_fma_f16 v44, v106, v92, v44 op_sel:[0,1,0]
	v_pk_fma_f16 v47, v105, v92, v47 op_sel_hi:[1,0,1]
	v_pk_fma_f16 v45, v105, v92, v45 op_sel:[0,1,0]
	v_pk_fma_f16 v48, v106, v92, v48 op_sel_hi:[1,0,1]
	ds_load_2addr_b64 v[103:106], v117 offset1:32
	s_waitcnt lgkmcnt(4)
	v_pk_fma_f16 v44, v96, v93, v44 op_sel:[0,1,0]
	v_pk_fma_f16 v47, v95, v93, v47 op_sel_hi:[1,0,1]
	v_pk_fma_f16 v45, v95, v93, v45 op_sel:[0,1,0]
	v_pk_fma_f16 v48, v96, v93, v48 op_sel_hi:[1,0,1]
	s_delay_alu instid0(VALU_DEP_4) | instskip(NEXT) | instid1(VALU_DEP_4)
	v_pk_fma_f16 v44, v98, v94, v44 op_sel:[0,1,0]
	v_pk_fma_f16 v47, v97, v94, v47 op_sel_hi:[1,0,1]
	s_delay_alu instid0(VALU_DEP_4) | instskip(NEXT) | instid1(VALU_DEP_4)
	v_pk_fma_f16 v45, v97, v94, v45 op_sel:[0,1,0]
	v_pk_fma_f16 v48, v98, v94, v48 op_sel_hi:[1,0,1]
	ds_load_b128 v[91:94], v57 offset:448
	s_waitcnt lgkmcnt(4)
	v_pk_fma_f16 v44, v100, v111, v44 op_sel:[0,1,0]
	v_pk_fma_f16 v47, v99, v111, v47 op_sel_hi:[1,0,1]
	v_pk_fma_f16 v45, v99, v111, v45 op_sel:[0,1,0]
	v_pk_fma_f16 v48, v100, v111, v48 op_sel_hi:[1,0,1]
	ds_load_2addr_b64 v[95:98], v117 offset0:64 offset1:96
	v_pk_fma_f16 v44, v102, v112, v44 op_sel:[0,1,0]
	v_pk_fma_f16 v47, v101, v112, v47 op_sel_hi:[1,0,1]
	v_pk_fma_f16 v45, v101, v112, v45 op_sel:[0,1,0]
	v_pk_fma_f16 v48, v102, v112, v48 op_sel_hi:[1,0,1]
	ds_load_2addr_b64 v[99:102], v117 offset0:128 offset1:160
	s_waitcnt lgkmcnt(5)
	v_pk_fma_f16 v44, v88, v113, v44 op_sel:[0,1,0]
	v_pk_fma_f16 v47, v87, v113, v47 op_sel_hi:[1,0,1]
	v_pk_fma_f16 v45, v87, v113, v45 op_sel:[0,1,0]
	v_pk_fma_f16 v48, v88, v113, v48 op_sel_hi:[1,0,1]
	ds_load_2addr_b64 v[85:88], v118 offset1:32
	v_pk_fma_f16 v44, v90, v114, v44 op_sel:[0,1,0]
	v_pk_fma_f16 v47, v89, v114, v47 op_sel_hi:[1,0,1]
	v_pk_fma_f16 v45, v89, v114, v45 op_sel:[0,1,0]
	v_pk_fma_f16 v48, v90, v114, v48 op_sel_hi:[1,0,1]
	s_waitcnt lgkmcnt(3)
	v_pk_fma_f16 v44, v104, v91, v44 op_sel:[0,1,0]
	v_pk_fma_f16 v47, v103, v91, v47 op_sel_hi:[1,0,1]
	v_pk_fma_f16 v45, v103, v91, v45 op_sel:[0,1,0]
	v_pk_fma_f16 v48, v104, v91, v48 op_sel_hi:[1,0,1]
	s_delay_alu instid0(VALU_DEP_4) | instskip(NEXT) | instid1(VALU_DEP_4)
	v_pk_fma_f16 v44, v106, v92, v44 op_sel:[0,1,0]
	v_pk_fma_f16 v47, v105, v92, v47 op_sel_hi:[1,0,1]
	s_delay_alu instid0(VALU_DEP_4) | instskip(NEXT) | instid1(VALU_DEP_4)
	v_pk_fma_f16 v45, v105, v92, v45 op_sel:[0,1,0]
	v_pk_fma_f16 v48, v106, v92, v48 op_sel_hi:[1,0,1]
	ds_load_2addr_b64 v[89:92], v118 offset0:64 offset1:96
	s_waitcnt lgkmcnt(3)
	v_pk_fma_f16 v44, v96, v93, v44 op_sel:[0,1,0]
	v_pk_fma_f16 v47, v95, v93, v47 op_sel_hi:[1,0,1]
	v_pk_fma_f16 v45, v95, v93, v45 op_sel:[0,1,0]
	v_pk_fma_f16 v48, v96, v93, v48 op_sel_hi:[1,0,1]
	s_delay_alu instid0(VALU_DEP_4) | instskip(NEXT) | instid1(VALU_DEP_4)
	v_pk_fma_f16 v44, v98, v94, v44 op_sel:[0,1,0]
	v_pk_fma_f16 v47, v97, v94, v47 op_sel_hi:[1,0,1]
	s_delay_alu instid0(VALU_DEP_4) | instskip(NEXT) | instid1(VALU_DEP_4)
	v_pk_fma_f16 v45, v97, v94, v45 op_sel:[0,1,0]
	v_pk_fma_f16 v48, v98, v94, v48 op_sel_hi:[1,0,1]
	ds_load_b128 v[93:96], v57 offset:480
	s_waitcnt lgkmcnt(3)
	v_pk_fma_f16 v44, v100, v107, v44 op_sel:[0,1,0]
	v_pk_fma_f16 v47, v99, v107, v47 op_sel_hi:[1,0,1]
	v_pk_fma_f16 v45, v99, v107, v45 op_sel:[0,1,0]
	v_pk_fma_f16 v48, v100, v107, v48 op_sel_hi:[1,0,1]
	ds_load_2addr_b64 v[97:100], v118 offset0:128 offset1:160
	v_pk_fma_f16 v44, v102, v108, v44 op_sel:[0,1,0]
	v_pk_fma_f16 v47, v101, v108, v47 op_sel_hi:[1,0,1]
	v_pk_fma_f16 v45, v101, v108, v45 op_sel:[0,1,0]
	v_pk_fma_f16 v48, v102, v108, v48 op_sel_hi:[1,0,1]
	ds_load_b128 v[101:104], v57 offset:496
	v_pk_fma_f16 v44, v82, v109, v44 op_sel:[0,1,0]
	v_pk_fma_f16 v47, v81, v109, v47 op_sel_hi:[1,0,1]
	v_pk_fma_f16 v45, v81, v109, v45 op_sel:[0,1,0]
	v_pk_fma_f16 v48, v82, v109, v48 op_sel_hi:[1,0,1]
	ds_load_2addr_b64 v[105:108], v118 offset0:192 offset1:224
	v_pk_fma_f16 v44, v84, v110, v44 op_sel:[0,1,0]
	v_pk_fma_f16 v47, v83, v110, v47 op_sel_hi:[1,0,1]
	v_pk_fma_f16 v45, v83, v110, v45 op_sel:[0,1,0]
	v_pk_fma_f16 v48, v84, v110, v48 op_sel_hi:[1,0,1]
	s_waitcnt lgkmcnt(0)
	v_pk_fma_f16 v44, v86, v93, v44 op_sel:[0,1,0]
	v_pk_fma_f16 v47, v85, v93, v47 op_sel_hi:[1,0,1]
	v_pk_fma_f16 v45, v85, v93, v45 op_sel:[0,1,0]
	v_pk_fma_f16 v48, v86, v93, v48 op_sel_hi:[1,0,1]
	s_barrier
	v_pk_fma_f16 v44, v88, v94, v44 op_sel:[0,1,0]
	v_pk_fma_f16 v47, v87, v94, v47 op_sel_hi:[1,0,1]
	v_pk_fma_f16 v45, v87, v94, v45 op_sel:[0,1,0]
	v_pk_fma_f16 v48, v88, v94, v48 op_sel_hi:[1,0,1]
	buffer_gl0_inv
	v_pk_fma_f16 v44, v90, v95, v44 op_sel:[0,1,0]
	v_pk_fma_f16 v47, v89, v95, v47 op_sel_hi:[1,0,1]
	v_pk_fma_f16 v45, v89, v95, v45 op_sel:[0,1,0]
	v_pk_fma_f16 v48, v90, v95, v48 op_sel_hi:[1,0,1]
	s_load_b32 s26, s[2:3], 0x4
	v_pk_fma_f16 v44, v92, v96, v44 op_sel:[0,1,0]
	v_pk_fma_f16 v47, v91, v96, v47 op_sel_hi:[1,0,1]
	v_pk_fma_f16 v45, v91, v96, v45 op_sel:[0,1,0]
	v_pk_fma_f16 v48, v92, v96, v48 op_sel_hi:[1,0,1]
	s_delay_alu instid0(VALU_DEP_4) | instskip(NEXT) | instid1(VALU_DEP_4)
	v_pk_fma_f16 v44, v98, v101, v44 op_sel:[0,1,0]
	v_pk_fma_f16 v47, v97, v101, v47 op_sel_hi:[1,0,1]
	s_delay_alu instid0(VALU_DEP_4) | instskip(NEXT) | instid1(VALU_DEP_4)
	;; [unrolled: 3-line block ×6, first 2 shown]
	v_pk_fma_f16 v45, v105, v103, v45 op_sel:[0,1,0]
	v_pk_fma_f16 v48, v106, v103, v48 op_sel_hi:[1,0,1]
	s_waitcnt lgkmcnt(0)
	s_lshl_b32 s26, s26, 7
	v_pk_fma_f16 v44, v108, v104, v44 op_sel:[0,1,0]
	v_pk_fma_f16 v47, v107, v104, v47 op_sel_hi:[1,0,1]
	v_pk_fma_f16 v45, v107, v104, v45 op_sel:[0,1,0]
	v_pk_fma_f16 v48, v108, v104, v48 op_sel_hi:[1,0,1]
	s_add_i32 s16, s26, s16
	s_delay_alu instid0(SALU_CYCLE_1)
	s_cmp_lt_i32 s16, s6
	s_cbranch_scc0 .LBB88_61
; %bb.57:                               ;   in Loop: Header=BB88_8 Depth=1
	v_dual_mov_b32 v80, v0 :: v_dual_mov_b32 v79, v1
	v_dual_mov_b32 v78, v51 :: v_dual_mov_b32 v77, v52
	s_branch .LBB88_8
.LBB88_58:                              ;   in Loop: Header=BB88_8 Depth=1
	v_mov_b32_e32 v87, 0
	v_cmp_ngt_f32_e64 s26, 0x3f200000, |v84|
                                        ; implicit-def: $vgpr93
	s_delay_alu instid0(VALU_DEP_1) | instskip(NEXT) | instid1(SALU_CYCLE_1)
	s_and_saveexec_b32 s27, s26
	s_xor_b32 s26, exec_lo, s27
	s_cbranch_execz .LBB88_15
	s_branch .LBB88_14
.LBB88_59:                              ;   in Loop: Header=BB88_8 Depth=1
	v_mov_b32_e32 v92, 0
	v_cmp_ngt_f32_e64 s26, 0x3f200000, |v52|
                                        ; implicit-def: $vgpr97
	s_delay_alu instid0(VALU_DEP_1) | instskip(NEXT) | instid1(SALU_CYCLE_1)
	s_and_saveexec_b32 s27, s26
	s_xor_b32 s26, exec_lo, s27
	s_cbranch_execz .LBB88_39
	s_branch .LBB88_38
.LBB88_60:
	s_mov_b32 s45, s44
	s_delay_alu instid0(SALU_CYCLE_1)
	v_dual_mov_b32 v0, s44 :: v_dual_mov_b32 v1, s45
	v_dual_mov_b32 v51, 0 :: v_dual_mov_b32 v48, 0
	;; [unrolled: 1-line block ×3, first 2 shown]
.LBB88_61:
	s_cmp_gt_i32 s42, s16
	s_cbranch_scc1 .LBB88_63
; %bb.62:
	v_mbcnt_lo_u32_b32 v2, -1, 0
	v_mov_b32_e32 v21, 32
	s_delay_alu instid0(VALU_DEP_2)
	v_xor_b32_e32 v19, 16, v2
	v_xor_b32_e32 v18, 8, v2
	;; [unrolled: 1-line block ×5, first 2 shown]
	s_cbranch_execz .LBB88_64
	s_branch .LBB88_137
.LBB88_63:
                                        ; implicit-def: $vgpr2
                                        ; implicit-def: $vgpr21
                                        ; implicit-def: $vgpr19
                                        ; implicit-def: $vgpr18
                                        ; implicit-def: $vgpr20
                                        ; implicit-def: $vgpr22
                                        ; implicit-def: $vgpr23
.LBB88_64:
	s_mov_b32 s44, 0
	s_mul_hi_i32 s3, s16, s8
	s_mov_b32 s45, s44
	s_mov_b32 s46, s44
	v_dual_mov_b32 v16, s44 :: v_dual_add_nc_u32 v7, v53, v36
	s_mul_i32 s2, s16, s8
	s_sub_i32 s20, s42, s16
	s_lshl_b64 s[2:3], s[2:3], 2
	s_delay_alu instid0(VALU_DEP_1)
	v_mul_lo_u32 v8, s8, v7
	s_add_u32 s9, s4, s2
	s_mov_b64 s[10:11], src_private_base
	v_dual_mov_b32 v15, 0 :: v_dual_lshlrev_b32 v6, 2, v54
	s_addc_u32 s10, s5, s3
	v_cmp_gt_i32_e64 s2, s20, v7
	v_dual_mov_b32 v17, s45 :: v_dual_mov_b32 v18, s46
	s_delay_alu instid0(VALU_DEP_4)
	v_ashrrev_i32_e32 v9, 31, v8
	s_clause 0x1
	scratch_store_b32 off, v15, off
	scratch_store_b96 off, v[16:18], off offset:4
	s_lshl_b32 s12, s8, 4
	v_lshlrev_b64 v[2:3], 2, v[8:9]
	v_add_nc_u32_e32 v8, s12, v8
	v_mad_u32_u24 v22, 0x110, v7, v6
	v_mov_b32_e32 v24, 0
	s_delay_alu instid0(VALU_DEP_4) | instskip(SKIP_2) | instid1(VALU_DEP_3)
	v_add_co_u32 v2, vcc_lo, s9, v2
	v_add_co_ci_u32_e32 v3, vcc_lo, s10, v3, vcc_lo
	v_ashrrev_i32_e32 v9, 31, v8
	v_add_co_u32 v2, vcc_lo, v2, v6
	s_delay_alu instid0(VALU_DEP_3) | instskip(NEXT) | instid1(VALU_DEP_3)
	v_add_co_ci_u32_e32 v3, vcc_lo, 0, v3, vcc_lo
	v_lshlrev_b64 v[9:10], 2, v[8:9]
	s_delay_alu instid0(VALU_DEP_3) | instskip(NEXT) | instid1(VALU_DEP_3)
	v_cndmask_b32_e64 v2, 0, v2, s2
	v_cndmask_b32_e64 v3, s11, v3, s2
	s_delay_alu instid0(VALU_DEP_3) | instskip(SKIP_4) | instid1(VALU_DEP_3)
	v_add_co_u32 v11, vcc_lo, s9, v9
	flat_load_b128 v[2:5], v[2:3]
	v_add_co_ci_u32_e32 v10, vcc_lo, s10, v10, vcc_lo
	v_add_nc_u32_e32 v9, 16, v7
	v_add_co_u32 v12, vcc_lo, v11, v6
	v_add_co_ci_u32_e32 v10, vcc_lo, 0, v10, vcc_lo
	s_delay_alu instid0(VALU_DEP_3)
	v_cmp_gt_i32_e64 s3, s20, v9
	s_clause 0x1
	scratch_store_b32 off, v15, off
	scratch_store_b96 off, v[16:18], off offset:4
	v_cndmask_b32_e64 v11, s11, v10, s3
	v_cndmask_b32_e64 v10, 0, v12, s3
	s_waitcnt vmcnt(0) lgkmcnt(0)
	ds_store_b128 v22, v[2:5]
	flat_load_b128 v[2:5], v[10:11]
	v_add_nc_u32_e32 v11, s12, v8
	v_add_nc_u32_e32 v10, 32, v7
	s_clause 0x1
	scratch_store_b32 off, v15, off
	scratch_store_b96 off, v[16:18], off offset:4
	v_ashrrev_i32_e32 v12, 31, v11
	v_cmp_gt_i32_e64 s4, s20, v10
	s_delay_alu instid0(VALU_DEP_2) | instskip(NEXT) | instid1(VALU_DEP_1)
	v_lshlrev_b64 v[12:13], 2, v[11:12]
	v_add_co_u32 v8, vcc_lo, s9, v12
	s_delay_alu instid0(VALU_DEP_2) | instskip(NEXT) | instid1(VALU_DEP_2)
	v_add_co_ci_u32_e32 v12, vcc_lo, s10, v13, vcc_lo
	v_add_co_u32 v8, vcc_lo, v8, v6
	s_delay_alu instid0(VALU_DEP_2) | instskip(NEXT) | instid1(VALU_DEP_1)
	v_add_co_ci_u32_e32 v12, vcc_lo, 0, v12, vcc_lo
	v_cndmask_b32_e64 v13, s11, v12, s4
	s_delay_alu instid0(VALU_DEP_3)
	v_cndmask_b32_e64 v12, 0, v8, s4
	s_waitcnt vmcnt(0) lgkmcnt(0)
	ds_store_b128 v22, v[2:5] offset:4352
	flat_load_b128 v[2:5], v[12:13]
	v_add_nc_u32_e32 v12, s12, v11
	v_add_nc_u32_e32 v11, 48, v7
	s_clause 0x1
	scratch_store_b32 off, v15, off
	scratch_store_b96 off, v[16:18], off offset:4
	v_ashrrev_i32_e32 v13, 31, v12
	v_cmp_gt_i32_e64 s5, s20, v11
	s_delay_alu instid0(VALU_DEP_2) | instskip(NEXT) | instid1(VALU_DEP_1)
	v_lshlrev_b64 v[13:14], 2, v[12:13]
	v_add_co_u32 v8, vcc_lo, s9, v13
	s_delay_alu instid0(VALU_DEP_2) | instskip(NEXT) | instid1(VALU_DEP_2)
	v_add_co_ci_u32_e32 v13, vcc_lo, s10, v14, vcc_lo
	v_add_co_u32 v8, vcc_lo, v8, v6
	s_delay_alu instid0(VALU_DEP_2) | instskip(NEXT) | instid1(VALU_DEP_1)
	v_add_co_ci_u32_e32 v13, vcc_lo, 0, v13, vcc_lo
	v_cndmask_b32_e64 v14, s11, v13, s5
	s_delay_alu instid0(VALU_DEP_3)
	v_cndmask_b32_e64 v13, 0, v8, s5
	s_waitcnt vmcnt(0) lgkmcnt(0)
	ds_store_b128 v22, v[2:5] offset:8704
	flat_load_b128 v[2:5], v[13:14]
	v_add_nc_u32_e32 v13, s12, v12
	v_add_nc_u32_e32 v12, 64, v7
	s_clause 0x1
	scratch_store_b32 off, v15, off
	scratch_store_b96 off, v[16:18], off offset:4
	v_ashrrev_i32_e32 v14, 31, v13
	v_cmp_gt_i32_e64 s6, s20, v12
	s_delay_alu instid0(VALU_DEP_2) | instskip(NEXT) | instid1(VALU_DEP_1)
	v_lshlrev_b64 v[19:20], 2, v[13:14]
	v_add_co_u32 v8, vcc_lo, s9, v19
	s_delay_alu instid0(VALU_DEP_2) | instskip(NEXT) | instid1(VALU_DEP_2)
	v_add_co_ci_u32_e32 v14, vcc_lo, s10, v20, vcc_lo
	v_add_co_u32 v8, vcc_lo, v8, v6
	s_delay_alu instid0(VALU_DEP_2) | instskip(NEXT) | instid1(VALU_DEP_2)
	v_add_co_ci_u32_e32 v14, vcc_lo, 0, v14, vcc_lo
	v_cndmask_b32_e64 v19, 0, v8, s6
	s_delay_alu instid0(VALU_DEP_2)
	v_cndmask_b32_e64 v20, s11, v14, s6
	s_waitcnt vmcnt(0) lgkmcnt(0)
	ds_store_b128 v22, v[2:5] offset:13056
	flat_load_b128 v[2:5], v[19:20]
	v_add_nc_u32_e32 v19, s12, v13
	s_clause 0x1
	scratch_store_b32 off, v15, off
	scratch_store_b96 off, v[16:18], off offset:4
	v_ashrrev_i32_e32 v20, 31, v19
	s_delay_alu instid0(VALU_DEP_1) | instskip(SKIP_1) | instid1(VALU_DEP_2)
	v_lshlrev_b64 v[13:14], 2, v[19:20]
	v_add_nc_u32_e32 v19, s12, v19
	v_add_co_u32 v8, vcc_lo, s9, v13
	s_delay_alu instid0(VALU_DEP_3) | instskip(SKIP_1) | instid1(VALU_DEP_3)
	v_add_co_ci_u32_e32 v14, vcc_lo, s10, v14, vcc_lo
	v_add_nc_u32_e32 v13, 0x50, v7
	v_add_co_u32 v8, vcc_lo, v8, v6
	s_delay_alu instid0(VALU_DEP_3) | instskip(NEXT) | instid1(VALU_DEP_3)
	v_add_co_ci_u32_e32 v14, vcc_lo, 0, v14, vcc_lo
	v_cmp_gt_i32_e64 s7, s20, v13
	s_delay_alu instid0(VALU_DEP_1) | instskip(NEXT) | instid1(VALU_DEP_4)
	v_cndmask_b32_e64 v21, s11, v14, s7
	v_cndmask_b32_e64 v20, 0, v8, s7
	v_add_nc_u32_e32 v14, 0x60, v7
	s_delay_alu instid0(VALU_DEP_1)
	v_cmp_gt_i32_e64 s8, s20, v14
	s_waitcnt vmcnt(0) lgkmcnt(0)
	ds_store_b128 v22, v[2:5] offset:17408
	flat_load_b128 v[2:5], v[20:21]
	v_ashrrev_i32_e32 v20, 31, v19
	s_clause 0x1
	scratch_store_b32 off, v15, off
	scratch_store_b96 off, v[16:18], off offset:4
	v_lshlrev_b64 v[20:21], 2, v[19:20]
	v_add_nc_u32_e32 v19, s12, v19
	s_delay_alu instid0(VALU_DEP_2) | instskip(NEXT) | instid1(VALU_DEP_3)
	v_add_co_u32 v8, vcc_lo, s9, v20
	v_add_co_ci_u32_e32 v20, vcc_lo, s10, v21, vcc_lo
	s_delay_alu instid0(VALU_DEP_2) | instskip(NEXT) | instid1(VALU_DEP_2)
	v_add_co_u32 v8, vcc_lo, v8, v6
	v_add_co_ci_u32_e32 v20, vcc_lo, 0, v20, vcc_lo
	s_delay_alu instid0(VALU_DEP_1) | instskip(NEXT) | instid1(VALU_DEP_3)
	v_cndmask_b32_e64 v21, s11, v20, s8
	v_cndmask_b32_e64 v20, 0, v8, s8
	v_add_nc_u32_e32 v8, 0x70, v7
	s_waitcnt vmcnt(0) lgkmcnt(0)
	ds_store_b128 v22, v[2:5] offset:21760
	flat_load_b128 v[2:5], v[20:21]
	v_ashrrev_i32_e32 v20, 31, v19
	s_clause 0x1
	scratch_store_b32 off, v15, off
	scratch_store_b96 off, v[16:18], off offset:4
	v_dual_mov_b32 v18, 0 :: v_dual_mov_b32 v17, 0
	v_mov_b32_e32 v16, 0
	v_lshlrev_b64 v[19:20], 2, v[19:20]
	s_delay_alu instid0(VALU_DEP_1) | instskip(NEXT) | instid1(VALU_DEP_2)
	v_add_co_u32 v19, vcc_lo, s9, v19
	v_add_co_ci_u32_e32 v20, vcc_lo, s10, v20, vcc_lo
	v_cmp_gt_i32_e64 s9, s20, v8
	s_delay_alu instid0(VALU_DEP_3) | instskip(NEXT) | instid1(VALU_DEP_3)
	v_add_co_u32 v19, vcc_lo, v19, v6
	v_add_co_ci_u32_e32 v20, vcc_lo, 0, v20, vcc_lo
	s_delay_alu instid0(VALU_DEP_2) | instskip(NEXT) | instid1(VALU_DEP_2)
	v_cndmask_b32_e64 v19, 0, v19, s9
	v_cndmask_b32_e64 v20, s11, v20, s9
	s_waitcnt vmcnt(0) lgkmcnt(0)
	ds_store_b128 v22, v[2:5] offset:26112
	flat_load_b128 v[2:5], v[19:20]
	v_dual_mov_b32 v20, 0 :: v_dual_mov_b32 v19, 0
	s_waitcnt vmcnt(0) lgkmcnt(0)
	ds_store_b128 v22, v[2:5] offset:30464
	s_waitcnt lgkmcnt(0)
	s_waitcnt_vscnt null, 0x0
	s_barrier
	buffer_gl0_inv
	ds_load_b128 v[25:28], v50
	ds_load_b128 v[29:32], v41 offset:38912
	ds_load_b128 v[53:56], v41 offset:39168
	;; [unrolled: 1-line block ×3, first 2 shown]
	v_mov_b32_e32 v2, 0
	ds_load_b128 v[61:64], v50 offset:17408
	ds_load_b128 v[65:68], v50 offset:26112
                                        ; implicit-def: $vgpr3
	s_waitcnt lgkmcnt(4)
	;;#ASMSTART
	v_dot2_f32_f16 v2, v25, v29, v2
	;;#ASMEND
	;;#ASMSTART
	v_dot2_f32_f16 v2, v26, v30, v2
	;;#ASMEND
	;;#ASMSTART
	v_dot2_f32_f16 v2, v27, v31, v2
	;;#ASMEND
	;;#ASMSTART
	v_dot2_f32_f16 v2, v28, v32, v2
	;;#ASMEND
	s_waitcnt lgkmcnt(3)
	;;#ASMSTART
	v_dot2_f32_f16 v24, v25, v53, v24
	;;#ASMEND
	;;#ASMSTART
	v_dot2_f32_f16 v24, v26, v54, v24
	;;#ASMEND
	;;#ASMSTART
	v_dot2_f32_f16 v24, v27, v55, v24
	;;#ASMEND
	;;#ASMSTART
	v_dot2_f32_f16 v24, v28, v56, v24
	;;#ASMEND
	;; [unrolled: 13-line block ×3, first 2 shown]
	;;#ASMSTART
	v_dot2_f32_f16 v17, v57, v53, v17
	;;#ASMEND
	;;#ASMSTART
	v_dot2_f32_f16 v17, v58, v54, v17
	;;#ASMEND
	;; [unrolled: 3-line block ×4, first 2 shown]
	s_waitcnt lgkmcnt(1)
	;;#ASMSTART
	v_dot2_f32_f16 v19, v61, v29, v19
	;;#ASMEND
	;;#ASMSTART
	v_dot2_f32_f16 v19, v62, v30, v19
	;;#ASMEND
	;; [unrolled: 3-line block ×8, first 2 shown]
	s_waitcnt lgkmcnt(0)
	;;#ASMSTART
	v_dot2_f32_f16 v18, v65, v29, v18
	;;#ASMEND
	;;#ASMSTART
	v_dot2_f32_f16 v18, v66, v30, v18
	;;#ASMEND
	;; [unrolled: 3-line block ×8, first 2 shown]
	ds_load_b128 v[25:28], v50 offset:16
	ds_load_b128 v[29:32], v41 offset:38928
	;; [unrolled: 1-line block ×6, first 2 shown]
	s_waitcnt lgkmcnt(4)
	;;#ASMSTART
	v_dot2_f32_f16 v2, v25, v29, v2
	;;#ASMEND
	;;#ASMSTART
	v_dot2_f32_f16 v2, v26, v30, v2
	;;#ASMEND
	;;#ASMSTART
	v_dot2_f32_f16 v2, v27, v31, v2
	;;#ASMEND
	;;#ASMSTART
	v_dot2_f32_f16 v2, v28, v32, v2
	;;#ASMEND
	s_waitcnt lgkmcnt(3)
	;;#ASMSTART
	v_dot2_f32_f16 v24, v25, v53, v24
	;;#ASMEND
	;;#ASMSTART
	v_dot2_f32_f16 v24, v26, v54, v24
	;;#ASMEND
	;;#ASMSTART
	v_dot2_f32_f16 v24, v27, v55, v24
	;;#ASMEND
	;;#ASMSTART
	v_dot2_f32_f16 v24, v28, v56, v24
	;;#ASMEND
	;; [unrolled: 13-line block ×3, first 2 shown]
	;;#ASMSTART
	v_dot2_f32_f16 v17, v57, v53, v17
	;;#ASMEND
	;;#ASMSTART
	v_dot2_f32_f16 v17, v58, v54, v17
	;;#ASMEND
	;; [unrolled: 3-line block ×4, first 2 shown]
	s_waitcnt lgkmcnt(1)
	;;#ASMSTART
	v_dot2_f32_f16 v19, v61, v29, v19
	;;#ASMEND
	;;#ASMSTART
	v_dot2_f32_f16 v19, v62, v30, v19
	;;#ASMEND
	;; [unrolled: 3-line block ×8, first 2 shown]
	s_waitcnt lgkmcnt(0)
	;;#ASMSTART
	v_dot2_f32_f16 v18, v65, v29, v18
	;;#ASMEND
	;;#ASMSTART
	v_dot2_f32_f16 v18, v66, v30, v18
	;;#ASMEND
	;;#ASMSTART
	v_dot2_f32_f16 v18, v67, v31, v18
	;;#ASMEND
	;;#ASMSTART
	v_dot2_f32_f16 v18, v68, v32, v18
	;;#ASMEND
	;;#ASMSTART
	v_dot2_f32_f16 v15, v65, v53, v15
	;;#ASMEND
	;;#ASMSTART
	v_dot2_f32_f16 v15, v66, v54, v15
	;;#ASMEND
	;;#ASMSTART
	v_dot2_f32_f16 v15, v67, v55, v15
	;;#ASMEND
	;;#ASMSTART
	v_dot2_f32_f16 v15, v68, v56, v15
	;;#ASMEND
	ds_load_b128 v[25:28], v50 offset:32
	ds_load_b128 v[29:32], v41 offset:38944
	;; [unrolled: 1-line block ×6, first 2 shown]
	s_waitcnt lgkmcnt(4)
	;;#ASMSTART
	v_dot2_f32_f16 v2, v25, v29, v2
	;;#ASMEND
	;;#ASMSTART
	v_dot2_f32_f16 v2, v26, v30, v2
	;;#ASMEND
	;;#ASMSTART
	v_dot2_f32_f16 v2, v27, v31, v2
	;;#ASMEND
	;;#ASMSTART
	v_dot2_f32_f16 v2, v28, v32, v2
	;;#ASMEND
	s_waitcnt lgkmcnt(3)
	;;#ASMSTART
	v_dot2_f32_f16 v24, v25, v53, v24
	;;#ASMEND
	;;#ASMSTART
	v_dot2_f32_f16 v24, v26, v54, v24
	;;#ASMEND
	;;#ASMSTART
	v_dot2_f32_f16 v24, v27, v55, v24
	;;#ASMEND
	;;#ASMSTART
	v_dot2_f32_f16 v24, v28, v56, v24
	;;#ASMEND
	;; [unrolled: 13-line block ×3, first 2 shown]
	;;#ASMSTART
	v_dot2_f32_f16 v17, v57, v53, v17
	;;#ASMEND
	;;#ASMSTART
	v_dot2_f32_f16 v17, v58, v54, v17
	;;#ASMEND
	;; [unrolled: 3-line block ×4, first 2 shown]
	s_waitcnt lgkmcnt(1)
	;;#ASMSTART
	v_dot2_f32_f16 v19, v61, v29, v19
	;;#ASMEND
	;;#ASMSTART
	v_dot2_f32_f16 v19, v62, v30, v19
	;;#ASMEND
	;; [unrolled: 3-line block ×8, first 2 shown]
	s_waitcnt lgkmcnt(0)
	;;#ASMSTART
	v_dot2_f32_f16 v18, v65, v29, v18
	;;#ASMEND
	;;#ASMSTART
	v_dot2_f32_f16 v18, v66, v30, v18
	;;#ASMEND
	;; [unrolled: 3-line block ×8, first 2 shown]
	ds_load_b128 v[25:28], v50 offset:48
	ds_load_b128 v[29:32], v41 offset:38960
	;; [unrolled: 1-line block ×6, first 2 shown]
	s_waitcnt lgkmcnt(4)
	;;#ASMSTART
	v_dot2_f32_f16 v2, v25, v29, v2
	;;#ASMEND
	;;#ASMSTART
	v_dot2_f32_f16 v2, v26, v30, v2
	;;#ASMEND
	;;#ASMSTART
	v_dot2_f32_f16 v2, v27, v31, v2
	;;#ASMEND
	;;#ASMSTART
	v_dot2_f32_f16 v2, v28, v32, v2
	;;#ASMEND
	s_waitcnt lgkmcnt(3)
	;;#ASMSTART
	v_dot2_f32_f16 v24, v25, v53, v24
	;;#ASMEND
	;;#ASMSTART
	v_dot2_f32_f16 v24, v26, v54, v24
	;;#ASMEND
	;;#ASMSTART
	v_dot2_f32_f16 v24, v27, v55, v24
	;;#ASMEND
	;;#ASMSTART
	v_dot2_f32_f16 v24, v28, v56, v24
	;;#ASMEND
	;; [unrolled: 13-line block ×3, first 2 shown]
	;;#ASMSTART
	v_dot2_f32_f16 v17, v57, v53, v17
	;;#ASMEND
	;;#ASMSTART
	v_dot2_f32_f16 v17, v58, v54, v17
	;;#ASMEND
	;; [unrolled: 3-line block ×4, first 2 shown]
	s_waitcnt lgkmcnt(1)
	;;#ASMSTART
	v_dot2_f32_f16 v19, v61, v29, v19
	;;#ASMEND
	;;#ASMSTART
	v_dot2_f32_f16 v19, v62, v30, v19
	;;#ASMEND
	;; [unrolled: 3-line block ×8, first 2 shown]
	s_waitcnt lgkmcnt(0)
	;;#ASMSTART
	v_dot2_f32_f16 v18, v65, v29, v18
	;;#ASMEND
	;;#ASMSTART
	v_dot2_f32_f16 v18, v66, v30, v18
	;;#ASMEND
	;; [unrolled: 3-line block ×8, first 2 shown]
	ds_load_b128 v[25:28], v50 offset:64
	ds_load_b128 v[29:32], v41 offset:38976
	;; [unrolled: 1-line block ×6, first 2 shown]
	s_waitcnt lgkmcnt(4)
	;;#ASMSTART
	v_dot2_f32_f16 v2, v25, v29, v2
	;;#ASMEND
	;;#ASMSTART
	v_dot2_f32_f16 v2, v26, v30, v2
	;;#ASMEND
	;;#ASMSTART
	v_dot2_f32_f16 v2, v27, v31, v2
	;;#ASMEND
	;;#ASMSTART
	v_dot2_f32_f16 v2, v28, v32, v2
	;;#ASMEND
	s_waitcnt lgkmcnt(3)
	;;#ASMSTART
	v_dot2_f32_f16 v24, v25, v53, v24
	;;#ASMEND
	;;#ASMSTART
	v_dot2_f32_f16 v24, v26, v54, v24
	;;#ASMEND
	;;#ASMSTART
	v_dot2_f32_f16 v24, v27, v55, v24
	;;#ASMEND
	;;#ASMSTART
	v_dot2_f32_f16 v24, v28, v56, v24
	;;#ASMEND
	;; [unrolled: 13-line block ×3, first 2 shown]
	;;#ASMSTART
	v_dot2_f32_f16 v17, v57, v53, v17
	;;#ASMEND
	;;#ASMSTART
	v_dot2_f32_f16 v17, v58, v54, v17
	;;#ASMEND
	;;#ASMSTART
	v_dot2_f32_f16 v17, v59, v55, v17
	;;#ASMEND
	;;#ASMSTART
	v_dot2_f32_f16 v17, v60, v56, v17
	;;#ASMEND
	s_waitcnt lgkmcnt(1)
	;;#ASMSTART
	v_dot2_f32_f16 v19, v61, v29, v19
	;;#ASMEND
	;;#ASMSTART
	v_dot2_f32_f16 v19, v62, v30, v19
	;;#ASMEND
	;; [unrolled: 3-line block ×8, first 2 shown]
	s_waitcnt lgkmcnt(0)
	;;#ASMSTART
	v_dot2_f32_f16 v18, v65, v29, v18
	;;#ASMEND
	;;#ASMSTART
	v_dot2_f32_f16 v18, v66, v30, v18
	;;#ASMEND
	;; [unrolled: 3-line block ×8, first 2 shown]
	ds_load_b128 v[25:28], v50 offset:80
	ds_load_b128 v[29:32], v41 offset:38992
	;; [unrolled: 1-line block ×6, first 2 shown]
	s_waitcnt lgkmcnt(4)
	;;#ASMSTART
	v_dot2_f32_f16 v2, v25, v29, v2
	;;#ASMEND
	;;#ASMSTART
	v_dot2_f32_f16 v2, v26, v30, v2
	;;#ASMEND
	;;#ASMSTART
	v_dot2_f32_f16 v2, v27, v31, v2
	;;#ASMEND
	;;#ASMSTART
	v_dot2_f32_f16 v2, v28, v32, v2
	;;#ASMEND
	s_waitcnt lgkmcnt(3)
	;;#ASMSTART
	v_dot2_f32_f16 v24, v25, v53, v24
	;;#ASMEND
	;;#ASMSTART
	v_dot2_f32_f16 v24, v26, v54, v24
	;;#ASMEND
	;;#ASMSTART
	v_dot2_f32_f16 v24, v27, v55, v24
	;;#ASMEND
	;;#ASMSTART
	v_dot2_f32_f16 v24, v28, v56, v24
	;;#ASMEND
	;; [unrolled: 13-line block ×3, first 2 shown]
	;;#ASMSTART
	v_dot2_f32_f16 v17, v57, v53, v17
	;;#ASMEND
	;;#ASMSTART
	v_dot2_f32_f16 v17, v58, v54, v17
	;;#ASMEND
	;; [unrolled: 3-line block ×4, first 2 shown]
	s_waitcnt lgkmcnt(1)
	;;#ASMSTART
	v_dot2_f32_f16 v19, v61, v29, v19
	;;#ASMEND
	;;#ASMSTART
	v_dot2_f32_f16 v19, v62, v30, v19
	;;#ASMEND
	;; [unrolled: 3-line block ×8, first 2 shown]
	s_waitcnt lgkmcnt(0)
	;;#ASMSTART
	v_dot2_f32_f16 v18, v65, v29, v18
	;;#ASMEND
	;;#ASMSTART
	v_dot2_f32_f16 v18, v66, v30, v18
	;;#ASMEND
	;; [unrolled: 3-line block ×8, first 2 shown]
	ds_load_b128 v[25:28], v50 offset:96
	ds_load_b128 v[29:32], v41 offset:39008
	;; [unrolled: 1-line block ×6, first 2 shown]
	s_waitcnt lgkmcnt(4)
	;;#ASMSTART
	v_dot2_f32_f16 v2, v25, v29, v2
	;;#ASMEND
	;;#ASMSTART
	v_dot2_f32_f16 v2, v26, v30, v2
	;;#ASMEND
	;;#ASMSTART
	v_dot2_f32_f16 v2, v27, v31, v2
	;;#ASMEND
	;;#ASMSTART
	v_dot2_f32_f16 v2, v28, v32, v2
	;;#ASMEND
	s_waitcnt lgkmcnt(3)
	;;#ASMSTART
	v_dot2_f32_f16 v24, v25, v53, v24
	;;#ASMEND
	;;#ASMSTART
	v_dot2_f32_f16 v24, v26, v54, v24
	;;#ASMEND
	;;#ASMSTART
	v_dot2_f32_f16 v24, v27, v55, v24
	;;#ASMEND
	;;#ASMSTART
	v_dot2_f32_f16 v24, v28, v56, v24
	;;#ASMEND
	s_waitcnt lgkmcnt(2)
	;;#ASMSTART
	v_dot2_f32_f16 v20, v57, v29, v20
	;;#ASMEND
	;;#ASMSTART
	v_dot2_f32_f16 v20, v58, v30, v20
	;;#ASMEND
	;;#ASMSTART
	v_dot2_f32_f16 v20, v59, v31, v20
	;;#ASMEND
	;;#ASMSTART
	v_dot2_f32_f16 v20, v60, v32, v20
	;;#ASMEND
	;;#ASMSTART
	v_dot2_f32_f16 v17, v57, v53, v17
	;;#ASMEND
	;;#ASMSTART
	v_dot2_f32_f16 v17, v58, v54, v17
	;;#ASMEND
	;; [unrolled: 3-line block ×4, first 2 shown]
	s_waitcnt lgkmcnt(1)
	;;#ASMSTART
	v_dot2_f32_f16 v19, v61, v29, v19
	;;#ASMEND
	;;#ASMSTART
	v_dot2_f32_f16 v19, v62, v30, v19
	;;#ASMEND
	;; [unrolled: 3-line block ×8, first 2 shown]
	s_waitcnt lgkmcnt(0)
	;;#ASMSTART
	v_dot2_f32_f16 v18, v65, v29, v18
	;;#ASMEND
	;;#ASMSTART
	v_dot2_f32_f16 v18, v66, v30, v18
	;;#ASMEND
	;; [unrolled: 3-line block ×8, first 2 shown]
	ds_load_b128 v[25:28], v50 offset:112
	ds_load_b128 v[29:32], v41 offset:39024
	;; [unrolled: 1-line block ×6, first 2 shown]
	s_waitcnt lgkmcnt(4)
	;;#ASMSTART
	v_dot2_f32_f16 v2, v25, v29, v2
	;;#ASMEND
	;;#ASMSTART
	v_dot2_f32_f16 v2, v26, v30, v2
	;;#ASMEND
	;;#ASMSTART
	v_dot2_f32_f16 v2, v27, v31, v2
	;;#ASMEND
	;;#ASMSTART
	v_dot2_f32_f16 v2, v28, v32, v2
	;;#ASMEND
	s_waitcnt lgkmcnt(3)
	;;#ASMSTART
	v_dot2_f32_f16 v24, v25, v53, v24
	;;#ASMEND
	;;#ASMSTART
	v_dot2_f32_f16 v24, v26, v54, v24
	;;#ASMEND
	;;#ASMSTART
	v_dot2_f32_f16 v24, v27, v55, v24
	;;#ASMEND
	;;#ASMSTART
	v_dot2_f32_f16 v24, v28, v56, v24
	;;#ASMEND
	;; [unrolled: 13-line block ×3, first 2 shown]
	;;#ASMSTART
	v_dot2_f32_f16 v17, v57, v53, v17
	;;#ASMEND
	;;#ASMSTART
	v_dot2_f32_f16 v17, v58, v54, v17
	;;#ASMEND
	;; [unrolled: 3-line block ×4, first 2 shown]
	s_waitcnt lgkmcnt(1)
	;;#ASMSTART
	v_dot2_f32_f16 v19, v61, v29, v19
	;;#ASMEND
	;;#ASMSTART
	v_dot2_f32_f16 v19, v62, v30, v19
	;;#ASMEND
	;; [unrolled: 3-line block ×8, first 2 shown]
	s_waitcnt lgkmcnt(0)
	;;#ASMSTART
	v_dot2_f32_f16 v18, v65, v29, v18
	;;#ASMEND
	;;#ASMSTART
	v_dot2_f32_f16 v18, v66, v30, v18
	;;#ASMEND
	;; [unrolled: 3-line block ×8, first 2 shown]
	ds_load_b128 v[25:28], v50 offset:128
	ds_load_b128 v[29:32], v41 offset:39040
	;; [unrolled: 1-line block ×6, first 2 shown]
	s_waitcnt lgkmcnt(4)
	;;#ASMSTART
	v_dot2_f32_f16 v2, v25, v29, v2
	;;#ASMEND
	;;#ASMSTART
	v_dot2_f32_f16 v2, v26, v30, v2
	;;#ASMEND
	;;#ASMSTART
	v_dot2_f32_f16 v2, v27, v31, v2
	;;#ASMEND
	;;#ASMSTART
	v_dot2_f32_f16 v2, v28, v32, v2
	;;#ASMEND
	s_waitcnt lgkmcnt(3)
	;;#ASMSTART
	v_dot2_f32_f16 v24, v25, v53, v24
	;;#ASMEND
	;;#ASMSTART
	v_dot2_f32_f16 v24, v26, v54, v24
	;;#ASMEND
	;;#ASMSTART
	v_dot2_f32_f16 v24, v27, v55, v24
	;;#ASMEND
	;;#ASMSTART
	v_dot2_f32_f16 v24, v28, v56, v24
	;;#ASMEND
	s_waitcnt lgkmcnt(2)
	;;#ASMSTART
	v_dot2_f32_f16 v20, v57, v29, v20
	;;#ASMEND
	;;#ASMSTART
	v_dot2_f32_f16 v20, v58, v30, v20
	;;#ASMEND
	;;#ASMSTART
	v_dot2_f32_f16 v20, v59, v31, v20
	;;#ASMEND
	;;#ASMSTART
	v_dot2_f32_f16 v20, v60, v32, v20
	;;#ASMEND
	;;#ASMSTART
	v_dot2_f32_f16 v17, v57, v53, v17
	;;#ASMEND
	;;#ASMSTART
	v_dot2_f32_f16 v17, v58, v54, v17
	;;#ASMEND
	;; [unrolled: 3-line block ×4, first 2 shown]
	s_waitcnt lgkmcnt(1)
	;;#ASMSTART
	v_dot2_f32_f16 v19, v61, v29, v19
	;;#ASMEND
	;;#ASMSTART
	v_dot2_f32_f16 v19, v62, v30, v19
	;;#ASMEND
	;; [unrolled: 3-line block ×8, first 2 shown]
	s_waitcnt lgkmcnt(0)
	;;#ASMSTART
	v_dot2_f32_f16 v18, v65, v29, v18
	;;#ASMEND
	;;#ASMSTART
	v_dot2_f32_f16 v18, v66, v30, v18
	;;#ASMEND
	;; [unrolled: 3-line block ×8, first 2 shown]
	ds_load_b128 v[25:28], v50 offset:144
	ds_load_b128 v[29:32], v41 offset:39056
	;; [unrolled: 1-line block ×6, first 2 shown]
	s_waitcnt lgkmcnt(4)
	;;#ASMSTART
	v_dot2_f32_f16 v2, v25, v29, v2
	;;#ASMEND
	;;#ASMSTART
	v_dot2_f32_f16 v2, v26, v30, v2
	;;#ASMEND
	;;#ASMSTART
	v_dot2_f32_f16 v2, v27, v31, v2
	;;#ASMEND
	;;#ASMSTART
	v_dot2_f32_f16 v2, v28, v32, v2
	;;#ASMEND
	s_waitcnt lgkmcnt(3)
	;;#ASMSTART
	v_dot2_f32_f16 v24, v25, v53, v24
	;;#ASMEND
	;;#ASMSTART
	v_dot2_f32_f16 v24, v26, v54, v24
	;;#ASMEND
	;;#ASMSTART
	v_dot2_f32_f16 v24, v27, v55, v24
	;;#ASMEND
	;;#ASMSTART
	v_dot2_f32_f16 v24, v28, v56, v24
	;;#ASMEND
	;; [unrolled: 13-line block ×3, first 2 shown]
	;;#ASMSTART
	v_dot2_f32_f16 v17, v57, v53, v17
	;;#ASMEND
	;;#ASMSTART
	v_dot2_f32_f16 v17, v58, v54, v17
	;;#ASMEND
	;; [unrolled: 3-line block ×4, first 2 shown]
	s_waitcnt lgkmcnt(1)
	;;#ASMSTART
	v_dot2_f32_f16 v19, v61, v29, v19
	;;#ASMEND
	;;#ASMSTART
	v_dot2_f32_f16 v19, v62, v30, v19
	;;#ASMEND
	;; [unrolled: 3-line block ×8, first 2 shown]
	s_waitcnt lgkmcnt(0)
	;;#ASMSTART
	v_dot2_f32_f16 v18, v65, v29, v18
	;;#ASMEND
	;;#ASMSTART
	v_dot2_f32_f16 v18, v66, v30, v18
	;;#ASMEND
	;; [unrolled: 3-line block ×8, first 2 shown]
	ds_load_b128 v[25:28], v50 offset:160
	ds_load_b128 v[29:32], v41 offset:39072
	;; [unrolled: 1-line block ×6, first 2 shown]
	s_waitcnt lgkmcnt(4)
	;;#ASMSTART
	v_dot2_f32_f16 v2, v25, v29, v2
	;;#ASMEND
	;;#ASMSTART
	v_dot2_f32_f16 v2, v26, v30, v2
	;;#ASMEND
	;;#ASMSTART
	v_dot2_f32_f16 v2, v27, v31, v2
	;;#ASMEND
	;;#ASMSTART
	v_dot2_f32_f16 v2, v28, v32, v2
	;;#ASMEND
	s_waitcnt lgkmcnt(3)
	;;#ASMSTART
	v_dot2_f32_f16 v24, v25, v53, v24
	;;#ASMEND
	;;#ASMSTART
	v_dot2_f32_f16 v24, v26, v54, v24
	;;#ASMEND
	;;#ASMSTART
	v_dot2_f32_f16 v24, v27, v55, v24
	;;#ASMEND
	;;#ASMSTART
	v_dot2_f32_f16 v24, v28, v56, v24
	;;#ASMEND
	;; [unrolled: 13-line block ×3, first 2 shown]
	;;#ASMSTART
	v_dot2_f32_f16 v17, v57, v53, v17
	;;#ASMEND
	;;#ASMSTART
	v_dot2_f32_f16 v17, v58, v54, v17
	;;#ASMEND
	;; [unrolled: 3-line block ×4, first 2 shown]
	s_waitcnt lgkmcnt(1)
	;;#ASMSTART
	v_dot2_f32_f16 v19, v61, v29, v19
	;;#ASMEND
	;;#ASMSTART
	v_dot2_f32_f16 v19, v62, v30, v19
	;;#ASMEND
	;; [unrolled: 3-line block ×8, first 2 shown]
	s_waitcnt lgkmcnt(0)
	;;#ASMSTART
	v_dot2_f32_f16 v18, v65, v29, v18
	;;#ASMEND
	;;#ASMSTART
	v_dot2_f32_f16 v18, v66, v30, v18
	;;#ASMEND
	;; [unrolled: 3-line block ×8, first 2 shown]
	ds_load_b128 v[25:28], v50 offset:176
	ds_load_b128 v[29:32], v41 offset:39088
	;; [unrolled: 1-line block ×6, first 2 shown]
	s_waitcnt lgkmcnt(4)
	;;#ASMSTART
	v_dot2_f32_f16 v2, v25, v29, v2
	;;#ASMEND
	;;#ASMSTART
	v_dot2_f32_f16 v2, v26, v30, v2
	;;#ASMEND
	;;#ASMSTART
	v_dot2_f32_f16 v2, v27, v31, v2
	;;#ASMEND
	;;#ASMSTART
	v_dot2_f32_f16 v2, v28, v32, v2
	;;#ASMEND
	s_waitcnt lgkmcnt(3)
	;;#ASMSTART
	v_dot2_f32_f16 v24, v25, v53, v24
	;;#ASMEND
	;;#ASMSTART
	v_dot2_f32_f16 v24, v26, v54, v24
	;;#ASMEND
	;;#ASMSTART
	v_dot2_f32_f16 v24, v27, v55, v24
	;;#ASMEND
	;;#ASMSTART
	v_dot2_f32_f16 v24, v28, v56, v24
	;;#ASMEND
	;; [unrolled: 13-line block ×3, first 2 shown]
	;;#ASMSTART
	v_dot2_f32_f16 v17, v57, v53, v17
	;;#ASMEND
	;;#ASMSTART
	v_dot2_f32_f16 v17, v58, v54, v17
	;;#ASMEND
	;; [unrolled: 3-line block ×4, first 2 shown]
	s_waitcnt lgkmcnt(1)
	;;#ASMSTART
	v_dot2_f32_f16 v19, v61, v29, v19
	;;#ASMEND
	;;#ASMSTART
	v_dot2_f32_f16 v19, v62, v30, v19
	;;#ASMEND
	;; [unrolled: 3-line block ×8, first 2 shown]
	s_waitcnt lgkmcnt(0)
	;;#ASMSTART
	v_dot2_f32_f16 v18, v65, v29, v18
	;;#ASMEND
	;;#ASMSTART
	v_dot2_f32_f16 v18, v66, v30, v18
	;;#ASMEND
	;; [unrolled: 3-line block ×8, first 2 shown]
	ds_load_b128 v[25:28], v50 offset:192
	ds_load_b128 v[29:32], v41 offset:39104
	;; [unrolled: 1-line block ×6, first 2 shown]
	s_waitcnt lgkmcnt(4)
	;;#ASMSTART
	v_dot2_f32_f16 v2, v25, v29, v2
	;;#ASMEND
	;;#ASMSTART
	v_dot2_f32_f16 v2, v26, v30, v2
	;;#ASMEND
	;;#ASMSTART
	v_dot2_f32_f16 v2, v27, v31, v2
	;;#ASMEND
	;;#ASMSTART
	v_dot2_f32_f16 v2, v28, v32, v2
	;;#ASMEND
	s_waitcnt lgkmcnt(3)
	;;#ASMSTART
	v_dot2_f32_f16 v24, v25, v53, v24
	;;#ASMEND
	;;#ASMSTART
	v_dot2_f32_f16 v24, v26, v54, v24
	;;#ASMEND
	;;#ASMSTART
	v_dot2_f32_f16 v24, v27, v55, v24
	;;#ASMEND
	;;#ASMSTART
	v_dot2_f32_f16 v24, v28, v56, v24
	;;#ASMEND
	;; [unrolled: 13-line block ×3, first 2 shown]
	;;#ASMSTART
	v_dot2_f32_f16 v17, v57, v53, v17
	;;#ASMEND
	;;#ASMSTART
	v_dot2_f32_f16 v17, v58, v54, v17
	;;#ASMEND
	;; [unrolled: 3-line block ×4, first 2 shown]
	s_waitcnt lgkmcnt(1)
	;;#ASMSTART
	v_dot2_f32_f16 v19, v61, v29, v19
	;;#ASMEND
	;;#ASMSTART
	v_dot2_f32_f16 v19, v62, v30, v19
	;;#ASMEND
	;; [unrolled: 3-line block ×8, first 2 shown]
	s_waitcnt lgkmcnt(0)
	;;#ASMSTART
	v_dot2_f32_f16 v18, v65, v29, v18
	;;#ASMEND
	;;#ASMSTART
	v_dot2_f32_f16 v18, v66, v30, v18
	;;#ASMEND
	;; [unrolled: 3-line block ×8, first 2 shown]
	ds_load_b128 v[25:28], v50 offset:208
	ds_load_b128 v[29:32], v41 offset:39120
	;; [unrolled: 1-line block ×6, first 2 shown]
	s_waitcnt lgkmcnt(4)
	;;#ASMSTART
	v_dot2_f32_f16 v2, v25, v29, v2
	;;#ASMEND
	;;#ASMSTART
	v_dot2_f32_f16 v2, v26, v30, v2
	;;#ASMEND
	;;#ASMSTART
	v_dot2_f32_f16 v2, v27, v31, v2
	;;#ASMEND
	;;#ASMSTART
	v_dot2_f32_f16 v2, v28, v32, v2
	;;#ASMEND
	s_waitcnt lgkmcnt(3)
	;;#ASMSTART
	v_dot2_f32_f16 v24, v25, v53, v24
	;;#ASMEND
	;;#ASMSTART
	v_dot2_f32_f16 v24, v26, v54, v24
	;;#ASMEND
	;;#ASMSTART
	v_dot2_f32_f16 v24, v27, v55, v24
	;;#ASMEND
	;;#ASMSTART
	v_dot2_f32_f16 v24, v28, v56, v24
	;;#ASMEND
	;; [unrolled: 13-line block ×3, first 2 shown]
	;;#ASMSTART
	v_dot2_f32_f16 v17, v57, v53, v17
	;;#ASMEND
	;;#ASMSTART
	v_dot2_f32_f16 v17, v58, v54, v17
	;;#ASMEND
	;; [unrolled: 3-line block ×4, first 2 shown]
	s_waitcnt lgkmcnt(1)
	;;#ASMSTART
	v_dot2_f32_f16 v19, v61, v29, v19
	;;#ASMEND
	;;#ASMSTART
	v_dot2_f32_f16 v19, v62, v30, v19
	;;#ASMEND
	;; [unrolled: 3-line block ×8, first 2 shown]
	s_waitcnt lgkmcnt(0)
	;;#ASMSTART
	v_dot2_f32_f16 v18, v65, v29, v18
	;;#ASMEND
	;;#ASMSTART
	v_dot2_f32_f16 v18, v66, v30, v18
	;;#ASMEND
	;;#ASMSTART
	v_dot2_f32_f16 v18, v67, v31, v18
	;;#ASMEND
	;;#ASMSTART
	v_dot2_f32_f16 v18, v68, v32, v18
	;;#ASMEND
	;;#ASMSTART
	v_dot2_f32_f16 v15, v65, v53, v15
	;;#ASMEND
	;;#ASMSTART
	v_dot2_f32_f16 v15, v66, v54, v15
	;;#ASMEND
	;;#ASMSTART
	v_dot2_f32_f16 v15, v67, v55, v15
	;;#ASMEND
	;;#ASMSTART
	v_dot2_f32_f16 v15, v68, v56, v15
	;;#ASMEND
	ds_load_b128 v[25:28], v50 offset:224
	ds_load_b128 v[29:32], v41 offset:39136
	;; [unrolled: 1-line block ×6, first 2 shown]
	s_waitcnt lgkmcnt(4)
	;;#ASMSTART
	v_dot2_f32_f16 v2, v25, v29, v2
	;;#ASMEND
	;;#ASMSTART
	v_dot2_f32_f16 v2, v26, v30, v2
	;;#ASMEND
	;;#ASMSTART
	v_dot2_f32_f16 v2, v27, v31, v2
	;;#ASMEND
	;;#ASMSTART
	v_dot2_f32_f16 v2, v28, v32, v2
	;;#ASMEND
	s_waitcnt lgkmcnt(3)
	;;#ASMSTART
	v_dot2_f32_f16 v24, v25, v53, v24
	;;#ASMEND
	;;#ASMSTART
	v_dot2_f32_f16 v24, v26, v54, v24
	;;#ASMEND
	;;#ASMSTART
	v_dot2_f32_f16 v24, v27, v55, v24
	;;#ASMEND
	;;#ASMSTART
	v_dot2_f32_f16 v24, v28, v56, v24
	;;#ASMEND
	;; [unrolled: 13-line block ×3, first 2 shown]
	;;#ASMSTART
	v_dot2_f32_f16 v17, v57, v53, v17
	;;#ASMEND
	;;#ASMSTART
	v_dot2_f32_f16 v17, v58, v54, v17
	;;#ASMEND
	;; [unrolled: 3-line block ×4, first 2 shown]
	s_waitcnt lgkmcnt(1)
	;;#ASMSTART
	v_dot2_f32_f16 v19, v61, v29, v19
	;;#ASMEND
	;;#ASMSTART
	v_dot2_f32_f16 v19, v62, v30, v19
	;;#ASMEND
	;; [unrolled: 3-line block ×8, first 2 shown]
	s_waitcnt lgkmcnt(0)
	;;#ASMSTART
	v_dot2_f32_f16 v18, v65, v29, v18
	;;#ASMEND
	;;#ASMSTART
	v_dot2_f32_f16 v18, v66, v30, v18
	;;#ASMEND
	;;#ASMSTART
	v_dot2_f32_f16 v18, v67, v31, v18
	;;#ASMEND
	;;#ASMSTART
	v_dot2_f32_f16 v18, v68, v32, v18
	;;#ASMEND
	;;#ASMSTART
	v_dot2_f32_f16 v15, v65, v53, v15
	;;#ASMEND
	;;#ASMSTART
	v_dot2_f32_f16 v15, v66, v54, v15
	;;#ASMEND
	;;#ASMSTART
	v_dot2_f32_f16 v15, v67, v55, v15
	;;#ASMEND
	;;#ASMSTART
	v_dot2_f32_f16 v15, v68, v56, v15
	;;#ASMEND
	ds_load_b128 v[25:28], v50 offset:240
	ds_load_b128 v[29:32], v41 offset:39152
	;; [unrolled: 1-line block ×6, first 2 shown]
	s_waitcnt lgkmcnt(4)
	;;#ASMSTART
	v_dot2_f32_f16 v2, v25, v29, v2
	;;#ASMEND
	;;#ASMSTART
	v_dot2_f32_f16 v2, v26, v30, v2
	;;#ASMEND
	;;#ASMSTART
	v_dot2_f32_f16 v2, v27, v31, v2
	;;#ASMEND
	;;#ASMSTART
	v_dot2_f32_f16 v2, v28, v32, v2
	;;#ASMEND
	s_waitcnt lgkmcnt(3)
	;;#ASMSTART
	v_dot2_f32_f16 v24, v25, v53, v24
	;;#ASMEND
	;;#ASMSTART
	v_dot2_f32_f16 v24, v26, v54, v24
	;;#ASMEND
	;;#ASMSTART
	v_dot2_f32_f16 v24, v27, v55, v24
	;;#ASMEND
	;;#ASMSTART
	v_dot2_f32_f16 v24, v28, v56, v24
	;;#ASMEND
	;; [unrolled: 13-line block ×3, first 2 shown]
	;;#ASMSTART
	v_dot2_f32_f16 v17, v57, v53, v17
	;;#ASMEND
	;;#ASMSTART
	v_dot2_f32_f16 v17, v58, v54, v17
	;;#ASMEND
	;; [unrolled: 3-line block ×4, first 2 shown]
	s_waitcnt lgkmcnt(1)
	;;#ASMSTART
	v_dot2_f32_f16 v19, v61, v29, v19
	;;#ASMEND
	;;#ASMSTART
	v_dot2_f32_f16 v19, v62, v30, v19
	;;#ASMEND
	;; [unrolled: 3-line block ×8, first 2 shown]
	s_waitcnt lgkmcnt(0)
	;;#ASMSTART
	v_dot2_f32_f16 v18, v65, v29, v18
	;;#ASMEND
	v_cmp_ngt_f32_e64 s10, 0x3f200000, |v2|
	;;#ASMSTART
	v_dot2_f32_f16 v18, v66, v30, v18
	;;#ASMEND
	;;#ASMSTART
	v_dot2_f32_f16 v18, v67, v31, v18
	;;#ASMEND
	;; [unrolled: 3-line block ×7, first 2 shown]
	s_and_saveexec_b32 s11, s10
	s_delay_alu instid0(SALU_CYCLE_1)
	s_xor_b32 s10, exec_lo, s11
	s_cbranch_execz .LBB88_66
; %bb.65:
	v_add_f32_e64 v3, |v2|, |v2|
	s_delay_alu instid0(VALU_DEP_1) | instskip(SKIP_1) | instid1(VALU_DEP_2)
	v_mul_f32_e32 v4, 0x3fb8aa3b, v3
	v_cmp_ngt_f32_e32 vcc_lo, 0xc2ce8ed0, v3
	v_rndne_f32_e32 v5, v4
	v_fma_f32 v21, 0x3fb8aa3b, v3, -v4
	s_delay_alu instid0(VALU_DEP_1) | instskip(SKIP_1) | instid1(VALU_DEP_2)
	v_dual_sub_f32 v4, v4, v5 :: v_dual_fmamk_f32 v21, v3, 0x32a5705f, v21
	v_cvt_i32_f32_e32 v5, v5
	v_add_f32_e32 v4, v4, v21
	s_delay_alu instid0(VALU_DEP_1) | instskip(SKIP_2) | instid1(VALU_DEP_1)
	v_exp_f32_e32 v4, v4
	s_waitcnt_depctr 0xfff
	v_ldexp_f32 v4, v4, v5
	v_cndmask_b32_e32 v4, 0, v4, vcc_lo
	v_cmp_nlt_f32_e32 vcc_lo, 0x42b17218, v3
	s_delay_alu instid0(VALU_DEP_2) | instskip(NEXT) | instid1(VALU_DEP_1)
	v_cndmask_b32_e32 v3, 0x7f800000, v4, vcc_lo
	v_add_f32_e32 v3, 1.0, v3
	s_delay_alu instid0(VALU_DEP_1)
	v_rcp_f32_e32 v3, v3
	s_waitcnt_depctr 0xfff
	v_fma_f32 v3, v3, -2.0, 1.0
.LBB88_66:
	s_and_not1_saveexec_b32 s10, s10
; %bb.67:
	v_mul_f32_e32 v3, v2, v2
	s_mov_b32 s11, 0xbbbac73d
	s_delay_alu instid0(VALU_DEP_1) | instid1(SALU_CYCLE_1)
	v_fmaak_f32 v4, s11, v3, 0x3ca908c9
	s_delay_alu instid0(VALU_DEP_1) | instskip(NEXT) | instid1(VALU_DEP_1)
	v_fmaak_f32 v4, v3, v4, 0xbd5c1c4e
	v_fmaak_f32 v4, v3, v4, 0x3e088382
	s_delay_alu instid0(VALU_DEP_1) | instskip(NEXT) | instid1(VALU_DEP_1)
	v_fmaak_f32 v4, v3, v4, 0xbeaaaa99
	v_mul_f32_e64 v4, |v2|, v4
	s_delay_alu instid0(VALU_DEP_1)
	v_fma_f32 v3, v3, v4, |v2|
; %bb.68:
	s_or_b32 exec_lo, exec_lo, s10
	s_delay_alu instid0(VALU_DEP_1) | instskip(SKIP_3) | instid1(VALU_DEP_2)
	v_bfi_b32 v2, 0x7fffffff, v3, v2
	s_cmp_lg_u64 s[40:41], 0
	v_mad_u64_u32 v[4:5], null, v49, s17, s[16:17]
	s_cselect_b32 s12, -1, 0
	v_dual_mul_f32 v28, s23, v2 :: v_dual_mov_b32 v3, v1
	v_cmp_gt_i32_e64 s10, s20, v38
	v_cndmask_b32_e64 v29, 0, 1, s12
	v_mov_b32_e32 v2, v0
	s_delay_alu instid0(VALU_DEP_3)
	s_and_saveexec_b32 s11, s10
	s_cbranch_execz .LBB88_73
; %bb.69:
	s_and_not1_b32 vcc_lo, exec_lo, s12
	s_cbranch_vccnz .LBB88_71
; %bb.70:
	v_add_nc_u32_e32 v2, v4, v38
	s_delay_alu instid0(VALU_DEP_1) | instskip(NEXT) | instid1(VALU_DEP_1)
	v_ashrrev_i32_e32 v3, 31, v2
	v_lshlrev_b64 v[2:3], 1, v[2:3]
	s_delay_alu instid0(VALU_DEP_1) | instskip(NEXT) | instid1(VALU_DEP_2)
	v_add_co_u32 v2, vcc_lo, s40, v2
	v_add_co_ci_u32_e32 v3, vcc_lo, s41, v3, vcc_lo
	flat_load_u16 v2, v[2:3]
	s_waitcnt vmcnt(0) lgkmcnt(0)
	v_cvt_f32_f16_e32 v2, v2
	s_delay_alu instid0(VALU_DEP_1)
	v_mul_f32_e32 v2, v43, v2
	s_branch .LBB88_72
.LBB88_71:
	v_mov_b32_e32 v2, 0
.LBB88_72:
	s_delay_alu instid0(VALU_DEP_1) | instskip(SKIP_1) | instid1(VALU_DEP_2)
	v_add_f32_e32 v28, v28, v2
	v_max_f32_e32 v2, v0, v0
	v_add_f32_e32 v3, 0x40051340, v28
	s_delay_alu instid0(VALU_DEP_1)
	v_dual_max_f32 v2, v2, v3 :: v_dual_mov_b32 v3, v1
.LBB88_73:
	s_or_b32 exec_lo, exec_lo, s11
	v_cmp_ngt_f32_e64 s11, 0x3f200000, |v20|
                                        ; implicit-def: $vgpr5
	s_delay_alu instid0(VALU_DEP_1) | instskip(NEXT) | instid1(SALU_CYCLE_1)
	s_and_saveexec_b32 s12, s11
	s_xor_b32 s11, exec_lo, s12
	s_cbranch_execz .LBB88_75
; %bb.74:
	v_add_f32_e64 v5, |v20|, |v20|
	s_delay_alu instid0(VALU_DEP_1) | instskip(SKIP_1) | instid1(VALU_DEP_2)
	v_mul_f32_e32 v21, 0x3fb8aa3b, v5
	v_cmp_ngt_f32_e32 vcc_lo, 0xc2ce8ed0, v5
	v_rndne_f32_e32 v22, v21
	v_fma_f32 v23, 0x3fb8aa3b, v5, -v21
	s_delay_alu instid0(VALU_DEP_2) | instskip(NEXT) | instid1(VALU_DEP_2)
	v_sub_f32_e32 v21, v21, v22
	v_fmamk_f32 v23, v5, 0x32a5705f, v23
	v_cvt_i32_f32_e32 v22, v22
	s_delay_alu instid0(VALU_DEP_2) | instskip(NEXT) | instid1(VALU_DEP_1)
	v_add_f32_e32 v21, v21, v23
	v_exp_f32_e32 v21, v21
	s_waitcnt_depctr 0xfff
	v_ldexp_f32 v21, v21, v22
	s_delay_alu instid0(VALU_DEP_1) | instskip(SKIP_1) | instid1(VALU_DEP_2)
	v_cndmask_b32_e32 v21, 0, v21, vcc_lo
	v_cmp_nlt_f32_e32 vcc_lo, 0x42b17218, v5
	v_cndmask_b32_e32 v5, 0x7f800000, v21, vcc_lo
	s_delay_alu instid0(VALU_DEP_1) | instskip(NEXT) | instid1(VALU_DEP_1)
	v_add_f32_e32 v5, 1.0, v5
	v_rcp_f32_e32 v5, v5
	s_waitcnt_depctr 0xfff
	v_fma_f32 v5, v5, -2.0, 1.0
.LBB88_75:
	s_and_not1_saveexec_b32 s11, s11
; %bb.76:
	v_mul_f32_e32 v5, v20, v20
	s_mov_b32 s12, 0xbbbac73d
	s_delay_alu instid0(VALU_DEP_1) | instid1(SALU_CYCLE_1)
	v_fmaak_f32 v21, s12, v5, 0x3ca908c9
	s_delay_alu instid0(VALU_DEP_1) | instskip(NEXT) | instid1(VALU_DEP_1)
	v_fmaak_f32 v21, v5, v21, 0xbd5c1c4e
	v_fmaak_f32 v21, v5, v21, 0x3e088382
	s_delay_alu instid0(VALU_DEP_1) | instskip(NEXT) | instid1(VALU_DEP_1)
	v_fmaak_f32 v21, v5, v21, 0xbeaaaa99
	v_mul_f32_e64 v21, |v20|, v21
	s_delay_alu instid0(VALU_DEP_1)
	v_fma_f32 v5, v5, v21, |v20|
; %bb.77:
	s_or_b32 exec_lo, exec_lo, s11
	s_delay_alu instid0(VALU_DEP_1) | instskip(SKIP_1) | instid1(VALU_DEP_2)
	v_bfi_b32 v5, 0x7fffffff, v5, v20
	v_add_nc_u32_e32 v25, 32, v38
	v_mul_f32_e32 v31, s23, v5
	s_delay_alu instid0(VALU_DEP_2) | instskip(NEXT) | instid1(VALU_DEP_1)
	v_cmp_gt_i32_e64 s11, s20, v25
	s_and_saveexec_b32 s12, s11
	s_cbranch_execz .LBB88_82
; %bb.78:
	v_cmp_ne_u32_e32 vcc_lo, 1, v29
	s_cbranch_vccnz .LBB88_80
; %bb.79:
	v_ashrrev_i32_e32 v5, 31, v4
	v_add_co_u32 v20, vcc_lo, v4, v38
	s_delay_alu instid0(VALU_DEP_2) | instskip(NEXT) | instid1(VALU_DEP_1)
	v_add_co_ci_u32_e32 v21, vcc_lo, 0, v5, vcc_lo
	v_lshlrev_b64 v[20:21], 1, v[20:21]
	s_delay_alu instid0(VALU_DEP_1) | instskip(NEXT) | instid1(VALU_DEP_2)
	v_add_co_u32 v20, vcc_lo, s40, v20
	v_add_co_ci_u32_e32 v21, vcc_lo, s41, v21, vcc_lo
	flat_load_u16 v5, v[20:21] offset:64
	s_waitcnt vmcnt(0) lgkmcnt(0)
	v_cvt_f32_f16_e32 v5, v5
	s_delay_alu instid0(VALU_DEP_1)
	v_mul_f32_e32 v5, v43, v5
	s_branch .LBB88_81
.LBB88_80:
	v_mov_b32_e32 v5, 0
.LBB88_81:
	s_delay_alu instid0(VALU_DEP_1) | instskip(NEXT) | instid1(VALU_DEP_1)
	v_dual_add_f32 v31, v31, v5 :: v_dual_max_f32 v2, v2, v2
	v_add_f32_e32 v5, 0x40051340, v31
	s_delay_alu instid0(VALU_DEP_1)
	v_max_f32_e32 v2, v2, v5
.LBB88_82:
	s_or_b32 exec_lo, exec_lo, s12
	v_cmp_ngt_f32_e64 s12, 0x3f200000, |v19|
                                        ; implicit-def: $vgpr5
	s_delay_alu instid0(VALU_DEP_1) | instskip(NEXT) | instid1(SALU_CYCLE_1)
	s_and_saveexec_b32 s13, s12
	s_xor_b32 s12, exec_lo, s13
	s_cbranch_execz .LBB88_84
; %bb.83:
	v_add_f32_e64 v5, |v19|, |v19|
	s_delay_alu instid0(VALU_DEP_1) | instskip(SKIP_1) | instid1(VALU_DEP_2)
	v_mul_f32_e32 v20, 0x3fb8aa3b, v5
	v_cmp_ngt_f32_e32 vcc_lo, 0xc2ce8ed0, v5
	v_rndne_f32_e32 v21, v20
	v_fma_f32 v22, 0x3fb8aa3b, v5, -v20
	s_delay_alu instid0(VALU_DEP_2) | instskip(NEXT) | instid1(VALU_DEP_2)
	v_sub_f32_e32 v20, v20, v21
	v_fmamk_f32 v22, v5, 0x32a5705f, v22
	v_cvt_i32_f32_e32 v21, v21
	s_delay_alu instid0(VALU_DEP_2) | instskip(NEXT) | instid1(VALU_DEP_1)
	v_add_f32_e32 v20, v20, v22
	v_exp_f32_e32 v20, v20
	s_waitcnt_depctr 0xfff
	v_ldexp_f32 v20, v20, v21
	s_delay_alu instid0(VALU_DEP_1) | instskip(SKIP_1) | instid1(VALU_DEP_2)
	v_cndmask_b32_e32 v20, 0, v20, vcc_lo
	v_cmp_nlt_f32_e32 vcc_lo, 0x42b17218, v5
	v_cndmask_b32_e32 v5, 0x7f800000, v20, vcc_lo
	s_delay_alu instid0(VALU_DEP_1) | instskip(NEXT) | instid1(VALU_DEP_1)
	v_add_f32_e32 v5, 1.0, v5
	v_rcp_f32_e32 v5, v5
	s_waitcnt_depctr 0xfff
	v_fma_f32 v5, v5, -2.0, 1.0
.LBB88_84:
	s_and_not1_saveexec_b32 s12, s12
; %bb.85:
	v_mul_f32_e32 v5, v19, v19
	s_mov_b32 s13, 0xbbbac73d
	s_delay_alu instid0(VALU_DEP_1) | instid1(SALU_CYCLE_1)
	v_fmaak_f32 v20, s13, v5, 0x3ca908c9
	s_delay_alu instid0(VALU_DEP_1) | instskip(NEXT) | instid1(VALU_DEP_1)
	v_fmaak_f32 v20, v5, v20, 0xbd5c1c4e
	v_fmaak_f32 v20, v5, v20, 0x3e088382
	s_delay_alu instid0(VALU_DEP_1) | instskip(NEXT) | instid1(VALU_DEP_1)
	v_fmaak_f32 v20, v5, v20, 0xbeaaaa99
	v_mul_f32_e64 v20, |v19|, v20
	s_delay_alu instid0(VALU_DEP_1)
	v_fma_f32 v5, v5, v20, |v19|
; %bb.86:
	s_or_b32 exec_lo, exec_lo, s12
	s_delay_alu instid0(VALU_DEP_1) | instskip(NEXT) | instid1(VALU_DEP_1)
	v_bfi_b32 v5, 0x7fffffff, v5, v19
	v_dual_mul_f32 v33, s23, v5 :: v_dual_add_nc_u32 v26, 64, v38
	s_delay_alu instid0(VALU_DEP_1) | instskip(NEXT) | instid1(VALU_DEP_1)
	v_cmp_gt_i32_e64 s12, s20, v26
	s_and_saveexec_b32 s13, s12
	s_cbranch_execz .LBB88_91
; %bb.87:
	v_cmp_ne_u32_e32 vcc_lo, 1, v29
	s_cbranch_vccnz .LBB88_89
; %bb.88:
	v_ashrrev_i32_e32 v5, 31, v4
	v_add_co_u32 v19, vcc_lo, v4, v38
	s_delay_alu instid0(VALU_DEP_2) | instskip(NEXT) | instid1(VALU_DEP_1)
	v_add_co_ci_u32_e32 v20, vcc_lo, 0, v5, vcc_lo
	v_lshlrev_b64 v[19:20], 1, v[19:20]
	s_delay_alu instid0(VALU_DEP_1) | instskip(NEXT) | instid1(VALU_DEP_2)
	v_add_co_u32 v19, vcc_lo, s40, v19
	v_add_co_ci_u32_e32 v20, vcc_lo, s41, v20, vcc_lo
	flat_load_u16 v5, v[19:20] offset:128
	s_waitcnt vmcnt(0) lgkmcnt(0)
	v_cvt_f32_f16_e32 v5, v5
	s_delay_alu instid0(VALU_DEP_1)
	v_mul_f32_e32 v5, v43, v5
	s_branch .LBB88_90
.LBB88_89:
	v_mov_b32_e32 v5, 0
.LBB88_90:
	s_delay_alu instid0(VALU_DEP_1) | instskip(NEXT) | instid1(VALU_DEP_1)
	v_dual_add_f32 v33, v33, v5 :: v_dual_max_f32 v2, v2, v2
	v_add_f32_e32 v5, 0x40051340, v33
	s_delay_alu instid0(VALU_DEP_1)
	v_max_f32_e32 v2, v2, v5
.LBB88_91:
	s_or_b32 exec_lo, exec_lo, s13
	v_cmp_ngt_f32_e64 s13, 0x3f200000, |v18|
                                        ; implicit-def: $vgpr5
	s_delay_alu instid0(VALU_DEP_1) | instskip(NEXT) | instid1(SALU_CYCLE_1)
	s_and_saveexec_b32 s21, s13
	s_xor_b32 s13, exec_lo, s21
	s_cbranch_execz .LBB88_93
; %bb.92:
	v_add_f32_e64 v5, |v18|, |v18|
	s_delay_alu instid0(VALU_DEP_1) | instskip(SKIP_1) | instid1(VALU_DEP_2)
	v_mul_f32_e32 v19, 0x3fb8aa3b, v5
	v_cmp_ngt_f32_e32 vcc_lo, 0xc2ce8ed0, v5
	v_rndne_f32_e32 v20, v19
	v_fma_f32 v21, 0x3fb8aa3b, v5, -v19
	s_delay_alu instid0(VALU_DEP_2) | instskip(NEXT) | instid1(VALU_DEP_2)
	v_sub_f32_e32 v19, v19, v20
	v_fmamk_f32 v21, v5, 0x32a5705f, v21
	v_cvt_i32_f32_e32 v20, v20
	s_delay_alu instid0(VALU_DEP_2) | instskip(NEXT) | instid1(VALU_DEP_1)
	v_add_f32_e32 v19, v19, v21
	v_exp_f32_e32 v19, v19
	s_waitcnt_depctr 0xfff
	v_ldexp_f32 v19, v19, v20
	s_delay_alu instid0(VALU_DEP_1) | instskip(SKIP_1) | instid1(VALU_DEP_2)
	v_cndmask_b32_e32 v19, 0, v19, vcc_lo
	v_cmp_nlt_f32_e32 vcc_lo, 0x42b17218, v5
	v_cndmask_b32_e32 v5, 0x7f800000, v19, vcc_lo
	s_delay_alu instid0(VALU_DEP_1) | instskip(NEXT) | instid1(VALU_DEP_1)
	v_add_f32_e32 v5, 1.0, v5
	v_rcp_f32_e32 v5, v5
	s_waitcnt_depctr 0xfff
	v_fma_f32 v5, v5, -2.0, 1.0
.LBB88_93:
	s_and_not1_saveexec_b32 s13, s13
; %bb.94:
	v_mul_f32_e32 v5, v18, v18
	s_mov_b32 s21, 0xbbbac73d
	s_delay_alu instid0(VALU_DEP_1) | instid1(SALU_CYCLE_1)
	v_fmaak_f32 v19, s21, v5, 0x3ca908c9
	s_delay_alu instid0(VALU_DEP_1) | instskip(NEXT) | instid1(VALU_DEP_1)
	v_fmaak_f32 v19, v5, v19, 0xbd5c1c4e
	v_fmaak_f32 v19, v5, v19, 0x3e088382
	s_delay_alu instid0(VALU_DEP_1) | instskip(NEXT) | instid1(VALU_DEP_1)
	v_fmaak_f32 v19, v5, v19, 0xbeaaaa99
	v_mul_f32_e64 v19, |v18|, v19
	s_delay_alu instid0(VALU_DEP_1)
	v_fma_f32 v5, v5, v19, |v18|
; %bb.95:
	s_or_b32 exec_lo, exec_lo, s13
	s_delay_alu instid0(VALU_DEP_1) | instskip(SKIP_1) | instid1(VALU_DEP_2)
	v_bfi_b32 v5, 0x7fffffff, v5, v18
	v_add_nc_u32_e32 v27, 0x60, v38
	v_mul_f32_e32 v49, s23, v5
	s_delay_alu instid0(VALU_DEP_2) | instskip(NEXT) | instid1(VALU_DEP_1)
	v_cmp_gt_i32_e64 s13, s20, v27
	s_and_saveexec_b32 s21, s13
	s_cbranch_execz .LBB88_100
; %bb.96:
	v_cmp_ne_u32_e32 vcc_lo, 1, v29
	s_cbranch_vccnz .LBB88_98
; %bb.97:
	v_ashrrev_i32_e32 v5, 31, v4
	v_add_co_u32 v4, vcc_lo, v4, v38
	s_delay_alu instid0(VALU_DEP_2) | instskip(NEXT) | instid1(VALU_DEP_1)
	v_add_co_ci_u32_e32 v5, vcc_lo, 0, v5, vcc_lo
	v_lshlrev_b64 v[4:5], 1, v[4:5]
	s_delay_alu instid0(VALU_DEP_1) | instskip(NEXT) | instid1(VALU_DEP_2)
	v_add_co_u32 v4, vcc_lo, s40, v4
	v_add_co_ci_u32_e32 v5, vcc_lo, s41, v5, vcc_lo
	flat_load_u16 v4, v[4:5] offset:192
	s_waitcnt vmcnt(0) lgkmcnt(0)
	v_cvt_f32_f16_e32 v4, v4
	s_delay_alu instid0(VALU_DEP_1)
	v_mul_f32_e32 v4, v43, v4
	s_branch .LBB88_99
.LBB88_98:
	v_mov_b32_e32 v4, 0
.LBB88_99:
	s_delay_alu instid0(VALU_DEP_1) | instskip(NEXT) | instid1(VALU_DEP_1)
	v_dual_add_f32 v49, v49, v4 :: v_dual_max_f32 v2, v2, v2
	v_add_f32_e32 v4, 0x40051340, v49
	s_delay_alu instid0(VALU_DEP_1)
	v_max_f32_e32 v2, v2, v4
.LBB88_100:
	s_or_b32 exec_lo, exec_lo, s21
	v_xor_b32_e32 v19, 16, v40
	v_xor_b32_e32 v18, 8, v40
	;; [unrolled: 1-line block ×5, first 2 shown]
	v_cmp_gt_i32_e32 vcc_lo, 32, v19
	v_cmp_ngt_f32_e64 s21, 0x3f200000, |v24|
	v_dual_mov_b32 v21, 32 :: v_dual_cndmask_b32 v4, v40, v19
	v_cmp_gt_i32_e32 vcc_lo, 32, v18
	s_delay_alu instid0(VALU_DEP_2)
	v_lshlrev_b32_e32 v53, 2, v4
	ds_bpermute_b32 v4, v53, v2
	v_max_f32_e32 v2, v2, v2
	s_waitcnt lgkmcnt(0)
	v_max_f32_e32 v4, v4, v4
	v_cndmask_b32_e32 v5, v40, v18, vcc_lo
	v_cmp_gt_i32_e32 vcc_lo, 32, v20
	s_delay_alu instid0(VALU_DEP_3) | instskip(NEXT) | instid1(VALU_DEP_3)
	v_max_f32_e32 v2, v2, v4
	v_dual_cndmask_b32 v5, v40, v20 :: v_dual_lshlrev_b32 v54, 2, v5
	v_cmp_gt_i32_e32 vcc_lo, 32, v22
	ds_bpermute_b32 v4, v54, v2
	v_dual_cndmask_b32 v5, v40, v22 :: v_dual_lshlrev_b32 v50, 2, v5
	v_cmp_gt_i32_e32 vcc_lo, 32, v23
	s_delay_alu instid0(VALU_DEP_2) | instskip(NEXT) | instid1(VALU_DEP_1)
	v_dual_cndmask_b32 v5, v40, v23 :: v_dual_lshlrev_b32 v32, 2, v5
	v_lshlrev_b32_e32 v30, 2, v5
                                        ; implicit-def: $vgpr5
	s_waitcnt lgkmcnt(0)
	v_max_f32_e32 v4, v4, v4
	s_delay_alu instid0(VALU_DEP_1) | instskip(SKIP_3) | instid1(VALU_DEP_1)
	v_max_f32_e32 v2, v2, v4
	ds_bpermute_b32 v4, v50, v2
	s_waitcnt lgkmcnt(0)
	v_max_f32_e32 v4, v4, v4
	v_max_f32_e32 v2, v2, v4
	ds_bpermute_b32 v4, v32, v2
	s_waitcnt lgkmcnt(0)
	v_max_f32_e32 v4, v4, v4
	s_delay_alu instid0(VALU_DEP_1) | instskip(SKIP_2) | instid1(SALU_CYCLE_1)
	v_max_f32_e32 v2, v2, v4
	ds_bpermute_b32 v4, v30, v2
	s_and_saveexec_b32 s26, s21
	s_xor_b32 s21, exec_lo, s26
	s_cbranch_execz .LBB88_102
; %bb.101:
	v_add_f32_e64 v5, |v24|, |v24|
	s_delay_alu instid0(VALU_DEP_1) | instskip(SKIP_1) | instid1(VALU_DEP_2)
	v_mul_f32_e32 v55, 0x3fb8aa3b, v5
	v_cmp_ngt_f32_e32 vcc_lo, 0xc2ce8ed0, v5
	v_rndne_f32_e32 v56, v55
	v_fma_f32 v57, 0x3fb8aa3b, v5, -v55
	s_delay_alu instid0(VALU_DEP_2) | instskip(NEXT) | instid1(VALU_DEP_2)
	v_sub_f32_e32 v55, v55, v56
	v_fmamk_f32 v57, v5, 0x32a5705f, v57
	v_cvt_i32_f32_e32 v56, v56
	s_delay_alu instid0(VALU_DEP_2) | instskip(NEXT) | instid1(VALU_DEP_1)
	v_add_f32_e32 v55, v55, v57
	v_exp_f32_e32 v55, v55
	s_waitcnt_depctr 0xfff
	v_ldexp_f32 v55, v55, v56
	s_delay_alu instid0(VALU_DEP_1) | instskip(SKIP_1) | instid1(VALU_DEP_2)
	v_cndmask_b32_e32 v55, 0, v55, vcc_lo
	v_cmp_nlt_f32_e32 vcc_lo, 0x42b17218, v5
	v_cndmask_b32_e32 v5, 0x7f800000, v55, vcc_lo
	s_delay_alu instid0(VALU_DEP_1) | instskip(NEXT) | instid1(VALU_DEP_1)
	v_add_f32_e32 v5, 1.0, v5
	v_rcp_f32_e32 v5, v5
	s_waitcnt_depctr 0xfff
	v_fma_f32 v5, v5, -2.0, 1.0
.LBB88_102:
	s_and_not1_saveexec_b32 s21, s21
; %bb.103:
	v_mul_f32_e32 v5, v24, v24
	s_mov_b32 s26, 0xbbbac73d
	s_delay_alu instid0(VALU_DEP_1) | instid1(SALU_CYCLE_1)
	v_fmaak_f32 v55, s26, v5, 0x3ca908c9
	s_delay_alu instid0(VALU_DEP_1) | instskip(NEXT) | instid1(VALU_DEP_1)
	v_fmaak_f32 v55, v5, v55, 0xbd5c1c4e
	v_fmaak_f32 v55, v5, v55, 0x3e088382
	s_delay_alu instid0(VALU_DEP_1) | instskip(NEXT) | instid1(VALU_DEP_1)
	v_fmaak_f32 v55, v5, v55, 0xbeaaaa99
	v_mul_f32_e64 v55, |v24|, v55
	s_delay_alu instid0(VALU_DEP_1)
	v_fma_f32 v5, v5, v55, |v24|
; %bb.104:
	s_or_b32 exec_lo, exec_lo, s21
	v_mul_hi_u32 v55, s36, v46
	s_delay_alu instid0(VALU_DEP_2) | instskip(SKIP_1) | instid1(VALU_DEP_3)
	v_bfi_b32 v24, 0x7fffffff, v5, v24
	v_max_f32_e32 v2, v2, v2
	v_add_nc_u32_e32 v55, v46, v55
	s_delay_alu instid0(VALU_DEP_1) | instskip(NEXT) | instid1(VALU_DEP_1)
	v_lshrrev_b32_e32 v55, s37, v55
	v_mul_lo_u32 v55, v55, s38
	s_delay_alu instid0(VALU_DEP_1) | instskip(SKIP_2) | instid1(VALU_DEP_2)
	v_sub_nc_u32_e32 v46, v46, v55
	s_waitcnt lgkmcnt(0)
	v_max_f32_e32 v55, v4, v4
	v_mad_u64_u32 v[4:5], null, v46, s17, s[16:17]
	s_delay_alu instid0(VALU_DEP_2)
	v_dual_max_f32 v2, v2, v55 :: v_dual_mul_f32 v5, s23, v24
	s_and_saveexec_b32 s17, s10
	s_cbranch_execz .LBB88_109
; %bb.105:
	v_cmp_ne_u32_e32 vcc_lo, 1, v29
	s_cbranch_vccnz .LBB88_107
; %bb.106:
	s_delay_alu instid0(VALU_DEP_3) | instskip(NEXT) | instid1(VALU_DEP_1)
	v_add_nc_u32_e32 v55, v4, v38
	v_ashrrev_i32_e32 v56, 31, v55
	s_delay_alu instid0(VALU_DEP_1) | instskip(NEXT) | instid1(VALU_DEP_1)
	v_lshlrev_b64 v[55:56], 1, v[55:56]
	v_add_co_u32 v55, vcc_lo, s40, v55
	s_delay_alu instid0(VALU_DEP_2) | instskip(SKIP_3) | instid1(VALU_DEP_1)
	v_add_co_ci_u32_e32 v56, vcc_lo, s41, v56, vcc_lo
	flat_load_u16 v24, v[55:56]
	s_waitcnt vmcnt(0) lgkmcnt(0)
	v_cvt_f32_f16_e32 v24, v24
	v_mul_f32_e32 v24, v43, v24
	s_branch .LBB88_108
.LBB88_107:
	v_mov_b32_e32 v24, 0
.LBB88_108:
	s_delay_alu instid0(VALU_DEP_1) | instskip(NEXT) | instid1(VALU_DEP_1)
	v_add_f32_e32 v5, v5, v24
	v_dual_max_f32 v3, v3, v3 :: v_dual_add_f32 v24, 0x40051340, v5
	s_delay_alu instid0(VALU_DEP_1)
	v_max_f32_e32 v3, v3, v24
.LBB88_109:
	s_or_b32 exec_lo, exec_lo, s17
	v_cmp_ngt_f32_e64 s10, 0x3f200000, |v17|
                                        ; implicit-def: $vgpr24
	s_delay_alu instid0(VALU_DEP_1) | instskip(NEXT) | instid1(SALU_CYCLE_1)
	s_and_saveexec_b32 s17, s10
	s_xor_b32 s10, exec_lo, s17
	s_cbranch_execz .LBB88_111
; %bb.110:
	v_add_f32_e64 v24, |v17|, |v17|
	s_delay_alu instid0(VALU_DEP_1) | instskip(SKIP_1) | instid1(VALU_DEP_2)
	v_mul_f32_e32 v46, 0x3fb8aa3b, v24
	v_cmp_ngt_f32_e32 vcc_lo, 0xc2ce8ed0, v24
	v_rndne_f32_e32 v55, v46
	v_fma_f32 v56, 0x3fb8aa3b, v24, -v46
	s_delay_alu instid0(VALU_DEP_2) | instskip(NEXT) | instid1(VALU_DEP_2)
	v_sub_f32_e32 v46, v46, v55
	v_fmamk_f32 v56, v24, 0x32a5705f, v56
	v_cvt_i32_f32_e32 v55, v55
	s_delay_alu instid0(VALU_DEP_2) | instskip(NEXT) | instid1(VALU_DEP_1)
	v_add_f32_e32 v46, v46, v56
	v_exp_f32_e32 v46, v46
	s_waitcnt_depctr 0xfff
	v_ldexp_f32 v46, v46, v55
	s_delay_alu instid0(VALU_DEP_1) | instskip(SKIP_1) | instid1(VALU_DEP_2)
	v_cndmask_b32_e32 v46, 0, v46, vcc_lo
	v_cmp_nlt_f32_e32 vcc_lo, 0x42b17218, v24
	v_cndmask_b32_e32 v24, 0x7f800000, v46, vcc_lo
	s_delay_alu instid0(VALU_DEP_1) | instskip(NEXT) | instid1(VALU_DEP_1)
	v_add_f32_e32 v24, 1.0, v24
	v_rcp_f32_e32 v24, v24
	s_waitcnt_depctr 0xfff
	v_fma_f32 v24, v24, -2.0, 1.0
.LBB88_111:
	s_and_not1_saveexec_b32 s10, s10
; %bb.112:
	v_mul_f32_e32 v24, v17, v17
	s_mov_b32 s17, 0xbbbac73d
	s_delay_alu instid0(VALU_DEP_1) | instid1(SALU_CYCLE_1)
	v_fmaak_f32 v46, s17, v24, 0x3ca908c9
	s_delay_alu instid0(VALU_DEP_1) | instskip(NEXT) | instid1(VALU_DEP_1)
	v_fmaak_f32 v46, v24, v46, 0xbd5c1c4e
	v_fmaak_f32 v46, v24, v46, 0x3e088382
	s_delay_alu instid0(VALU_DEP_1) | instskip(NEXT) | instid1(VALU_DEP_1)
	v_fmaak_f32 v46, v24, v46, 0xbeaaaa99
	v_mul_f32_e64 v46, |v17|, v46
	s_delay_alu instid0(VALU_DEP_1)
	v_fma_f32 v24, v24, v46, |v17|
; %bb.113:
	s_or_b32 exec_lo, exec_lo, s10
	s_delay_alu instid0(VALU_DEP_1) | instskip(NEXT) | instid1(VALU_DEP_1)
	v_bfi_b32 v17, 0x7fffffff, v24, v17
	v_mul_f32_e32 v17, s23, v17
	s_and_saveexec_b32 s10, s11
	s_cbranch_execz .LBB88_118
; %bb.114:
	v_cmp_ne_u32_e32 vcc_lo, 1, v29
	s_cbranch_vccnz .LBB88_116
; %bb.115:
	v_ashrrev_i32_e32 v24, 31, v4
	v_add_co_u32 v55, vcc_lo, v4, v38
	s_delay_alu instid0(VALU_DEP_2) | instskip(NEXT) | instid1(VALU_DEP_1)
	v_add_co_ci_u32_e32 v56, vcc_lo, 0, v24, vcc_lo
	v_lshlrev_b64 v[55:56], 1, v[55:56]
	s_delay_alu instid0(VALU_DEP_1) | instskip(NEXT) | instid1(VALU_DEP_2)
	v_add_co_u32 v55, vcc_lo, s40, v55
	v_add_co_ci_u32_e32 v56, vcc_lo, s41, v56, vcc_lo
	flat_load_u16 v24, v[55:56] offset:64
	s_waitcnt vmcnt(0) lgkmcnt(0)
	v_cvt_f32_f16_e32 v24, v24
	s_delay_alu instid0(VALU_DEP_1)
	v_mul_f32_e32 v24, v43, v24
	s_branch .LBB88_117
.LBB88_116:
	v_mov_b32_e32 v24, 0
.LBB88_117:
	s_delay_alu instid0(VALU_DEP_1) | instskip(NEXT) | instid1(VALU_DEP_1)
	v_add_f32_e32 v17, v17, v24
	v_dual_max_f32 v3, v3, v3 :: v_dual_add_f32 v24, 0x40051340, v17
	s_delay_alu instid0(VALU_DEP_1)
	v_max_f32_e32 v3, v3, v24
.LBB88_118:
	s_or_b32 exec_lo, exec_lo, s10
	v_cmp_ngt_f32_e64 s10, 0x3f200000, |v16|
                                        ; implicit-def: $vgpr24
	s_delay_alu instid0(VALU_DEP_1) | instskip(NEXT) | instid1(SALU_CYCLE_1)
	s_and_saveexec_b32 s11, s10
	s_xor_b32 s10, exec_lo, s11
	s_cbranch_execz .LBB88_120
; %bb.119:
	v_add_f32_e64 v24, |v16|, |v16|
	s_delay_alu instid0(VALU_DEP_1) | instskip(SKIP_1) | instid1(VALU_DEP_2)
	v_mul_f32_e32 v46, 0x3fb8aa3b, v24
	v_cmp_ngt_f32_e32 vcc_lo, 0xc2ce8ed0, v24
	v_rndne_f32_e32 v55, v46
	v_fma_f32 v56, 0x3fb8aa3b, v24, -v46
	s_delay_alu instid0(VALU_DEP_2) | instskip(NEXT) | instid1(VALU_DEP_2)
	v_sub_f32_e32 v46, v46, v55
	v_fmamk_f32 v56, v24, 0x32a5705f, v56
	v_cvt_i32_f32_e32 v55, v55
	s_delay_alu instid0(VALU_DEP_2) | instskip(NEXT) | instid1(VALU_DEP_1)
	v_add_f32_e32 v46, v46, v56
	v_exp_f32_e32 v46, v46
	s_waitcnt_depctr 0xfff
	v_ldexp_f32 v46, v46, v55
	s_delay_alu instid0(VALU_DEP_1) | instskip(SKIP_1) | instid1(VALU_DEP_2)
	v_cndmask_b32_e32 v46, 0, v46, vcc_lo
	v_cmp_nlt_f32_e32 vcc_lo, 0x42b17218, v24
	v_cndmask_b32_e32 v24, 0x7f800000, v46, vcc_lo
	s_delay_alu instid0(VALU_DEP_1) | instskip(NEXT) | instid1(VALU_DEP_1)
	v_add_f32_e32 v24, 1.0, v24
	v_rcp_f32_e32 v24, v24
	s_waitcnt_depctr 0xfff
	v_fma_f32 v24, v24, -2.0, 1.0
.LBB88_120:
	s_and_not1_saveexec_b32 s10, s10
; %bb.121:
	v_mul_f32_e32 v24, v16, v16
	s_mov_b32 s11, 0xbbbac73d
	s_delay_alu instid0(VALU_DEP_1) | instid1(SALU_CYCLE_1)
	v_fmaak_f32 v46, s11, v24, 0x3ca908c9
	s_delay_alu instid0(VALU_DEP_1) | instskip(NEXT) | instid1(VALU_DEP_1)
	v_fmaak_f32 v46, v24, v46, 0xbd5c1c4e
	v_fmaak_f32 v46, v24, v46, 0x3e088382
	s_delay_alu instid0(VALU_DEP_1) | instskip(NEXT) | instid1(VALU_DEP_1)
	v_fmaak_f32 v46, v24, v46, 0xbeaaaa99
	v_mul_f32_e64 v46, |v16|, v46
	s_delay_alu instid0(VALU_DEP_1)
	v_fma_f32 v24, v24, v46, |v16|
; %bb.122:
	s_or_b32 exec_lo, exec_lo, s10
	s_delay_alu instid0(VALU_DEP_1) | instskip(NEXT) | instid1(VALU_DEP_1)
	v_bfi_b32 v16, 0x7fffffff, v24, v16
	v_mul_f32_e32 v16, s23, v16
	s_and_saveexec_b32 s10, s12
	s_cbranch_execz .LBB88_127
; %bb.123:
	v_cmp_ne_u32_e32 vcc_lo, 1, v29
	s_cbranch_vccnz .LBB88_125
; %bb.124:
	v_ashrrev_i32_e32 v24, 31, v4
	v_add_co_u32 v55, vcc_lo, v4, v38
	s_delay_alu instid0(VALU_DEP_2) | instskip(NEXT) | instid1(VALU_DEP_1)
	v_add_co_ci_u32_e32 v56, vcc_lo, 0, v24, vcc_lo
	v_lshlrev_b64 v[55:56], 1, v[55:56]
	s_delay_alu instid0(VALU_DEP_1) | instskip(NEXT) | instid1(VALU_DEP_2)
	v_add_co_u32 v55, vcc_lo, s40, v55
	v_add_co_ci_u32_e32 v56, vcc_lo, s41, v56, vcc_lo
	flat_load_u16 v24, v[55:56] offset:128
	s_waitcnt vmcnt(0) lgkmcnt(0)
	v_cvt_f32_f16_e32 v24, v24
	s_delay_alu instid0(VALU_DEP_1)
	v_mul_f32_e32 v24, v43, v24
	s_branch .LBB88_126
.LBB88_125:
	v_mov_b32_e32 v24, 0
.LBB88_126:
	s_delay_alu instid0(VALU_DEP_1) | instskip(NEXT) | instid1(VALU_DEP_1)
	v_dual_add_f32 v16, v16, v24 :: v_dual_max_f32 v3, v3, v3
	v_add_f32_e32 v24, 0x40051340, v16
	s_delay_alu instid0(VALU_DEP_1)
	v_max_f32_e32 v3, v3, v24
.LBB88_127:
	s_or_b32 exec_lo, exec_lo, s10
	v_cmp_ngt_f32_e64 s10, 0x3f200000, |v15|
                                        ; implicit-def: $vgpr24
	s_delay_alu instid0(VALU_DEP_1) | instskip(NEXT) | instid1(SALU_CYCLE_1)
	s_and_saveexec_b32 s11, s10
	s_xor_b32 s10, exec_lo, s11
	s_cbranch_execz .LBB88_129
; %bb.128:
	v_add_f32_e64 v24, |v15|, |v15|
	s_delay_alu instid0(VALU_DEP_1) | instskip(SKIP_1) | instid1(VALU_DEP_2)
	v_mul_f32_e32 v46, 0x3fb8aa3b, v24
	v_cmp_ngt_f32_e32 vcc_lo, 0xc2ce8ed0, v24
	v_rndne_f32_e32 v55, v46
	v_fma_f32 v56, 0x3fb8aa3b, v24, -v46
	s_delay_alu instid0(VALU_DEP_2) | instskip(NEXT) | instid1(VALU_DEP_2)
	v_sub_f32_e32 v46, v46, v55
	v_fmamk_f32 v56, v24, 0x32a5705f, v56
	v_cvt_i32_f32_e32 v55, v55
	s_delay_alu instid0(VALU_DEP_2) | instskip(NEXT) | instid1(VALU_DEP_1)
	v_add_f32_e32 v46, v46, v56
	v_exp_f32_e32 v46, v46
	s_waitcnt_depctr 0xfff
	v_ldexp_f32 v46, v46, v55
	s_delay_alu instid0(VALU_DEP_1) | instskip(SKIP_1) | instid1(VALU_DEP_2)
	v_cndmask_b32_e32 v46, 0, v46, vcc_lo
	v_cmp_nlt_f32_e32 vcc_lo, 0x42b17218, v24
	v_cndmask_b32_e32 v24, 0x7f800000, v46, vcc_lo
	s_delay_alu instid0(VALU_DEP_1) | instskip(NEXT) | instid1(VALU_DEP_1)
	v_add_f32_e32 v24, 1.0, v24
	v_rcp_f32_e32 v24, v24
	s_waitcnt_depctr 0xfff
	v_fma_f32 v24, v24, -2.0, 1.0
.LBB88_129:
	s_and_not1_saveexec_b32 s10, s10
; %bb.130:
	v_mul_f32_e32 v24, v15, v15
	s_mov_b32 s11, 0xbbbac73d
	s_delay_alu instid0(VALU_DEP_1) | instid1(SALU_CYCLE_1)
	v_fmaak_f32 v46, s11, v24, 0x3ca908c9
	s_delay_alu instid0(VALU_DEP_1) | instskip(NEXT) | instid1(VALU_DEP_1)
	v_fmaak_f32 v46, v24, v46, 0xbd5c1c4e
	v_fmaak_f32 v46, v24, v46, 0x3e088382
	s_delay_alu instid0(VALU_DEP_1) | instskip(NEXT) | instid1(VALU_DEP_1)
	v_fmaak_f32 v46, v24, v46, 0xbeaaaa99
	v_mul_f32_e64 v46, |v15|, v46
	s_delay_alu instid0(VALU_DEP_1)
	v_fma_f32 v24, v24, v46, |v15|
; %bb.131:
	s_or_b32 exec_lo, exec_lo, s10
	s_delay_alu instid0(VALU_DEP_1) | instskip(NEXT) | instid1(VALU_DEP_1)
	v_bfi_b32 v15, 0x7fffffff, v24, v15
	v_mul_f32_e32 v15, s23, v15
	s_and_saveexec_b32 s10, s13
	s_cbranch_execz .LBB88_136
; %bb.132:
	v_cmp_ne_u32_e32 vcc_lo, 1, v29
	s_cbranch_vccnz .LBB88_134
; %bb.133:
	v_ashrrev_i32_e32 v24, 31, v4
	v_add_co_u32 v55, vcc_lo, v4, v38
	s_delay_alu instid0(VALU_DEP_2) | instskip(NEXT) | instid1(VALU_DEP_1)
	v_add_co_ci_u32_e32 v56, vcc_lo, 0, v24, vcc_lo
	v_lshlrev_b64 v[55:56], 1, v[55:56]
	s_delay_alu instid0(VALU_DEP_1) | instskip(NEXT) | instid1(VALU_DEP_2)
	v_add_co_u32 v55, vcc_lo, s40, v55
	v_add_co_ci_u32_e32 v56, vcc_lo, s41, v56, vcc_lo
	flat_load_u16 v4, v[55:56] offset:192
	s_waitcnt vmcnt(0) lgkmcnt(0)
	v_cvt_f32_f16_e32 v4, v4
	s_delay_alu instid0(VALU_DEP_1)
	v_mul_f32_e32 v4, v43, v4
	s_branch .LBB88_135
.LBB88_134:
	v_mov_b32_e32 v4, 0
.LBB88_135:
	s_delay_alu instid0(VALU_DEP_1) | instskip(SKIP_1) | instid1(VALU_DEP_2)
	v_add_f32_e32 v15, v15, v4
	v_max_f32_e32 v3, v3, v3
	v_add_f32_e32 v4, 0x40051340, v15
	s_delay_alu instid0(VALU_DEP_1)
	v_max_f32_e32 v3, v3, v4
.LBB88_136:
	s_or_b32 exec_lo, exec_lo, s10
	ds_bpermute_b32 v4, v53, v3
	v_max_f32_e32 v3, v3, v3
	s_mov_b32 s40, 0
	s_mul_hi_i32 s11, s16, s22
	s_mov_b32 s41, s40
	s_mov_b32 s42, s40
	s_mul_i32 s10, s16, s22
	s_mov_b64 s[16:17], src_private_base
	s_lshl_b64 s[10:11], s[10:11], 2
	v_cmp_gt_u32_e64 s12, s20, v27
	s_add_u32 s16, s19, s10
	s_addc_u32 s18, s18, s11
	v_cmp_gt_u32_e64 s10, s20, v25
	v_cmp_gt_u32_e64 s11, s20, v26
	s_waitcnt lgkmcnt(0)
	s_barrier
	buffer_gl0_inv
	v_lshl_or_b32 v9, v9, 8, v6
	v_lshl_or_b32 v13, v13, 8, v6
	v_sub_f32_e32 v24, v28, v2
	v_max_f32_e32 v4, v4, v4
	v_sub_f32_e32 v28, v31, v2
	v_sub_f32_e32 v31, v49, v2
	v_mul_lo_u32 v49, s22, v7
	v_mul_f32_e32 v46, 0x3fb8aa3b, v24
	v_max_f32_e32 v3, v3, v4
	v_lshl_or_b32 v7, v7, 8, v6
	v_dual_mul_f32 v58, 0x3fb8aa3b, v31 :: v_dual_sub_f32 v29, v33, v2
	v_add_nc_u32_e32 v33, 0x8800, v41
	ds_bpermute_b32 v4, v54, v3
	v_mov_b32_e32 v55, s42
	v_dual_mov_b32 v43, 0 :: v_dual_mul_f32 v56, 0x3fb8aa3b, v28
	v_fma_f32 v63, 0x3fb8aa3b, v24, -v46
	v_rndne_f32_e32 v64, v46
	v_fma_f32 v69, 0x3fb8aa3b, v31, -v58
	v_rndne_f32_e32 v70, v58
	v_dual_mov_b32 v54, s41 :: v_dual_add_nc_u32 v59, v33, v37
	s_delay_alu instid0(VALU_DEP_4)
	v_sub_f32_e32 v46, v46, v64
	v_rndne_f32_e32 v66, v56
	v_fmac_f32_e32 v63, 0x32a5705f, v24
	v_fma_f32 v65, 0x3fb8aa3b, v28, -v56
	v_lshl_add_u32 v60, v25, 2, v33
	v_lshl_add_u32 v61, v26, 2, v33
	v_sub_f32_e32 v56, v56, v66
	s_delay_alu instid0(VALU_DEP_4)
	v_dual_sub_f32 v58, v58, v70 :: v_dual_fmac_f32 v65, 0x32a5705f, v28
	s_waitcnt lgkmcnt(0)
	v_dual_fmac_f32 v69, 0x32a5705f, v31 :: v_dual_max_f32 v4, v4, v4
	v_lshl_add_u32 v33, v27, 2, v33
	v_add_f32_e32 v46, v46, v63
	v_add_f32_e32 v56, v56, v65
	s_delay_alu instid0(VALU_DEP_4) | instskip(NEXT) | instid1(VALU_DEP_3)
	v_dual_add_f32 v58, v58, v69 :: v_dual_max_f32 v3, v3, v4
	v_exp_f32_e32 v46, v46
	s_delay_alu instid0(VALU_DEP_2) | instskip(NEXT) | instid1(VALU_DEP_1)
	v_exp_f32_e32 v56, v56
	v_exp_f32_e32 v58, v58
	ds_bpermute_b32 v4, v50, v3
	v_mov_b32_e32 v53, s40
	v_ashrrev_i32_e32 v50, 31, v49
	s_waitcnt lgkmcnt(0)
	v_dual_max_f32 v4, v4, v4 :: v_dual_mul_f32 v57, 0x3fb8aa3b, v29
	s_clause 0x1
	scratch_store_b32 off, v43, off
	scratch_store_b96 off, v[53:55], off offset:4
	v_max_f32_e32 v62, v3, v4
	v_rndne_f32_e32 v68, v57
	v_fma_f32 v67, 0x3fb8aa3b, v29, -v57
	v_lshlrev_b64 v[3:4], 2, v[49:50]
	v_cvt_i32_f32_e32 v50, v64
	ds_bpermute_b32 v32, v32, v62
	v_sub_f32_e32 v57, v57, v68
	v_fmac_f32_e32 v67, 0x32a5705f, v29
	v_cvt_i32_f32_e32 v64, v66
	v_add_co_u32 v3, vcc_lo, s16, v3
	v_add_co_ci_u32_e32 v4, vcc_lo, s18, v4, vcc_lo
	v_cvt_i32_f32_e32 v66, v68
	s_delay_alu instid0(VALU_DEP_3) | instskip(NEXT) | instid1(VALU_DEP_3)
	v_add_co_u32 v63, vcc_lo, v3, v6
	v_add_co_ci_u32_e32 v65, vcc_lo, 0, v4, vcc_lo
	v_ldexp_f32 v3, v46, v50
	v_cmp_ngt_f32_e32 vcc_lo, 0xc2ce8ed0, v24
	v_ldexp_f32 v4, v56, v64
	s_waitcnt lgkmcnt(0)
	s_delay_alu instid0(VALU_DEP_3) | instskip(SKIP_2) | instid1(VALU_DEP_3)
	v_dual_cndmask_b32 v3, 0, v3 :: v_dual_max_f32 v32, v32, v32
	v_add_f32_e32 v57, v57, v67
	v_cmp_ngt_f32_e32 vcc_lo, 0xc2ce8ed0, v28
	v_max_f32_e32 v32, v62, v32
	s_delay_alu instid0(VALU_DEP_3)
	v_exp_f32_e32 v57, v57
	v_cvt_i32_f32_e32 v62, v70
	ds_bpermute_b32 v30, v30, v32
	v_ldexp_f32 v50, v58, v62
	v_ldexp_f32 v46, v57, v66
	s_waitcnt lgkmcnt(0)
	v_max_f32_e32 v30, v30, v30
	v_cndmask_b32_e32 v4, 0, v4, vcc_lo
	v_cmp_ngt_f32_e32 vcc_lo, 0xc2ce8ed0, v29
	v_cndmask_b32_e32 v46, 0, v46, vcc_lo
	v_cmp_ngt_f32_e32 vcc_lo, 0xc2ce8ed0, v31
	v_cndmask_b32_e32 v50, 0, v50, vcc_lo
	v_cmp_nlt_f32_e32 vcc_lo, 0x42b17218, v24
	v_cndmask_b32_e32 v24, 0x7f800000, v3, vcc_lo
	v_cmp_nlt_f32_e32 vcc_lo, 0x42b17218, v28
	v_dual_max_f32 v3, v32, v30 :: v_dual_cndmask_b32 v4, 0x7f800000, v4
	v_cmp_nlt_f32_e32 vcc_lo, 0x42b17218, v29
	s_delay_alu instid0(VALU_DEP_2)
	v_sub_f32_e32 v5, v5, v3
	v_sub_f32_e32 v15, v15, v3
	;; [unrolled: 1-line block ×4, first 2 shown]
	v_cndmask_b32_e32 v28, 0x7f800000, v46, vcc_lo
	v_cmp_nlt_f32_e32 vcc_lo, 0x42b17218, v31
	v_mul_f32_e32 v17, 0x3fb8aa3b, v5
	v_cmp_ngt_f32_e64 s13, 0xc2ce8ed0, v5
	v_mul_f32_e32 v32, 0x3fb8aa3b, v15
	v_cndmask_b32_e64 v26, 0, v28, s11
	v_cndmask_b32_e32 v29, 0x7f800000, v50, vcc_lo
	v_cmp_gt_u32_e32 vcc_lo, s20, v38
	v_sub_f32_e32 v16, v16, v3
	v_fma_f32 v46, 0x3fb8aa3b, v5, -v17
	v_rndne_f32_e32 v50, v17
	v_fma_f32 v64, 0x3fb8aa3b, v15, -v32
	v_rndne_f32_e32 v66, v32
	v_mul_f32_e32 v31, 0x3fb8aa3b, v16
	s_delay_alu instid0(VALU_DEP_4) | instskip(NEXT) | instid1(VALU_DEP_4)
	v_dual_fmac_f32 v46, 0x32a5705f, v5 :: v_dual_sub_f32 v17, v17, v50
	v_fmac_f32_e32 v64, 0x32a5705f, v15
	s_delay_alu instid0(VALU_DEP_4) | instskip(NEXT) | instid1(VALU_DEP_4)
	v_sub_f32_e32 v32, v32, v66
	v_rndne_f32_e32 v62, v31
	v_fma_f32 v58, 0x3fb8aa3b, v16, -v31
	v_add_f32_e32 v28, v17, v46
	v_cndmask_b32_e64 v17, 0, v29, s12
	s_delay_alu instid0(VALU_DEP_4)
	v_dual_add_f32 v32, v32, v64 :: v_dual_sub_f32 v31, v31, v62
	v_cndmask_b32_e64 v25, 0, v4, s10
	v_mul_f32_e32 v4, 0x3fb8aa3b, v30
	v_fmac_f32_e32 v58, 0x32a5705f, v16
	v_exp_f32_e32 v27, v28
	v_cndmask_b32_e32 v24, 0, v24, vcc_lo
	v_exp_f32_e32 v29, v32
	v_fma_f32 v56, 0x3fb8aa3b, v30, -v4
	v_add_f32_e32 v31, v31, v58
	v_rndne_f32_e32 v57, v4
	v_cvt_i32_f32_e32 v32, v50
	v_cvt_i32_f32_e32 v50, v62
	v_fmac_f32_e32 v56, 0x32a5705f, v30
	v_exp_f32_e32 v28, v31
	v_sub_f32_e32 v4, v4, v57
	v_cvt_i32_f32_e32 v46, v57
	v_ldexp_f32 v27, v27, v32
	v_cvt_f16_f32_e32 v31, v24
	v_cvt_f16_f32_e32 v57, v25
	v_add_f32_e32 v4, v4, v56
	v_cvt_i32_f32_e32 v56, v66
	v_cndmask_b32_e64 v27, 0, v27, s13
	v_cmp_ngt_f32_e64 s13, 0xc2ce8ed0, v30
	v_ldexp_f32 v28, v28, v50
	v_exp_f32_e32 v4, v4
	v_ldexp_f32 v29, v29, v56
	v_add_f32_e32 v24, v24, v25
	s_waitcnt_depctr 0xfff
	v_ldexp_f32 v4, v4, v46
	s_delay_alu instid0(VALU_DEP_1) | instskip(SKIP_1) | instid1(VALU_DEP_1)
	v_cndmask_b32_e64 v4, 0, v4, s13
	v_cmp_ngt_f32_e64 s13, 0xc2ce8ed0, v16
	v_cndmask_b32_e64 v28, 0, v28, s13
	v_cmp_ngt_f32_e64 s13, 0xc2ce8ed0, v15
	s_delay_alu instid0(VALU_DEP_1) | instskip(SKIP_1) | instid1(VALU_DEP_1)
	v_cndmask_b32_e64 v29, 0, v29, s13
	v_cmp_nlt_f32_e64 s13, 0x42b17218, v5
	v_cndmask_b32_e64 v5, 0x7f800000, v27, s13
	v_cmp_nlt_f32_e64 s13, 0x42b17218, v30
	s_delay_alu instid0(VALU_DEP_1) | instskip(SKIP_1) | instid1(VALU_DEP_2)
	v_cndmask_b32_e64 v4, 0x7f800000, v4, s13
	v_cmp_nlt_f32_e64 s13, 0x42b17218, v16
	v_cndmask_b32_e64 v16, 0, v4, s10
	s_delay_alu instid0(VALU_DEP_2) | instskip(SKIP_2) | instid1(VALU_DEP_4)
	v_cndmask_b32_e64 v27, 0x7f800000, v28, s13
	v_cmp_nlt_f32_e64 s13, 0x42b17218, v15
	v_cndmask_b32_e32 v15, 0, v5, vcc_lo
	v_cvt_f16_f32_e32 v32, v16
	s_delay_alu instid0(VALU_DEP_4) | instskip(NEXT) | instid1(VALU_DEP_4)
	v_cndmask_b32_e64 v5, 0, v27, s11
	v_cndmask_b32_e64 v28, 0x7f800000, v29, s13
	s_delay_alu instid0(VALU_DEP_4)
	v_cvt_f16_f32_e32 v30, v15
	v_cvt_f16_f32_e32 v27, v17
	;; [unrolled: 1-line block ×4, first 2 shown]
	v_cndmask_b32_e64 v4, 0, v28, s12
	v_pack_b32_f16 v30, v31, v30
	v_cndmask_b32_e64 v28, s17, v65, s2
	v_pack_b32_f16 v31, v57, v32
	v_pack_b32_f16 v29, v29, v46
	v_cvt_f16_f32_e32 v50, v4
	s_delay_alu instid0(VALU_DEP_1)
	v_pack_b32_f16 v32, v27, v50
	v_cndmask_b32_e64 v27, 0, v63, s2
	ds_store_b32 v59, v30
	ds_store_b32 v60, v31
	;; [unrolled: 1-line block ×4, first 2 shown]
	s_lshl_b32 s2, s22, 4
	s_delay_alu instid0(SALU_CYCLE_1)
	v_add_nc_u32_e32 v31, s2, v49
	flat_load_b128 v[27:30], v[27:28]
	s_clause 0x1
	scratch_store_b32 off, v43, off
	scratch_store_b96 off, v[53:55], off offset:4
	v_ashrrev_i32_e32 v32, 31, v31
	s_delay_alu instid0(VALU_DEP_1) | instskip(SKIP_1) | instid1(VALU_DEP_2)
	v_lshlrev_b64 v[32:33], 2, v[31:32]
	v_add_nc_u32_e32 v31, s2, v31
	v_add_co_u32 v32, vcc_lo, s16, v32
	s_delay_alu instid0(VALU_DEP_3) | instskip(NEXT) | instid1(VALU_DEP_2)
	v_add_co_ci_u32_e32 v33, vcc_lo, s18, v33, vcc_lo
	v_add_co_u32 v32, vcc_lo, v32, v6
	s_delay_alu instid0(VALU_DEP_2) | instskip(NEXT) | instid1(VALU_DEP_2)
	v_add_co_ci_u32_e32 v33, vcc_lo, 0, v33, vcc_lo
	v_cndmask_b32_e64 v32, 0, v32, s3
	s_delay_alu instid0(VALU_DEP_2)
	v_cndmask_b32_e64 v33, s17, v33, s3
	s_waitcnt vmcnt(0) lgkmcnt(0)
	ds_store_b128 v7, v[27:30]
	flat_load_b128 v[27:30], v[32:33]
	v_ashrrev_i32_e32 v32, 31, v31
	s_clause 0x1
	scratch_store_b32 off, v43, off
	scratch_store_b96 off, v[53:55], off offset:4
	v_lshlrev_b64 v[32:33], 2, v[31:32]
	v_add_nc_u32_e32 v31, s2, v31
	s_delay_alu instid0(VALU_DEP_2) | instskip(NEXT) | instid1(VALU_DEP_3)
	v_add_co_u32 v7, vcc_lo, s16, v32
	v_add_co_ci_u32_e32 v32, vcc_lo, s18, v33, vcc_lo
	s_delay_alu instid0(VALU_DEP_2) | instskip(NEXT) | instid1(VALU_DEP_2)
	v_add_co_u32 v7, vcc_lo, v7, v6
	v_add_co_ci_u32_e32 v32, vcc_lo, 0, v32, vcc_lo
	s_delay_alu instid0(VALU_DEP_1) | instskip(NEXT) | instid1(VALU_DEP_3)
	v_cndmask_b32_e64 v33, s17, v32, s4
	v_cndmask_b32_e64 v32, 0, v7, s4
	s_waitcnt vmcnt(0) lgkmcnt(0)
	ds_store_b128 v9, v[27:30]
	flat_load_b128 v[27:30], v[32:33]
	v_ashrrev_i32_e32 v32, 31, v31
	s_clause 0x1
	scratch_store_b32 off, v43, off
	scratch_store_b96 off, v[53:55], off offset:4
	v_lshlrev_b64 v[32:33], 2, v[31:32]
	s_delay_alu instid0(VALU_DEP_1) | instskip(NEXT) | instid1(VALU_DEP_2)
	v_add_co_u32 v7, vcc_lo, s16, v32
	v_add_co_ci_u32_e32 v9, vcc_lo, s18, v33, vcc_lo
	v_lshl_or_b32 v32, v10, 8, v6
	s_delay_alu instid0(VALU_DEP_3) | instskip(NEXT) | instid1(VALU_DEP_3)
	v_add_co_u32 v7, vcc_lo, v7, v6
	v_add_co_ci_u32_e32 v9, vcc_lo, 0, v9, vcc_lo
	s_delay_alu instid0(VALU_DEP_1) | instskip(NEXT) | instid1(VALU_DEP_3)
	v_cndmask_b32_e64 v10, s17, v9, s5
	v_cndmask_b32_e64 v9, 0, v7, s5
	s_waitcnt vmcnt(0) lgkmcnt(0)
	ds_store_b128 v32, v[27:30]
	flat_load_b128 v[27:30], v[9:10]
	v_add_nc_u32_e32 v9, s2, v31
	s_clause 0x1
	scratch_store_b32 off, v43, off
	scratch_store_b96 off, v[53:55], off offset:4
	v_ashrrev_i32_e32 v10, 31, v9
	s_delay_alu instid0(VALU_DEP_1) | instskip(NEXT) | instid1(VALU_DEP_1)
	v_lshlrev_b64 v[31:32], 2, v[9:10]
	v_add_co_u32 v7, vcc_lo, s16, v31
	s_delay_alu instid0(VALU_DEP_2) | instskip(SKIP_1) | instid1(VALU_DEP_3)
	v_add_co_ci_u32_e32 v10, vcc_lo, s18, v32, vcc_lo
	v_lshl_or_b32 v31, v11, 8, v6
	v_add_co_u32 v7, vcc_lo, v7, v6
	s_delay_alu instid0(VALU_DEP_3) | instskip(NEXT) | instid1(VALU_DEP_1)
	v_add_co_ci_u32_e32 v10, vcc_lo, 0, v10, vcc_lo
	v_cndmask_b32_e64 v11, s17, v10, s6
	s_delay_alu instid0(VALU_DEP_3)
	v_cndmask_b32_e64 v10, 0, v7, s6
	s_waitcnt vmcnt(0) lgkmcnt(0)
	ds_store_b128 v31, v[27:30]
	flat_load_b128 v[27:30], v[10:11]
	v_add_nc_u32_e32 v31, s2, v9
	v_lshl_or_b32 v11, v12, 8, v6
	s_clause 0x1
	scratch_store_b32 off, v43, off
	scratch_store_b96 off, v[53:55], off offset:4
	v_ashrrev_i32_e32 v32, 31, v31
	s_delay_alu instid0(VALU_DEP_1) | instskip(NEXT) | instid1(VALU_DEP_1)
	v_lshlrev_b64 v[9:10], 2, v[31:32]
	v_add_co_u32 v7, vcc_lo, s16, v9
	s_delay_alu instid0(VALU_DEP_2) | instskip(NEXT) | instid1(VALU_DEP_2)
	v_add_co_ci_u32_e32 v9, vcc_lo, s18, v10, vcc_lo
	v_add_co_u32 v7, vcc_lo, v7, v6
	s_delay_alu instid0(VALU_DEP_2) | instskip(NEXT) | instid1(VALU_DEP_1)
	v_add_co_ci_u32_e32 v9, vcc_lo, 0, v9, vcc_lo
	v_cndmask_b32_e64 v10, s17, v9, s7
	s_delay_alu instid0(VALU_DEP_3)
	v_cndmask_b32_e64 v9, 0, v7, s7
	s_waitcnt vmcnt(0) lgkmcnt(0)
	ds_store_b128 v11, v[27:30]
	flat_load_b128 v[9:12], v[9:10]
	v_add_nc_u32_e32 v27, s2, v31
	s_clause 0x1
	scratch_store_b32 off, v43, off
	scratch_store_b96 off, v[53:55], off offset:4
	v_ashrrev_i32_e32 v28, 31, v27
	s_delay_alu instid0(VALU_DEP_1) | instskip(SKIP_1) | instid1(VALU_DEP_2)
	v_lshlrev_b64 v[28:29], 2, v[27:28]
	v_add_nc_u32_e32 v27, s2, v27
	v_add_co_u32 v7, vcc_lo, s16, v28
	s_delay_alu instid0(VALU_DEP_3) | instskip(NEXT) | instid1(VALU_DEP_2)
	v_add_co_ci_u32_e32 v28, vcc_lo, s18, v29, vcc_lo
	v_add_co_u32 v7, vcc_lo, v7, v6
	s_delay_alu instid0(VALU_DEP_2) | instskip(NEXT) | instid1(VALU_DEP_1)
	v_add_co_ci_u32_e32 v28, vcc_lo, 0, v28, vcc_lo
	v_cndmask_b32_e64 v29, s17, v28, s8
	s_delay_alu instid0(VALU_DEP_3)
	v_cndmask_b32_e64 v28, 0, v7, s8
	s_waitcnt vmcnt(0) lgkmcnt(0)
	ds_store_b128 v13, v[9:12]
	flat_load_b128 v[9:12], v[28:29]
	v_ashrrev_i32_e32 v28, 31, v27
	s_clause 0x1
	scratch_store_b32 off, v43, off
	scratch_store_b96 off, v[53:55], off offset:4
	v_lshlrev_b64 v[27:28], 2, v[27:28]
	s_delay_alu instid0(VALU_DEP_1) | instskip(NEXT) | instid1(VALU_DEP_2)
	v_add_co_u32 v7, vcc_lo, s16, v27
	v_add_co_ci_u32_e32 v13, vcc_lo, s18, v28, vcc_lo
	v_lshl_or_b32 v27, v14, 8, v6
	s_delay_alu instid0(VALU_DEP_3) | instskip(NEXT) | instid1(VALU_DEP_3)
	v_add_co_u32 v7, vcc_lo, v7, v6
	v_add_co_ci_u32_e32 v13, vcc_lo, 0, v13, vcc_lo
	v_cmp_ngt_f32_e32 vcc_lo, 0xc2ce8ed0, v1
	v_lshl_or_b32 v6, v8, 8, v6
	s_delay_alu instid0(VALU_DEP_3)
	v_cndmask_b32_e64 v14, s17, v13, s9
	v_cndmask_b32_e64 v13, 0, v7, s9
	s_waitcnt vmcnt(0) lgkmcnt(0)
	ds_store_b128 v27, v[9:12]
	flat_load_b128 v[9:12], v[13:14]
	v_mul_f32_e32 v13, 0x3fb8aa3b, v1
	s_delay_alu instid0(VALU_DEP_1) | instskip(SKIP_1) | instid1(VALU_DEP_2)
	v_fma_f32 v28, 0x3fb8aa3b, v1, -v13
	v_rndne_f32_e32 v29, v13
	v_fmac_f32_e32 v28, 0x32a5705f, v1
	s_delay_alu instid0(VALU_DEP_2) | instskip(NEXT) | instid1(VALU_DEP_1)
	v_dual_sub_f32 v13, v13, v29 :: v_dual_sub_f32 v0, v0, v2
	v_add_f32_e32 v13, v13, v28
	s_delay_alu instid0(VALU_DEP_2) | instskip(NEXT) | instid1(VALU_DEP_2)
	v_mul_f32_e32 v7, 0x3fb8aa3b, v0
	v_exp_f32_e32 v13, v13
	s_delay_alu instid0(VALU_DEP_1) | instskip(SKIP_1) | instid1(VALU_DEP_1)
	v_fma_f32 v14, 0x3fb8aa3b, v0, -v7
	v_rndne_f32_e32 v27, v7
	v_dual_fmac_f32 v14, 0x32a5705f, v0 :: v_dual_sub_f32 v7, v7, v27
	s_delay_alu instid0(VALU_DEP_1) | instskip(SKIP_2) | instid1(VALU_DEP_3)
	v_add_f32_e32 v7, v7, v14
	v_cvt_i32_f32_e32 v14, v27
	v_cvt_i32_f32_e32 v27, v29
	v_exp_f32_e32 v7, v7
	s_delay_alu instid0(TRANS32_DEP_2) | instid1(VALU_DEP_1)
	v_ldexp_f32 v27, v13, v27
	s_waitcnt_depctr 0xfff
	v_ldexp_f32 v28, v7, v14
	s_waitcnt vmcnt(0) lgkmcnt(0)
	ds_store_b128 v6, v[9:12]
	s_waitcnt lgkmcnt(0)
	s_waitcnt_vscnt null, 0x0
	s_barrier
	buffer_gl0_inv
	ds_load_2addr_b64 v[7:10], v42 offset1:32
	ds_load_b128 v[11:14], v41 offset:34816
	v_cndmask_b32_e32 v6, 0, v27, vcc_lo
	v_cmp_ngt_f32_e32 vcc_lo, 0xc2ce8ed0, v0
	v_cndmask_b32_e32 v27, 0, v28, vcc_lo
	v_cmp_nlt_f32_e32 vcc_lo, 0x42b17218, v1
	s_delay_alu instid0(VALU_DEP_4) | instskip(SKIP_1) | instid1(VALU_DEP_2)
	v_cndmask_b32_e32 v6, 0x7f800000, v6, vcc_lo
	v_cmp_nlt_f32_e32 vcc_lo, 0x42b17218, v0
	v_cvt_f16_f32_e32 v1, v6
	v_cndmask_b32_e32 v0, 0x7f800000, v27, vcc_lo
	ds_load_2addr_b64 v[27:30], v42 offset0:64 offset1:96
	s_waitcnt lgkmcnt(1)
	v_pk_mul_f16 v33, v7, v11 op_sel_hi:[1,0]
	v_pk_mul_f16 v7, v7, v11 op_sel:[0,1]
	v_pk_mul_f16 v32, v1, v44 op_sel_hi:[0,1]
	v_cvt_f16_f32_e32 v31, v0
	v_pk_mul_f16 v43, v8, v11 op_sel_hi:[1,0]
	ds_load_2addr_b64 v[53:56], v42 offset0:128 offset1:160
	ds_load_b128 v[57:60], v41 offset:34832
	v_pk_fma_f16 v1, v1, v45, v7 op_sel_hi:[0,1,1]
	v_pk_fma_f16 v8, v8, v11, v32 op_sel:[0,1,0]
	v_pk_fma_f16 v11, v31, v47, v33 op_sel_hi:[0,1,1]
	v_pk_fma_f16 v7, v31, v48, v43 op_sel_hi:[0,1,1]
	v_add_nc_u32_e32 v31, 0x800, v42
	v_pk_fma_f16 v1, v9, v12, v1 op_sel:[0,1,0]
	v_pk_fma_f16 v8, v10, v12, v8 op_sel:[0,1,0]
	v_pk_fma_f16 v11, v9, v12, v11 op_sel_hi:[1,0,1]
	v_pk_fma_f16 v12, v10, v12, v7 op_sel_hi:[1,0,1]
	ds_load_2addr_b64 v[43:46], v31 offset1:32
	s_waitcnt lgkmcnt(3)
	v_pk_fma_f16 v32, v28, v13, v8 op_sel:[0,1,0]
	ds_load_2addr_b64 v[7:10], v42 offset0:192 offset1:224
	v_pk_fma_f16 v11, v27, v13, v11 op_sel_hi:[1,0,1]
	v_pk_fma_f16 v1, v27, v13, v1 op_sel:[0,1,0]
	v_pk_fma_f16 v12, v28, v13, v12 op_sel_hi:[1,0,1]
	v_pk_fma_f16 v13, v30, v14, v32 op_sel:[0,1,0]
	s_delay_alu instid0(VALU_DEP_4) | instskip(NEXT) | instid1(VALU_DEP_4)
	v_pk_fma_f16 v27, v29, v14, v11 op_sel_hi:[1,0,1]
	v_pk_fma_f16 v1, v29, v14, v1 op_sel:[0,1,0]
	s_delay_alu instid0(VALU_DEP_4)
	v_pk_fma_f16 v28, v30, v14, v12 op_sel_hi:[1,0,1]
	s_waitcnt lgkmcnt(2)
	v_pk_fma_f16 v29, v54, v57, v13 op_sel:[0,1,0]
	ds_load_b128 v[11:14], v41 offset:34848
	v_pk_fma_f16 v32, v53, v57, v27 op_sel_hi:[1,0,1]
	v_pk_fma_f16 v1, v53, v57, v1 op_sel:[0,1,0]
	v_pk_fma_f16 v33, v54, v57, v28 op_sel_hi:[1,0,1]
	v_pk_fma_f16 v47, v56, v58, v29 op_sel:[0,1,0]
	ds_load_2addr_b64 v[27:30], v31 offset0:64 offset1:96
	v_pk_fma_f16 v32, v55, v58, v32 op_sel_hi:[1,0,1]
	v_pk_fma_f16 v1, v55, v58, v1 op_sel:[0,1,0]
	v_pk_fma_f16 v33, v56, v58, v33 op_sel_hi:[1,0,1]
	s_waitcnt lgkmcnt(2)
	v_pk_fma_f16 v53, v8, v59, v47 op_sel:[0,1,0]
	v_pk_fma_f16 v32, v7, v59, v32 op_sel_hi:[1,0,1]
	v_pk_fma_f16 v1, v7, v59, v1 op_sel:[0,1,0]
	v_pk_fma_f16 v7, v8, v59, v33 op_sel_hi:[1,0,1]
	ds_load_2addr_b64 v[47:50], v31 offset0:128 offset1:160
	v_pk_fma_f16 v8, v10, v60, v53 op_sel:[0,1,0]
	ds_load_b128 v[53:56], v41 offset:34864
	v_pk_fma_f16 v32, v9, v60, v32 op_sel_hi:[1,0,1]
	v_pk_fma_f16 v1, v9, v60, v1 op_sel:[0,1,0]
	v_pk_fma_f16 v7, v10, v60, v7 op_sel_hi:[1,0,1]
	s_waitcnt lgkmcnt(3)
	v_pk_fma_f16 v8, v44, v11, v8 op_sel:[0,1,0]
	ds_load_b128 v[57:60], v41 offset:34896
	v_pk_fma_f16 v9, v43, v11, v32 op_sel_hi:[1,0,1]
	v_pk_fma_f16 v1, v43, v11, v1 op_sel:[0,1,0]
	v_pk_fma_f16 v7, v44, v11, v7 op_sel_hi:[1,0,1]
	v_pk_fma_f16 v8, v46, v12, v8 op_sel:[0,1,0]
	v_add_nc_u32_e32 v32, 0x1000, v42
	v_pk_fma_f16 v11, v45, v12, v9 op_sel_hi:[1,0,1]
	v_pk_fma_f16 v1, v45, v12, v1 op_sel:[0,1,0]
	v_pk_fma_f16 v12, v46, v12, v7 op_sel_hi:[1,0,1]
	s_waitcnt lgkmcnt(3)
	v_pk_fma_f16 v33, v28, v13, v8 op_sel:[0,1,0]
	ds_load_2addr_b64 v[7:10], v31 offset0:192 offset1:224
	v_pk_fma_f16 v11, v27, v13, v11 op_sel_hi:[1,0,1]
	v_pk_fma_f16 v1, v27, v13, v1 op_sel:[0,1,0]
	v_pk_fma_f16 v12, v28, v13, v12 op_sel_hi:[1,0,1]
	v_pk_fma_f16 v13, v30, v14, v33 op_sel:[0,1,0]
	ds_load_2addr_b64 v[43:46], v32 offset1:32
	v_pk_fma_f16 v27, v29, v14, v11 op_sel_hi:[1,0,1]
	v_pk_fma_f16 v1, v29, v14, v1 op_sel:[0,1,0]
	v_pk_fma_f16 v28, v30, v14, v12 op_sel_hi:[1,0,1]
	s_waitcnt lgkmcnt(3)
	v_pk_fma_f16 v29, v48, v53, v13 op_sel:[0,1,0]
	ds_load_b128 v[11:14], v41 offset:34880
	v_pk_fma_f16 v31, v47, v53, v27 op_sel_hi:[1,0,1]
	v_pk_fma_f16 v1, v47, v53, v1 op_sel:[0,1,0]
	v_pk_fma_f16 v33, v48, v53, v28 op_sel_hi:[1,0,1]
	v_pk_fma_f16 v47, v50, v54, v29 op_sel:[0,1,0]
	ds_load_2addr_b64 v[27:30], v32 offset0:64 offset1:96
	v_pk_fma_f16 v31, v49, v54, v31 op_sel_hi:[1,0,1]
	v_pk_fma_f16 v1, v49, v54, v1 op_sel:[0,1,0]
	v_pk_fma_f16 v33, v50, v54, v33 op_sel_hi:[1,0,1]
	s_waitcnt lgkmcnt(3)
	v_pk_fma_f16 v53, v8, v55, v47 op_sel:[0,1,0]
	v_pk_fma_f16 v31, v7, v55, v31 op_sel_hi:[1,0,1]
	v_pk_fma_f16 v1, v7, v55, v1 op_sel:[0,1,0]
	v_pk_fma_f16 v7, v8, v55, v33 op_sel_hi:[1,0,1]
	ds_load_2addr_b64 v[47:50], v32 offset0:128 offset1:160
	v_pk_fma_f16 v8, v10, v56, v53 op_sel:[0,1,0]
	v_pk_fma_f16 v31, v9, v56, v31 op_sel_hi:[1,0,1]
	v_pk_fma_f16 v1, v9, v56, v1 op_sel:[0,1,0]
	v_pk_fma_f16 v7, v10, v56, v7 op_sel_hi:[1,0,1]
	s_waitcnt lgkmcnt(2)
	v_pk_fma_f16 v8, v44, v11, v8 op_sel:[0,1,0]
	v_pk_fma_f16 v9, v43, v11, v31 op_sel_hi:[1,0,1]
	v_pk_fma_f16 v1, v43, v11, v1 op_sel:[0,1,0]
	v_pk_fma_f16 v7, v44, v11, v7 op_sel_hi:[1,0,1]
	v_add_nc_u32_e32 v31, 0x1800, v42
	v_pk_fma_f16 v8, v46, v12, v8 op_sel:[0,1,0]
	v_pk_fma_f16 v11, v45, v12, v9 op_sel_hi:[1,0,1]
	v_pk_fma_f16 v1, v45, v12, v1 op_sel:[0,1,0]
	v_pk_fma_f16 v12, v46, v12, v7 op_sel_hi:[1,0,1]
	ds_load_2addr_b64 v[43:46], v31 offset1:32
	s_waitcnt lgkmcnt(2)
	v_pk_fma_f16 v33, v28, v13, v8 op_sel:[0,1,0]
	ds_load_2addr_b64 v[7:10], v32 offset0:192 offset1:224
	v_pk_fma_f16 v11, v27, v13, v11 op_sel_hi:[1,0,1]
	v_pk_fma_f16 v1, v27, v13, v1 op_sel:[0,1,0]
	v_pk_fma_f16 v12, v28, v13, v12 op_sel_hi:[1,0,1]
	v_pk_fma_f16 v13, v30, v14, v33 op_sel:[0,1,0]
	s_delay_alu instid0(VALU_DEP_4) | instskip(NEXT) | instid1(VALU_DEP_4)
	v_pk_fma_f16 v27, v29, v14, v11 op_sel_hi:[1,0,1]
	v_pk_fma_f16 v1, v29, v14, v1 op_sel:[0,1,0]
	s_delay_alu instid0(VALU_DEP_4)
	v_pk_fma_f16 v28, v30, v14, v12 op_sel_hi:[1,0,1]
	s_waitcnt lgkmcnt(2)
	v_pk_fma_f16 v29, v48, v57, v13 op_sel:[0,1,0]
	ds_load_b128 v[11:14], v41 offset:34912
	v_pk_fma_f16 v32, v47, v57, v27 op_sel_hi:[1,0,1]
	v_pk_fma_f16 v1, v47, v57, v1 op_sel:[0,1,0]
	v_pk_fma_f16 v33, v48, v57, v28 op_sel_hi:[1,0,1]
	v_pk_fma_f16 v47, v50, v58, v29 op_sel:[0,1,0]
	ds_load_2addr_b64 v[27:30], v31 offset0:64 offset1:96
	v_pk_fma_f16 v32, v49, v58, v32 op_sel_hi:[1,0,1]
	v_pk_fma_f16 v1, v49, v58, v1 op_sel:[0,1,0]
	v_pk_fma_f16 v33, v50, v58, v33 op_sel_hi:[1,0,1]
	s_waitcnt lgkmcnt(2)
	v_pk_fma_f16 v53, v8, v59, v47 op_sel:[0,1,0]
	v_pk_fma_f16 v32, v7, v59, v32 op_sel_hi:[1,0,1]
	v_pk_fma_f16 v1, v7, v59, v1 op_sel:[0,1,0]
	v_pk_fma_f16 v7, v8, v59, v33 op_sel_hi:[1,0,1]
	ds_load_2addr_b64 v[47:50], v31 offset0:128 offset1:160
	v_pk_fma_f16 v8, v10, v60, v53 op_sel:[0,1,0]
	ds_load_b128 v[53:56], v41 offset:34928
	v_pk_fma_f16 v32, v9, v60, v32 op_sel_hi:[1,0,1]
	v_pk_fma_f16 v1, v9, v60, v1 op_sel:[0,1,0]
	v_pk_fma_f16 v7, v10, v60, v7 op_sel_hi:[1,0,1]
	s_waitcnt lgkmcnt(3)
	v_pk_fma_f16 v8, v44, v11, v8 op_sel:[0,1,0]
	ds_load_b128 v[57:60], v41 offset:34960
	v_pk_fma_f16 v9, v43, v11, v32 op_sel_hi:[1,0,1]
	v_pk_fma_f16 v1, v43, v11, v1 op_sel:[0,1,0]
	v_pk_fma_f16 v7, v44, v11, v7 op_sel_hi:[1,0,1]
	v_pk_fma_f16 v8, v46, v12, v8 op_sel:[0,1,0]
	v_add_nc_u32_e32 v32, 0x2000, v42
	v_pk_fma_f16 v11, v45, v12, v9 op_sel_hi:[1,0,1]
	v_pk_fma_f16 v1, v45, v12, v1 op_sel:[0,1,0]
	v_pk_fma_f16 v12, v46, v12, v7 op_sel_hi:[1,0,1]
	s_waitcnt lgkmcnt(3)
	v_pk_fma_f16 v33, v28, v13, v8 op_sel:[0,1,0]
	ds_load_2addr_b64 v[7:10], v31 offset0:192 offset1:224
	v_pk_fma_f16 v11, v27, v13, v11 op_sel_hi:[1,0,1]
	v_pk_fma_f16 v1, v27, v13, v1 op_sel:[0,1,0]
	v_pk_fma_f16 v12, v28, v13, v12 op_sel_hi:[1,0,1]
	v_pk_fma_f16 v13, v30, v14, v33 op_sel:[0,1,0]
	ds_load_2addr_b64 v[43:46], v32 offset1:32
	v_pk_fma_f16 v27, v29, v14, v11 op_sel_hi:[1,0,1]
	v_pk_fma_f16 v1, v29, v14, v1 op_sel:[0,1,0]
	v_pk_fma_f16 v28, v30, v14, v12 op_sel_hi:[1,0,1]
	s_waitcnt lgkmcnt(3)
	v_pk_fma_f16 v29, v48, v53, v13 op_sel:[0,1,0]
	ds_load_b128 v[11:14], v41 offset:34944
	v_pk_fma_f16 v31, v47, v53, v27 op_sel_hi:[1,0,1]
	v_pk_fma_f16 v1, v47, v53, v1 op_sel:[0,1,0]
	v_pk_fma_f16 v33, v48, v53, v28 op_sel_hi:[1,0,1]
	v_pk_fma_f16 v47, v50, v54, v29 op_sel:[0,1,0]
	ds_load_2addr_b64 v[27:30], v32 offset0:64 offset1:96
	v_pk_fma_f16 v31, v49, v54, v31 op_sel_hi:[1,0,1]
	v_pk_fma_f16 v1, v49, v54, v1 op_sel:[0,1,0]
	v_pk_fma_f16 v33, v50, v54, v33 op_sel_hi:[1,0,1]
	s_waitcnt lgkmcnt(3)
	v_pk_fma_f16 v53, v8, v55, v47 op_sel:[0,1,0]
	v_pk_fma_f16 v31, v7, v55, v31 op_sel_hi:[1,0,1]
	v_pk_fma_f16 v1, v7, v55, v1 op_sel:[0,1,0]
	v_pk_fma_f16 v7, v8, v55, v33 op_sel_hi:[1,0,1]
	ds_load_2addr_b64 v[47:50], v32 offset0:128 offset1:160
	v_pk_fma_f16 v8, v10, v56, v53 op_sel:[0,1,0]
	v_pk_fma_f16 v31, v9, v56, v31 op_sel_hi:[1,0,1]
	v_pk_fma_f16 v1, v9, v56, v1 op_sel:[0,1,0]
	v_pk_fma_f16 v7, v10, v56, v7 op_sel_hi:[1,0,1]
	s_waitcnt lgkmcnt(2)
	v_pk_fma_f16 v8, v44, v11, v8 op_sel:[0,1,0]
	v_pk_fma_f16 v9, v43, v11, v31 op_sel_hi:[1,0,1]
	v_pk_fma_f16 v1, v43, v11, v1 op_sel:[0,1,0]
	v_pk_fma_f16 v7, v44, v11, v7 op_sel_hi:[1,0,1]
	v_add_nc_u32_e32 v31, 0x2800, v42
	v_pk_fma_f16 v8, v46, v12, v8 op_sel:[0,1,0]
	v_pk_fma_f16 v11, v45, v12, v9 op_sel_hi:[1,0,1]
	v_pk_fma_f16 v1, v45, v12, v1 op_sel:[0,1,0]
	v_pk_fma_f16 v12, v46, v12, v7 op_sel_hi:[1,0,1]
	ds_load_2addr_b64 v[43:46], v31 offset1:32
	s_waitcnt lgkmcnt(2)
	v_pk_fma_f16 v33, v28, v13, v8 op_sel:[0,1,0]
	ds_load_2addr_b64 v[7:10], v32 offset0:192 offset1:224
	v_pk_fma_f16 v11, v27, v13, v11 op_sel_hi:[1,0,1]
	v_pk_fma_f16 v1, v27, v13, v1 op_sel:[0,1,0]
	v_pk_fma_f16 v12, v28, v13, v12 op_sel_hi:[1,0,1]
	v_pk_fma_f16 v13, v30, v14, v33 op_sel:[0,1,0]
	s_delay_alu instid0(VALU_DEP_4) | instskip(NEXT) | instid1(VALU_DEP_4)
	v_pk_fma_f16 v27, v29, v14, v11 op_sel_hi:[1,0,1]
	v_pk_fma_f16 v1, v29, v14, v1 op_sel:[0,1,0]
	s_delay_alu instid0(VALU_DEP_4)
	v_pk_fma_f16 v28, v30, v14, v12 op_sel_hi:[1,0,1]
	s_waitcnt lgkmcnt(2)
	v_pk_fma_f16 v29, v48, v57, v13 op_sel:[0,1,0]
	ds_load_b128 v[11:14], v41 offset:34976
	v_pk_fma_f16 v32, v47, v57, v27 op_sel_hi:[1,0,1]
	v_pk_fma_f16 v1, v47, v57, v1 op_sel:[0,1,0]
	v_pk_fma_f16 v33, v48, v57, v28 op_sel_hi:[1,0,1]
	v_pk_fma_f16 v47, v50, v58, v29 op_sel:[0,1,0]
	ds_load_2addr_b64 v[27:30], v31 offset0:64 offset1:96
	v_pk_fma_f16 v32, v49, v58, v32 op_sel_hi:[1,0,1]
	v_pk_fma_f16 v1, v49, v58, v1 op_sel:[0,1,0]
	v_pk_fma_f16 v33, v50, v58, v33 op_sel_hi:[1,0,1]
	s_waitcnt lgkmcnt(2)
	v_pk_fma_f16 v53, v8, v59, v47 op_sel:[0,1,0]
	v_pk_fma_f16 v32, v7, v59, v32 op_sel_hi:[1,0,1]
	v_pk_fma_f16 v1, v7, v59, v1 op_sel:[0,1,0]
	v_pk_fma_f16 v7, v8, v59, v33 op_sel_hi:[1,0,1]
	ds_load_2addr_b64 v[47:50], v31 offset0:128 offset1:160
	v_pk_fma_f16 v8, v10, v60, v53 op_sel:[0,1,0]
	ds_load_b128 v[53:56], v41 offset:34992
	v_pk_fma_f16 v32, v9, v60, v32 op_sel_hi:[1,0,1]
	v_pk_fma_f16 v1, v9, v60, v1 op_sel:[0,1,0]
	v_pk_fma_f16 v7, v10, v60, v7 op_sel_hi:[1,0,1]
	s_waitcnt lgkmcnt(3)
	v_pk_fma_f16 v8, v44, v11, v8 op_sel:[0,1,0]
	ds_load_b128 v[57:60], v41 offset:35024
	v_pk_fma_f16 v9, v43, v11, v32 op_sel_hi:[1,0,1]
	v_pk_fma_f16 v1, v43, v11, v1 op_sel:[0,1,0]
	v_pk_fma_f16 v7, v44, v11, v7 op_sel_hi:[1,0,1]
	v_pk_fma_f16 v8, v46, v12, v8 op_sel:[0,1,0]
	v_add_nc_u32_e32 v32, 0x3000, v42
	v_pk_fma_f16 v11, v45, v12, v9 op_sel_hi:[1,0,1]
	v_pk_fma_f16 v1, v45, v12, v1 op_sel:[0,1,0]
	v_pk_fma_f16 v12, v46, v12, v7 op_sel_hi:[1,0,1]
	s_waitcnt lgkmcnt(3)
	v_pk_fma_f16 v33, v28, v13, v8 op_sel:[0,1,0]
	ds_load_2addr_b64 v[7:10], v31 offset0:192 offset1:224
	v_pk_fma_f16 v11, v27, v13, v11 op_sel_hi:[1,0,1]
	v_pk_fma_f16 v1, v27, v13, v1 op_sel:[0,1,0]
	v_pk_fma_f16 v12, v28, v13, v12 op_sel_hi:[1,0,1]
	v_pk_fma_f16 v13, v30, v14, v33 op_sel:[0,1,0]
	ds_load_2addr_b64 v[43:46], v32 offset1:32
	v_pk_fma_f16 v27, v29, v14, v11 op_sel_hi:[1,0,1]
	v_pk_fma_f16 v1, v29, v14, v1 op_sel:[0,1,0]
	v_pk_fma_f16 v28, v30, v14, v12 op_sel_hi:[1,0,1]
	s_waitcnt lgkmcnt(3)
	v_pk_fma_f16 v29, v48, v53, v13 op_sel:[0,1,0]
	ds_load_b128 v[11:14], v41 offset:35008
	v_pk_fma_f16 v31, v47, v53, v27 op_sel_hi:[1,0,1]
	v_pk_fma_f16 v1, v47, v53, v1 op_sel:[0,1,0]
	v_pk_fma_f16 v33, v48, v53, v28 op_sel_hi:[1,0,1]
	v_pk_fma_f16 v47, v50, v54, v29 op_sel:[0,1,0]
	ds_load_2addr_b64 v[27:30], v32 offset0:64 offset1:96
	v_pk_fma_f16 v31, v49, v54, v31 op_sel_hi:[1,0,1]
	v_pk_fma_f16 v1, v49, v54, v1 op_sel:[0,1,0]
	v_pk_fma_f16 v33, v50, v54, v33 op_sel_hi:[1,0,1]
	s_waitcnt lgkmcnt(3)
	v_pk_fma_f16 v53, v8, v55, v47 op_sel:[0,1,0]
	v_pk_fma_f16 v31, v7, v55, v31 op_sel_hi:[1,0,1]
	v_pk_fma_f16 v1, v7, v55, v1 op_sel:[0,1,0]
	v_pk_fma_f16 v7, v8, v55, v33 op_sel_hi:[1,0,1]
	ds_load_2addr_b64 v[47:50], v32 offset0:128 offset1:160
	v_pk_fma_f16 v8, v10, v56, v53 op_sel:[0,1,0]
	v_pk_fma_f16 v31, v9, v56, v31 op_sel_hi:[1,0,1]
	v_pk_fma_f16 v1, v9, v56, v1 op_sel:[0,1,0]
	v_pk_fma_f16 v7, v10, v56, v7 op_sel_hi:[1,0,1]
	s_waitcnt lgkmcnt(2)
	v_pk_fma_f16 v8, v44, v11, v8 op_sel:[0,1,0]
	v_pk_fma_f16 v9, v43, v11, v31 op_sel_hi:[1,0,1]
	v_pk_fma_f16 v1, v43, v11, v1 op_sel:[0,1,0]
	v_pk_fma_f16 v7, v44, v11, v7 op_sel_hi:[1,0,1]
	v_add_nc_u32_e32 v31, 0x3800, v42
	v_pk_fma_f16 v8, v46, v12, v8 op_sel:[0,1,0]
	v_pk_fma_f16 v11, v45, v12, v9 op_sel_hi:[1,0,1]
	v_pk_fma_f16 v1, v45, v12, v1 op_sel:[0,1,0]
	v_pk_fma_f16 v12, v46, v12, v7 op_sel_hi:[1,0,1]
	ds_load_2addr_b64 v[43:46], v31 offset1:32
	s_waitcnt lgkmcnt(2)
	v_pk_fma_f16 v33, v28, v13, v8 op_sel:[0,1,0]
	ds_load_2addr_b64 v[7:10], v32 offset0:192 offset1:224
	v_pk_fma_f16 v11, v27, v13, v11 op_sel_hi:[1,0,1]
	v_pk_fma_f16 v1, v27, v13, v1 op_sel:[0,1,0]
	v_pk_fma_f16 v12, v28, v13, v12 op_sel_hi:[1,0,1]
	v_pk_fma_f16 v13, v30, v14, v33 op_sel:[0,1,0]
	s_delay_alu instid0(VALU_DEP_4) | instskip(NEXT) | instid1(VALU_DEP_4)
	v_pk_fma_f16 v27, v29, v14, v11 op_sel_hi:[1,0,1]
	v_pk_fma_f16 v1, v29, v14, v1 op_sel:[0,1,0]
	s_delay_alu instid0(VALU_DEP_4)
	v_pk_fma_f16 v28, v30, v14, v12 op_sel_hi:[1,0,1]
	s_waitcnt lgkmcnt(2)
	v_pk_fma_f16 v29, v48, v57, v13 op_sel:[0,1,0]
	ds_load_b128 v[11:14], v41 offset:35040
	v_pk_fma_f16 v32, v47, v57, v27 op_sel_hi:[1,0,1]
	v_pk_fma_f16 v1, v47, v57, v1 op_sel:[0,1,0]
	v_pk_fma_f16 v33, v48, v57, v28 op_sel_hi:[1,0,1]
	v_pk_fma_f16 v47, v50, v58, v29 op_sel:[0,1,0]
	ds_load_2addr_b64 v[27:30], v31 offset0:64 offset1:96
	v_pk_fma_f16 v32, v49, v58, v32 op_sel_hi:[1,0,1]
	v_pk_fma_f16 v1, v49, v58, v1 op_sel:[0,1,0]
	v_pk_fma_f16 v33, v50, v58, v33 op_sel_hi:[1,0,1]
	s_waitcnt lgkmcnt(2)
	v_pk_fma_f16 v53, v8, v59, v47 op_sel:[0,1,0]
	v_pk_fma_f16 v32, v7, v59, v32 op_sel_hi:[1,0,1]
	v_pk_fma_f16 v1, v7, v59, v1 op_sel:[0,1,0]
	v_pk_fma_f16 v7, v8, v59, v33 op_sel_hi:[1,0,1]
	ds_load_2addr_b64 v[47:50], v31 offset0:128 offset1:160
	v_pk_fma_f16 v8, v10, v60, v53 op_sel:[0,1,0]
	ds_load_b128 v[53:56], v41 offset:35056
	v_pk_fma_f16 v32, v9, v60, v32 op_sel_hi:[1,0,1]
	v_pk_fma_f16 v1, v9, v60, v1 op_sel:[0,1,0]
	v_pk_fma_f16 v7, v10, v60, v7 op_sel_hi:[1,0,1]
	s_waitcnt lgkmcnt(3)
	v_pk_fma_f16 v8, v44, v11, v8 op_sel:[0,1,0]
	ds_load_b128 v[57:60], v41 offset:35088
	v_pk_fma_f16 v9, v43, v11, v32 op_sel_hi:[1,0,1]
	v_pk_fma_f16 v1, v43, v11, v1 op_sel:[0,1,0]
	v_pk_fma_f16 v7, v44, v11, v7 op_sel_hi:[1,0,1]
	v_pk_fma_f16 v8, v46, v12, v8 op_sel:[0,1,0]
	v_add_nc_u32_e32 v32, 0x4000, v42
	v_pk_fma_f16 v11, v45, v12, v9 op_sel_hi:[1,0,1]
	v_pk_fma_f16 v1, v45, v12, v1 op_sel:[0,1,0]
	v_pk_fma_f16 v12, v46, v12, v7 op_sel_hi:[1,0,1]
	s_waitcnt lgkmcnt(3)
	v_pk_fma_f16 v33, v28, v13, v8 op_sel:[0,1,0]
	ds_load_2addr_b64 v[7:10], v31 offset0:192 offset1:224
	v_pk_fma_f16 v11, v27, v13, v11 op_sel_hi:[1,0,1]
	v_pk_fma_f16 v1, v27, v13, v1 op_sel:[0,1,0]
	v_pk_fma_f16 v12, v28, v13, v12 op_sel_hi:[1,0,1]
	v_pk_fma_f16 v13, v30, v14, v33 op_sel:[0,1,0]
	ds_load_2addr_b64 v[43:46], v32 offset1:32
	v_pk_fma_f16 v27, v29, v14, v11 op_sel_hi:[1,0,1]
	v_pk_fma_f16 v1, v29, v14, v1 op_sel:[0,1,0]
	v_pk_fma_f16 v28, v30, v14, v12 op_sel_hi:[1,0,1]
	s_waitcnt lgkmcnt(3)
	v_pk_fma_f16 v29, v48, v53, v13 op_sel:[0,1,0]
	ds_load_b128 v[11:14], v41 offset:35072
	v_pk_fma_f16 v31, v47, v53, v27 op_sel_hi:[1,0,1]
	v_pk_fma_f16 v1, v47, v53, v1 op_sel:[0,1,0]
	v_pk_fma_f16 v33, v48, v53, v28 op_sel_hi:[1,0,1]
	v_pk_fma_f16 v47, v50, v54, v29 op_sel:[0,1,0]
	ds_load_2addr_b64 v[27:30], v32 offset0:64 offset1:96
	v_pk_fma_f16 v31, v49, v54, v31 op_sel_hi:[1,0,1]
	v_pk_fma_f16 v1, v49, v54, v1 op_sel:[0,1,0]
	v_pk_fma_f16 v33, v50, v54, v33 op_sel_hi:[1,0,1]
	s_waitcnt lgkmcnt(3)
	v_pk_fma_f16 v53, v8, v55, v47 op_sel:[0,1,0]
	v_pk_fma_f16 v31, v7, v55, v31 op_sel_hi:[1,0,1]
	v_pk_fma_f16 v1, v7, v55, v1 op_sel:[0,1,0]
	v_pk_fma_f16 v7, v8, v55, v33 op_sel_hi:[1,0,1]
	ds_load_2addr_b64 v[47:50], v32 offset0:128 offset1:160
	v_pk_fma_f16 v8, v10, v56, v53 op_sel:[0,1,0]
	v_pk_fma_f16 v31, v9, v56, v31 op_sel_hi:[1,0,1]
	v_pk_fma_f16 v1, v9, v56, v1 op_sel:[0,1,0]
	v_pk_fma_f16 v7, v10, v56, v7 op_sel_hi:[1,0,1]
	s_waitcnt lgkmcnt(2)
	v_pk_fma_f16 v8, v44, v11, v8 op_sel:[0,1,0]
	v_pk_fma_f16 v9, v43, v11, v31 op_sel_hi:[1,0,1]
	v_pk_fma_f16 v1, v43, v11, v1 op_sel:[0,1,0]
	v_pk_fma_f16 v7, v44, v11, v7 op_sel_hi:[1,0,1]
	v_add_nc_u32_e32 v31, 0x4800, v42
	v_pk_fma_f16 v8, v46, v12, v8 op_sel:[0,1,0]
	v_pk_fma_f16 v11, v45, v12, v9 op_sel_hi:[1,0,1]
	v_pk_fma_f16 v1, v45, v12, v1 op_sel:[0,1,0]
	v_pk_fma_f16 v12, v46, v12, v7 op_sel_hi:[1,0,1]
	ds_load_2addr_b64 v[43:46], v31 offset1:32
	s_waitcnt lgkmcnt(2)
	v_pk_fma_f16 v33, v28, v13, v8 op_sel:[0,1,0]
	ds_load_2addr_b64 v[7:10], v32 offset0:192 offset1:224
	v_pk_fma_f16 v11, v27, v13, v11 op_sel_hi:[1,0,1]
	v_pk_fma_f16 v1, v27, v13, v1 op_sel:[0,1,0]
	v_pk_fma_f16 v12, v28, v13, v12 op_sel_hi:[1,0,1]
	v_pk_fma_f16 v13, v30, v14, v33 op_sel:[0,1,0]
	s_delay_alu instid0(VALU_DEP_4) | instskip(NEXT) | instid1(VALU_DEP_4)
	v_pk_fma_f16 v27, v29, v14, v11 op_sel_hi:[1,0,1]
	v_pk_fma_f16 v1, v29, v14, v1 op_sel:[0,1,0]
	s_delay_alu instid0(VALU_DEP_4)
	v_pk_fma_f16 v28, v30, v14, v12 op_sel_hi:[1,0,1]
	s_waitcnt lgkmcnt(2)
	v_pk_fma_f16 v29, v48, v57, v13 op_sel:[0,1,0]
	ds_load_b128 v[11:14], v41 offset:35104
	v_pk_fma_f16 v32, v47, v57, v27 op_sel_hi:[1,0,1]
	v_pk_fma_f16 v1, v47, v57, v1 op_sel:[0,1,0]
	v_pk_fma_f16 v33, v48, v57, v28 op_sel_hi:[1,0,1]
	v_pk_fma_f16 v47, v50, v58, v29 op_sel:[0,1,0]
	ds_load_2addr_b64 v[27:30], v31 offset0:64 offset1:96
	v_pk_fma_f16 v32, v49, v58, v32 op_sel_hi:[1,0,1]
	v_pk_fma_f16 v1, v49, v58, v1 op_sel:[0,1,0]
	v_pk_fma_f16 v33, v50, v58, v33 op_sel_hi:[1,0,1]
	s_waitcnt lgkmcnt(2)
	v_pk_fma_f16 v53, v8, v59, v47 op_sel:[0,1,0]
	v_pk_fma_f16 v32, v7, v59, v32 op_sel_hi:[1,0,1]
	v_pk_fma_f16 v1, v7, v59, v1 op_sel:[0,1,0]
	v_pk_fma_f16 v7, v8, v59, v33 op_sel_hi:[1,0,1]
	ds_load_2addr_b64 v[47:50], v31 offset0:128 offset1:160
	v_pk_fma_f16 v8, v10, v60, v53 op_sel:[0,1,0]
	ds_load_b128 v[53:56], v41 offset:35120
	v_pk_fma_f16 v32, v9, v60, v32 op_sel_hi:[1,0,1]
	v_pk_fma_f16 v1, v9, v60, v1 op_sel:[0,1,0]
	v_pk_fma_f16 v7, v10, v60, v7 op_sel_hi:[1,0,1]
	s_waitcnt lgkmcnt(3)
	v_pk_fma_f16 v8, v44, v11, v8 op_sel:[0,1,0]
	ds_load_b128 v[57:60], v41 offset:35152
	v_pk_fma_f16 v9, v43, v11, v32 op_sel_hi:[1,0,1]
	v_pk_fma_f16 v1, v43, v11, v1 op_sel:[0,1,0]
	v_pk_fma_f16 v7, v44, v11, v7 op_sel_hi:[1,0,1]
	v_pk_fma_f16 v8, v46, v12, v8 op_sel:[0,1,0]
	v_add_nc_u32_e32 v32, 0x5000, v42
	v_pk_fma_f16 v11, v45, v12, v9 op_sel_hi:[1,0,1]
	v_pk_fma_f16 v1, v45, v12, v1 op_sel:[0,1,0]
	v_pk_fma_f16 v12, v46, v12, v7 op_sel_hi:[1,0,1]
	s_waitcnt lgkmcnt(3)
	v_pk_fma_f16 v33, v28, v13, v8 op_sel:[0,1,0]
	ds_load_2addr_b64 v[7:10], v31 offset0:192 offset1:224
	v_pk_fma_f16 v11, v27, v13, v11 op_sel_hi:[1,0,1]
	v_pk_fma_f16 v1, v27, v13, v1 op_sel:[0,1,0]
	v_pk_fma_f16 v12, v28, v13, v12 op_sel_hi:[1,0,1]
	v_pk_fma_f16 v13, v30, v14, v33 op_sel:[0,1,0]
	ds_load_2addr_b64 v[43:46], v32 offset1:32
	v_pk_fma_f16 v27, v29, v14, v11 op_sel_hi:[1,0,1]
	v_pk_fma_f16 v1, v29, v14, v1 op_sel:[0,1,0]
	v_pk_fma_f16 v28, v30, v14, v12 op_sel_hi:[1,0,1]
	s_waitcnt lgkmcnt(3)
	v_pk_fma_f16 v29, v48, v53, v13 op_sel:[0,1,0]
	ds_load_b128 v[11:14], v41 offset:35136
	v_pk_fma_f16 v31, v47, v53, v27 op_sel_hi:[1,0,1]
	v_pk_fma_f16 v1, v47, v53, v1 op_sel:[0,1,0]
	v_pk_fma_f16 v33, v48, v53, v28 op_sel_hi:[1,0,1]
	v_pk_fma_f16 v47, v50, v54, v29 op_sel:[0,1,0]
	ds_load_2addr_b64 v[27:30], v32 offset0:64 offset1:96
	v_pk_fma_f16 v31, v49, v54, v31 op_sel_hi:[1,0,1]
	v_pk_fma_f16 v1, v49, v54, v1 op_sel:[0,1,0]
	v_pk_fma_f16 v33, v50, v54, v33 op_sel_hi:[1,0,1]
	s_waitcnt lgkmcnt(3)
	v_pk_fma_f16 v53, v8, v55, v47 op_sel:[0,1,0]
	v_pk_fma_f16 v31, v7, v55, v31 op_sel_hi:[1,0,1]
	v_pk_fma_f16 v1, v7, v55, v1 op_sel:[0,1,0]
	v_pk_fma_f16 v7, v8, v55, v33 op_sel_hi:[1,0,1]
	ds_load_2addr_b64 v[47:50], v32 offset0:128 offset1:160
	v_pk_fma_f16 v8, v10, v56, v53 op_sel:[0,1,0]
	v_pk_fma_f16 v31, v9, v56, v31 op_sel_hi:[1,0,1]
	v_pk_fma_f16 v1, v9, v56, v1 op_sel:[0,1,0]
	v_pk_fma_f16 v7, v10, v56, v7 op_sel_hi:[1,0,1]
	s_waitcnt lgkmcnt(2)
	v_pk_fma_f16 v8, v44, v11, v8 op_sel:[0,1,0]
	v_pk_fma_f16 v9, v43, v11, v31 op_sel_hi:[1,0,1]
	v_pk_fma_f16 v1, v43, v11, v1 op_sel:[0,1,0]
	v_pk_fma_f16 v7, v44, v11, v7 op_sel_hi:[1,0,1]
	v_add_nc_u32_e32 v31, 0x5800, v42
	v_pk_fma_f16 v8, v46, v12, v8 op_sel:[0,1,0]
	v_pk_fma_f16 v11, v45, v12, v9 op_sel_hi:[1,0,1]
	v_pk_fma_f16 v1, v45, v12, v1 op_sel:[0,1,0]
	v_pk_fma_f16 v12, v46, v12, v7 op_sel_hi:[1,0,1]
	ds_load_2addr_b64 v[43:46], v31 offset1:32
	s_waitcnt lgkmcnt(2)
	v_pk_fma_f16 v33, v28, v13, v8 op_sel:[0,1,0]
	ds_load_2addr_b64 v[7:10], v32 offset0:192 offset1:224
	v_pk_fma_f16 v11, v27, v13, v11 op_sel_hi:[1,0,1]
	v_pk_fma_f16 v1, v27, v13, v1 op_sel:[0,1,0]
	v_pk_fma_f16 v12, v28, v13, v12 op_sel_hi:[1,0,1]
	v_pk_fma_f16 v13, v30, v14, v33 op_sel:[0,1,0]
	s_delay_alu instid0(VALU_DEP_4) | instskip(NEXT) | instid1(VALU_DEP_4)
	v_pk_fma_f16 v27, v29, v14, v11 op_sel_hi:[1,0,1]
	v_pk_fma_f16 v1, v29, v14, v1 op_sel:[0,1,0]
	s_delay_alu instid0(VALU_DEP_4)
	v_pk_fma_f16 v28, v30, v14, v12 op_sel_hi:[1,0,1]
	s_waitcnt lgkmcnt(2)
	v_pk_fma_f16 v29, v48, v57, v13 op_sel:[0,1,0]
	ds_load_b128 v[11:14], v41 offset:35168
	v_pk_fma_f16 v32, v47, v57, v27 op_sel_hi:[1,0,1]
	v_pk_fma_f16 v1, v47, v57, v1 op_sel:[0,1,0]
	v_pk_fma_f16 v33, v48, v57, v28 op_sel_hi:[1,0,1]
	v_pk_fma_f16 v47, v50, v58, v29 op_sel:[0,1,0]
	ds_load_2addr_b64 v[27:30], v31 offset0:64 offset1:96
	v_pk_fma_f16 v32, v49, v58, v32 op_sel_hi:[1,0,1]
	v_pk_fma_f16 v1, v49, v58, v1 op_sel:[0,1,0]
	v_pk_fma_f16 v33, v50, v58, v33 op_sel_hi:[1,0,1]
	s_waitcnt lgkmcnt(2)
	v_pk_fma_f16 v53, v8, v59, v47 op_sel:[0,1,0]
	v_pk_fma_f16 v32, v7, v59, v32 op_sel_hi:[1,0,1]
	v_pk_fma_f16 v1, v7, v59, v1 op_sel:[0,1,0]
	v_pk_fma_f16 v7, v8, v59, v33 op_sel_hi:[1,0,1]
	ds_load_2addr_b64 v[47:50], v31 offset0:128 offset1:160
	v_pk_fma_f16 v8, v10, v60, v53 op_sel:[0,1,0]
	ds_load_b128 v[53:56], v41 offset:35184
	v_pk_fma_f16 v32, v9, v60, v32 op_sel_hi:[1,0,1]
	v_pk_fma_f16 v1, v9, v60, v1 op_sel:[0,1,0]
	v_pk_fma_f16 v7, v10, v60, v7 op_sel_hi:[1,0,1]
	s_waitcnt lgkmcnt(3)
	v_pk_fma_f16 v8, v44, v11, v8 op_sel:[0,1,0]
	ds_load_b128 v[57:60], v41 offset:35216
	v_pk_fma_f16 v9, v43, v11, v32 op_sel_hi:[1,0,1]
	v_pk_fma_f16 v1, v43, v11, v1 op_sel:[0,1,0]
	v_pk_fma_f16 v7, v44, v11, v7 op_sel_hi:[1,0,1]
	v_pk_fma_f16 v8, v46, v12, v8 op_sel:[0,1,0]
	v_add_nc_u32_e32 v32, 0x6000, v42
	v_pk_fma_f16 v11, v45, v12, v9 op_sel_hi:[1,0,1]
	v_pk_fma_f16 v1, v45, v12, v1 op_sel:[0,1,0]
	v_pk_fma_f16 v12, v46, v12, v7 op_sel_hi:[1,0,1]
	s_waitcnt lgkmcnt(3)
	v_pk_fma_f16 v33, v28, v13, v8 op_sel:[0,1,0]
	ds_load_2addr_b64 v[7:10], v31 offset0:192 offset1:224
	v_pk_fma_f16 v11, v27, v13, v11 op_sel_hi:[1,0,1]
	v_pk_fma_f16 v1, v27, v13, v1 op_sel:[0,1,0]
	v_pk_fma_f16 v12, v28, v13, v12 op_sel_hi:[1,0,1]
	v_pk_fma_f16 v13, v30, v14, v33 op_sel:[0,1,0]
	ds_load_2addr_b64 v[43:46], v32 offset1:32
	v_pk_fma_f16 v27, v29, v14, v11 op_sel_hi:[1,0,1]
	v_pk_fma_f16 v1, v29, v14, v1 op_sel:[0,1,0]
	v_pk_fma_f16 v28, v30, v14, v12 op_sel_hi:[1,0,1]
	s_waitcnt lgkmcnt(3)
	v_pk_fma_f16 v29, v48, v53, v13 op_sel:[0,1,0]
	ds_load_b128 v[11:14], v41 offset:35200
	v_pk_fma_f16 v31, v47, v53, v27 op_sel_hi:[1,0,1]
	v_pk_fma_f16 v1, v47, v53, v1 op_sel:[0,1,0]
	v_pk_fma_f16 v33, v48, v53, v28 op_sel_hi:[1,0,1]
	v_pk_fma_f16 v47, v50, v54, v29 op_sel:[0,1,0]
	ds_load_2addr_b64 v[27:30], v32 offset0:64 offset1:96
	v_pk_fma_f16 v31, v49, v54, v31 op_sel_hi:[1,0,1]
	v_pk_fma_f16 v1, v49, v54, v1 op_sel:[0,1,0]
	v_pk_fma_f16 v33, v50, v54, v33 op_sel_hi:[1,0,1]
	s_waitcnt lgkmcnt(3)
	v_pk_fma_f16 v53, v8, v55, v47 op_sel:[0,1,0]
	v_pk_fma_f16 v31, v7, v55, v31 op_sel_hi:[1,0,1]
	v_pk_fma_f16 v1, v7, v55, v1 op_sel:[0,1,0]
	v_pk_fma_f16 v7, v8, v55, v33 op_sel_hi:[1,0,1]
	ds_load_2addr_b64 v[47:50], v32 offset0:128 offset1:160
	v_pk_fma_f16 v8, v10, v56, v53 op_sel:[0,1,0]
	v_pk_fma_f16 v31, v9, v56, v31 op_sel_hi:[1,0,1]
	v_pk_fma_f16 v1, v9, v56, v1 op_sel:[0,1,0]
	v_pk_fma_f16 v7, v10, v56, v7 op_sel_hi:[1,0,1]
	s_waitcnt lgkmcnt(2)
	v_pk_fma_f16 v8, v44, v11, v8 op_sel:[0,1,0]
	v_pk_fma_f16 v9, v43, v11, v31 op_sel_hi:[1,0,1]
	v_pk_fma_f16 v1, v43, v11, v1 op_sel:[0,1,0]
	v_pk_fma_f16 v7, v44, v11, v7 op_sel_hi:[1,0,1]
	v_add_nc_u32_e32 v31, 0x6800, v42
	v_pk_fma_f16 v8, v46, v12, v8 op_sel:[0,1,0]
	v_pk_fma_f16 v11, v45, v12, v9 op_sel_hi:[1,0,1]
	v_pk_fma_f16 v1, v45, v12, v1 op_sel:[0,1,0]
	v_pk_fma_f16 v12, v46, v12, v7 op_sel_hi:[1,0,1]
	ds_load_2addr_b64 v[43:46], v31 offset1:32
	s_waitcnt lgkmcnt(2)
	v_pk_fma_f16 v33, v28, v13, v8 op_sel:[0,1,0]
	ds_load_2addr_b64 v[7:10], v32 offset0:192 offset1:224
	v_pk_fma_f16 v11, v27, v13, v11 op_sel_hi:[1,0,1]
	v_pk_fma_f16 v1, v27, v13, v1 op_sel:[0,1,0]
	v_pk_fma_f16 v12, v28, v13, v12 op_sel_hi:[1,0,1]
	v_pk_fma_f16 v13, v30, v14, v33 op_sel:[0,1,0]
	v_add_nc_u32_e32 v32, 0x7000, v42
	v_pk_fma_f16 v27, v29, v14, v11 op_sel_hi:[1,0,1]
	v_pk_fma_f16 v1, v29, v14, v1 op_sel:[0,1,0]
	v_pk_fma_f16 v28, v30, v14, v12 op_sel_hi:[1,0,1]
	s_waitcnt lgkmcnt(2)
	v_pk_fma_f16 v29, v48, v57, v13 op_sel:[0,1,0]
	ds_load_b128 v[11:14], v41 offset:35232
	v_pk_fma_f16 v33, v47, v57, v27 op_sel_hi:[1,0,1]
	v_pk_fma_f16 v1, v47, v57, v1 op_sel:[0,1,0]
	v_pk_fma_f16 v47, v48, v57, v28 op_sel_hi:[1,0,1]
	v_pk_fma_f16 v48, v50, v58, v29 op_sel:[0,1,0]
	ds_load_2addr_b64 v[27:30], v31 offset0:64 offset1:96
	v_pk_fma_f16 v33, v49, v58, v33 op_sel_hi:[1,0,1]
	v_pk_fma_f16 v1, v49, v58, v1 op_sel:[0,1,0]
	v_pk_fma_f16 v53, v50, v58, v47 op_sel_hi:[1,0,1]
	v_add_nc_u32_e32 v57, 0x7800, v42
	s_waitcnt lgkmcnt(2)
	v_pk_fma_f16 v54, v8, v59, v48 op_sel:[0,1,0]
	v_pk_fma_f16 v33, v7, v59, v33 op_sel_hi:[1,0,1]
	v_pk_fma_f16 v1, v7, v59, v1 op_sel:[0,1,0]
	v_pk_fma_f16 v7, v8, v59, v53 op_sel_hi:[1,0,1]
	ds_load_2addr_b64 v[47:50], v31 offset0:128 offset1:160
	v_pk_fma_f16 v8, v10, v60, v54 op_sel:[0,1,0]
	ds_load_b128 v[53:56], v41 offset:35248
	v_pk_fma_f16 v33, v9, v60, v33 op_sel_hi:[1,0,1]
	v_pk_fma_f16 v1, v9, v60, v1 op_sel:[0,1,0]
	v_pk_fma_f16 v7, v10, v60, v7 op_sel_hi:[1,0,1]
	s_waitcnt lgkmcnt(3)
	v_pk_fma_f16 v8, v44, v11, v8 op_sel:[0,1,0]
	v_pk_fma_f16 v9, v43, v11, v33 op_sel_hi:[1,0,1]
	v_pk_fma_f16 v1, v43, v11, v1 op_sel:[0,1,0]
	v_pk_fma_f16 v7, v44, v11, v7 op_sel_hi:[1,0,1]
	s_delay_alu instid0(VALU_DEP_4)
	v_pk_fma_f16 v8, v46, v12, v8 op_sel:[0,1,0]
	v_add_f32_e32 v33, v26, v24
	v_pk_fma_f16 v11, v45, v12, v9 op_sel_hi:[1,0,1]
	v_pk_fma_f16 v1, v45, v12, v1 op_sel:[0,1,0]
	v_pk_fma_f16 v12, v46, v12, v7 op_sel_hi:[1,0,1]
	s_waitcnt lgkmcnt(2)
	v_pk_fma_f16 v25, v28, v13, v8 op_sel:[0,1,0]
	ds_load_2addr_b64 v[7:10], v31 offset0:192 offset1:224
	v_pk_fma_f16 v11, v27, v13, v11 op_sel_hi:[1,0,1]
	v_pk_fma_f16 v1, v27, v13, v1 op_sel:[0,1,0]
	v_pk_fma_f16 v12, v28, v13, v12 op_sel_hi:[1,0,1]
	v_pk_fma_f16 v13, v30, v14, v25 op_sel:[0,1,0]
	ds_load_2addr_b64 v[42:45], v32 offset1:32
	v_pk_fma_f16 v25, v29, v14, v11 op_sel_hi:[1,0,1]
	v_pk_fma_f16 v1, v29, v14, v1 op_sel:[0,1,0]
	v_pk_fma_f16 v27, v30, v14, v12 op_sel_hi:[1,0,1]
	s_waitcnt lgkmcnt(2)
	v_pk_fma_f16 v28, v48, v53, v13 op_sel:[0,1,0]
	ds_load_b128 v[11:14], v41 offset:35264
	v_pk_fma_f16 v29, v47, v53, v25 op_sel_hi:[1,0,1]
	v_pk_fma_f16 v1, v47, v53, v1 op_sel:[0,1,0]
	v_pk_fma_f16 v30, v48, v53, v27 op_sel_hi:[1,0,1]
	v_pk_fma_f16 v28, v50, v54, v28 op_sel:[0,1,0]
	ds_load_2addr_b64 v[24:27], v32 offset0:64 offset1:96
	v_pk_fma_f16 v46, v49, v54, v29 op_sel_hi:[1,0,1]
	v_pk_fma_f16 v1, v49, v54, v1 op_sel:[0,1,0]
	v_pk_fma_f16 v47, v50, v54, v30 op_sel_hi:[1,0,1]
	v_add_f32_e32 v17, v17, v33
	s_waitcnt lgkmcnt(3)
	v_pk_fma_f16 v48, v8, v55, v28 op_sel:[0,1,0]
	v_pk_fma_f16 v50, v7, v55, v46 op_sel_hi:[1,0,1]
	v_pk_fma_f16 v1, v7, v55, v1 op_sel:[0,1,0]
	v_pk_fma_f16 v7, v8, v55, v47 op_sel_hi:[1,0,1]
	ds_load_2addr_b64 v[28:31], v32 offset0:128 offset1:160
	v_pk_fma_f16 v8, v10, v56, v48 op_sel:[0,1,0]
	ds_load_b128 v[46:49], v41 offset:35280
	v_pk_fma_f16 v50, v9, v56, v50 op_sel_hi:[1,0,1]
	v_pk_fma_f16 v1, v9, v56, v1 op_sel:[0,1,0]
	v_pk_fma_f16 v7, v10, v56, v7 op_sel_hi:[1,0,1]
	s_waitcnt lgkmcnt(3)
	v_pk_fma_f16 v8, v43, v11, v8 op_sel:[0,1,0]
	v_fmac_f32_e32 v17, v51, v0
	v_pk_fma_f16 v9, v42, v11, v50 op_sel_hi:[1,0,1]
	v_pk_fma_f16 v1, v42, v11, v1 op_sel:[0,1,0]
	v_pk_fma_f16 v7, v43, v11, v7 op_sel_hi:[1,0,1]
	v_pk_fma_f16 v8, v45, v12, v8 op_sel:[0,1,0]
	v_mov_b32_e32 v51, v17
	v_pk_fma_f16 v0, v44, v12, v9 op_sel_hi:[1,0,1]
	v_pk_fma_f16 v1, v44, v12, v1 op_sel:[0,1,0]
	v_pk_fma_f16 v11, v45, v12, v7 op_sel_hi:[1,0,1]
	s_waitcnt lgkmcnt(2)
	v_pk_fma_f16 v12, v25, v13, v8 op_sel:[0,1,0]
	ds_load_2addr_b64 v[7:10], v32 offset0:192 offset1:224
	v_pk_fma_f16 v0, v24, v13, v0 op_sel_hi:[1,0,1]
	v_pk_fma_f16 v1, v24, v13, v1 op_sel:[0,1,0]
	v_pk_fma_f16 v11, v25, v13, v11 op_sel_hi:[1,0,1]
	v_pk_fma_f16 v12, v27, v14, v12 op_sel:[0,1,0]
	ds_load_2addr_b64 v[42:45], v57 offset1:32
	v_pk_fma_f16 v0, v26, v14, v0 op_sel_hi:[1,0,1]
	v_pk_fma_f16 v1, v26, v14, v1 op_sel:[0,1,0]
	v_pk_fma_f16 v24, v27, v14, v11 op_sel_hi:[1,0,1]
	s_waitcnt lgkmcnt(2)
	v_pk_fma_f16 v25, v29, v46, v12 op_sel:[0,1,0]
	ds_load_b128 v[11:14], v41 offset:35296
	v_pk_fma_f16 v0, v28, v46, v0 op_sel_hi:[1,0,1]
	v_pk_fma_f16 v1, v28, v46, v1 op_sel:[0,1,0]
	v_pk_fma_f16 v24, v29, v46, v24 op_sel_hi:[1,0,1]
	v_pk_fma_f16 v17, v31, v47, v25 op_sel:[0,1,0]
	s_delay_alu instid0(VALU_DEP_4) | instskip(NEXT) | instid1(VALU_DEP_4)
	v_pk_fma_f16 v0, v30, v47, v0 op_sel_hi:[1,0,1]
	v_pk_fma_f16 v1, v30, v47, v1 op_sel:[0,1,0]
	s_delay_alu instid0(VALU_DEP_4)
	v_pk_fma_f16 v28, v31, v47, v24 op_sel_hi:[1,0,1]
	ds_load_2addr_b64 v[24:27], v57 offset0:64 offset1:96
	s_waitcnt lgkmcnt(3)
	v_pk_fma_f16 v17, v8, v48, v17 op_sel:[0,1,0]
	v_pk_fma_f16 v0, v7, v48, v0 op_sel_hi:[1,0,1]
	v_pk_fma_f16 v1, v7, v48, v1 op_sel:[0,1,0]
	v_pk_fma_f16 v7, v8, v48, v28 op_sel_hi:[1,0,1]
	ds_load_2addr_b64 v[28:31], v57 offset0:128 offset1:160
	v_pk_fma_f16 v17, v10, v49, v17 op_sel:[0,1,0]
	v_pk_fma_f16 v0, v9, v49, v0 op_sel_hi:[1,0,1]
	v_pk_fma_f16 v1, v9, v49, v1 op_sel:[0,1,0]
	v_pk_fma_f16 v32, v10, v49, v7 op_sel_hi:[1,0,1]
	ds_load_b128 v[7:10], v41 offset:35312
	s_waitcnt lgkmcnt(3)
	v_pk_fma_f16 v17, v43, v11, v17 op_sel:[0,1,0]
	v_pk_fma_f16 v33, v42, v11, v0 op_sel_hi:[1,0,1]
	v_pk_fma_f16 v41, v42, v11, v1 op_sel:[0,1,0]
	v_pk_fma_f16 v11, v43, v11, v32 op_sel_hi:[1,0,1]
	v_dual_mov_b32 v0, v2 :: v_dual_mov_b32 v1, v3
	v_pk_fma_f16 v2, v45, v12, v17 op_sel:[0,1,0]
	v_pk_fma_f16 v3, v44, v12, v33 op_sel_hi:[1,0,1]
	v_pk_fma_f16 v17, v44, v12, v41 op_sel:[0,1,0]
	v_pk_fma_f16 v11, v45, v12, v11 op_sel_hi:[1,0,1]
	ds_load_2addr_b64 v[43:46], v57 offset0:192 offset1:224
	s_waitcnt lgkmcnt(3)
	v_pk_fma_f16 v2, v25, v13, v2 op_sel:[0,1,0]
	v_pk_fma_f16 v3, v24, v13, v3 op_sel_hi:[1,0,1]
	v_pk_fma_f16 v12, v24, v13, v17 op_sel:[0,1,0]
	v_pk_fma_f16 v11, v25, v13, v11 op_sel_hi:[1,0,1]
	v_add_f32_e32 v13, v15, v16
	v_pk_fma_f16 v2, v27, v14, v2 op_sel:[0,1,0]
	v_pk_fma_f16 v3, v26, v14, v3 op_sel_hi:[1,0,1]
	v_pk_fma_f16 v12, v26, v14, v12 op_sel:[0,1,0]
	v_pk_fma_f16 v11, v27, v14, v11 op_sel_hi:[1,0,1]
	v_add_f32_e32 v5, v5, v13
	s_waitcnt lgkmcnt(1)
	v_pk_fma_f16 v2, v29, v7, v2 op_sel:[0,1,0]
	v_pk_fma_f16 v3, v28, v7, v3 op_sel_hi:[1,0,1]
	v_pk_fma_f16 v12, v28, v7, v12 op_sel:[0,1,0]
	v_pk_fma_f16 v7, v29, v7, v11 op_sel_hi:[1,0,1]
	v_add_f32_e32 v4, v4, v5
	v_pk_fma_f16 v2, v31, v8, v2 op_sel:[0,1,0]
	v_pk_fma_f16 v3, v30, v8, v3 op_sel_hi:[1,0,1]
	v_pk_fma_f16 v5, v30, v8, v12 op_sel:[0,1,0]
	v_pk_fma_f16 v7, v31, v8, v7 op_sel_hi:[1,0,1]
	v_fmac_f32_e32 v4, v52, v6
	s_waitcnt lgkmcnt(0)
	v_pk_fma_f16 v2, v44, v9, v2 op_sel:[0,1,0]
	v_pk_fma_f16 v3, v43, v9, v3 op_sel_hi:[1,0,1]
	v_pk_fma_f16 v5, v43, v9, v5 op_sel:[0,1,0]
	v_pk_fma_f16 v6, v44, v9, v7 op_sel_hi:[1,0,1]
	v_mov_b32_e32 v52, v4
	v_pk_fma_f16 v44, v46, v10, v2 op_sel:[0,1,0]
	v_pk_fma_f16 v47, v45, v10, v3 op_sel_hi:[1,0,1]
	v_pk_fma_f16 v45, v45, v10, v5 op_sel:[0,1,0]
	v_pk_fma_f16 v48, v46, v10, v6 op_sel_hi:[1,0,1]
	v_mov_b32_e32 v2, v40
	s_barrier
	buffer_gl0_inv
.LBB88_137:
	v_cmp_lt_i32_e32 vcc_lo, v19, v21
	s_cmp_eq_u64 s[24:25], 0
	s_cselect_b32 s2, -1, 0
	s_cmp_lg_u32 s14, 0
	v_cndmask_b32_e32 v3, v2, v19, vcc_lo
	v_cmp_lt_i32_e32 vcc_lo, v18, v21
	s_cselect_b32 s3, -1, 0
	s_delay_alu instid0(SALU_CYCLE_1) | instskip(NEXT) | instid1(VALU_DEP_2)
	s_or_b32 s2, s3, s2
	v_lshlrev_b32_e32 v3, 2, v3
	v_cndmask_b32_e32 v5, v2, v18, vcc_lo
	v_cmp_lt_i32_e32 vcc_lo, v20, v21
	ds_bpermute_b32 v4, v3, v51
	s_waitcnt lgkmcnt(0)
	v_dual_add_f32 v4, v51, v4 :: v_dual_lshlrev_b32 v5, 2, v5
	ds_bpermute_b32 v6, v5, v4
	s_waitcnt lgkmcnt(0)
	v_add_f32_e32 v4, v4, v6
	ds_bpermute_b32 v3, v3, v52
	v_cndmask_b32_e32 v7, v2, v20, vcc_lo
	v_cmp_lt_i32_e32 vcc_lo, v22, v21
	s_delay_alu instid0(VALU_DEP_2)
	v_lshlrev_b32_e32 v7, 2, v7
	s_waitcnt lgkmcnt(0)
	v_add_f32_e32 v3, v52, v3
	ds_bpermute_b32 v5, v5, v3
	s_waitcnt lgkmcnt(0)
	v_add_f32_e32 v3, v3, v5
	ds_bpermute_b32 v5, v7, v4
	ds_bpermute_b32 v6, v7, v3
	v_cndmask_b32_e32 v7, v2, v22, vcc_lo
	v_cmp_lt_i32_e32 vcc_lo, v23, v21
	s_delay_alu instid0(VALU_DEP_2) | instskip(SKIP_2) | instid1(VALU_DEP_1)
	v_lshlrev_b32_e32 v7, 2, v7
	v_cndmask_b32_e32 v2, v2, v23, vcc_lo
	s_and_b32 vcc_lo, exec_lo, s2
	v_lshlrev_b32_e32 v2, 2, v2
	s_waitcnt lgkmcnt(0)
	v_dual_add_f32 v4, v4, v5 :: v_dual_add_f32 v3, v3, v6
	ds_bpermute_b32 v5, v7, v4
	ds_bpermute_b32 v6, v7, v3
	s_waitcnt lgkmcnt(0)
	v_dual_add_f32 v4, v4, v5 :: v_dual_add_f32 v3, v3, v6
	ds_bpermute_b32 v5, v2, v4
	ds_bpermute_b32 v6, v2, v3
	s_waitcnt lgkmcnt(0)
	v_dual_add_f32 v2, v4, v5 :: v_dual_add_f32 v3, v3, v6
	s_cbranch_vccnz .LBB88_139
; %bb.138:
	s_lshl_b64 s[2:3], s[34:35], 2
	v_dual_mov_b32 v4, 0 :: v_dual_max_f32 v5, v0, v0
	s_add_u32 s2, s24, s2
	s_addc_u32 s3, s25, s3
	v_max_f32_e32 v8, v1, v1
	global_load_b32 v4, v4, s[2:3]
	s_waitcnt vmcnt(0)
	v_max_f32_e32 v7, v4, v4
	s_delay_alu instid0(VALU_DEP_1) | instskip(NEXT) | instid1(VALU_DEP_1)
	v_max_f32_e32 v6, v5, v7
	v_sub_f32_e32 v5, v4, v6
	s_delay_alu instid0(VALU_DEP_1) | instskip(SKIP_1) | instid1(VALU_DEP_2)
	v_dual_mul_f32 v9, 0x3fb8aa3b, v5 :: v_dual_sub_f32 v0, v0, v6
	v_max_f32_e32 v7, v8, v7
	v_rndne_f32_e32 v15, v9
	s_delay_alu instid0(VALU_DEP_2) | instskip(NEXT) | instid1(VALU_DEP_4)
	v_sub_f32_e32 v8, v4, v7
	v_dual_mul_f32 v4, 0x3fb8aa3b, v0 :: v_dual_sub_f32 v1, v1, v7
	v_cmp_ngt_f32_e32 vcc_lo, 0xc2ce8ed0, v0
	s_delay_alu instid0(VALU_DEP_2) | instskip(NEXT) | instid1(VALU_DEP_3)
	v_fma_f32 v12, 0x3fb8aa3b, v0, -v4
	v_mul_f32_e32 v10, 0x3fb8aa3b, v1
	v_fma_f32 v14, 0x3fb8aa3b, v5, -v9
	v_rndne_f32_e32 v13, v4
	s_delay_alu instid0(VALU_DEP_4) | instskip(NEXT) | instid1(VALU_DEP_4)
	v_dual_sub_f32 v9, v9, v15 :: v_dual_fmac_f32 v12, 0x32a5705f, v0
	v_fma_f32 v16, 0x3fb8aa3b, v1, -v10
	s_delay_alu instid0(VALU_DEP_4) | instskip(NEXT) | instid1(VALU_DEP_4)
	v_fmac_f32_e32 v14, 0x32a5705f, v5
	v_sub_f32_e32 v4, v4, v13
	v_rndne_f32_e32 v17, v10
	s_delay_alu instid0(VALU_DEP_3) | instskip(SKIP_1) | instid1(VALU_DEP_4)
	v_add_f32_e32 v9, v9, v14
	v_mul_f32_e32 v11, 0x3fb8aa3b, v8
	v_add_f32_e32 v4, v4, v12
	v_cvt_i32_f32_e32 v12, v13
	v_cvt_i32_f32_e32 v13, v15
	v_exp_f32_e32 v9, v9
	v_fma_f32 v18, 0x3fb8aa3b, v8, -v11
	v_exp_f32_e32 v4, v4
	v_rndne_f32_e32 v19, v11
	v_cvt_i32_f32_e32 v14, v17
	s_delay_alu instid0(VALU_DEP_2) | instskip(SKIP_1) | instid1(TRANS32_DEP_2)
	v_sub_f32_e32 v11, v11, v19
	v_cvt_i32_f32_e32 v15, v19
	v_ldexp_f32 v9, v9, v13
	s_waitcnt_depctr 0xfff
	v_ldexp_f32 v4, v4, v12
	s_delay_alu instid0(VALU_DEP_1) | instskip(SKIP_2) | instid1(VALU_DEP_1)
	v_cndmask_b32_e32 v4, 0, v4, vcc_lo
	v_cmp_ngt_f32_e32 vcc_lo, 0xc2ce8ed0, v5
	v_dual_fmac_f32 v18, 0x32a5705f, v8 :: v_dual_cndmask_b32 v9, 0, v9
	v_dual_fmac_f32 v16, 0x32a5705f, v1 :: v_dual_add_f32 v11, v11, v18
	v_cmp_ngt_f32_e32 vcc_lo, 0xc2ce8ed0, v1
	s_delay_alu instid0(VALU_DEP_2) | instskip(SKIP_3) | instid1(VALU_DEP_1)
	v_exp_f32_e32 v11, v11
	s_waitcnt_depctr 0xfff
	v_ldexp_f32 v11, v11, v15
	v_sub_f32_e32 v10, v10, v17
	v_add_f32_e32 v10, v10, v16
	s_delay_alu instid0(VALU_DEP_1) | instskip(SKIP_2) | instid1(VALU_DEP_1)
	v_exp_f32_e32 v10, v10
	s_waitcnt_depctr 0xfff
	v_ldexp_f32 v10, v10, v14
	v_cndmask_b32_e32 v10, 0, v10, vcc_lo
	v_cmp_ngt_f32_e32 vcc_lo, 0xc2ce8ed0, v8
	v_cndmask_b32_e32 v11, 0, v11, vcc_lo
	v_cmp_nlt_f32_e32 vcc_lo, 0x42b17218, v0
	v_cndmask_b32_e32 v0, 0x7f800000, v4, vcc_lo
	v_cmp_nlt_f32_e32 vcc_lo, 0x42b17218, v5
	;; [unrolled: 2-line block ×3, first 2 shown]
	s_delay_alu instid0(VALU_DEP_2) | instskip(SKIP_2) | instid1(VALU_DEP_3)
	v_dual_fmac_f32 v4, v2, v0 :: v_dual_cndmask_b32 v1, 0x7f800000, v10
	v_cmp_nlt_f32_e32 vcc_lo, 0x42b17218, v8
	v_cvt_f16_f32_e32 v8, v0
	v_cvt_f16_f32_e32 v9, v1
	v_cndmask_b32_e32 v5, 0x7f800000, v11, vcc_lo
	s_delay_alu instid0(VALU_DEP_3) | instskip(SKIP_1) | instid1(VALU_DEP_4)
	v_pk_mul_f16 v47, v8, v47 op_sel_hi:[0,1]
	v_pk_mul_f16 v48, v8, v48 op_sel_hi:[0,1]
	;; [unrolled: 1-line block ×3, first 2 shown]
	s_delay_alu instid0(VALU_DEP_4) | instskip(SKIP_3) | instid1(VALU_DEP_4)
	v_fmac_f32_e32 v5, v3, v1
	v_mov_b32_e32 v2, v4
	v_dual_mov_b32 v0, v6 :: v_dual_mov_b32 v1, v7
	v_pk_mul_f16 v44, v9, v44 op_sel_hi:[0,1]
	v_mov_b32_e32 v3, v5
	s_mov_b32 s2, exec_lo
	v_cmpx_gt_i32_e64 s38, v39
	s_cbranch_execnz .LBB88_140
	s_branch .LBB88_149
.LBB88_139:
	s_delay_alu instid0(VALU_DEP_1)
	v_dual_mov_b32 v4, v2 :: v_dual_mov_b32 v5, v3
	s_mov_b32 s2, exec_lo
	v_cmpx_gt_i32_e64 s38, v39
	s_cbranch_execz .LBB88_149
.LBB88_140:
	s_load_b32 s1, s[0:1], 0xd4
	v_mov_b32_e32 v8, 1.0
	s_waitcnt lgkmcnt(0)
	s_cmp_lg_u32 s1, 1
	s_cselect_b32 s4, -1, 0
	s_cmp_eq_u32 s1, 1
	s_cselect_b32 s2, -1, 0
	s_and_b32 vcc_lo, exec_lo, s4
	s_cbranch_vccnz .LBB88_142
; %bb.141:
	v_div_scale_f32 v6, null, v4, v4, 1.0
	s_delay_alu instid0(VALU_DEP_1) | instskip(SKIP_2) | instid1(VALU_DEP_1)
	v_rcp_f32_e32 v7, v6
	s_waitcnt_depctr 0xfff
	v_fma_f32 v8, -v6, v7, 1.0
	v_fmac_f32_e32 v7, v8, v7
	v_div_scale_f32 v8, vcc_lo, 1.0, v4, 1.0
	s_delay_alu instid0(VALU_DEP_1) | instskip(NEXT) | instid1(VALU_DEP_1)
	v_mul_f32_e32 v9, v8, v7
	v_fma_f32 v10, -v6, v9, v8
	s_delay_alu instid0(VALU_DEP_1) | instskip(NEXT) | instid1(VALU_DEP_1)
	v_fmac_f32_e32 v9, v10, v7
	v_fma_f32 v6, -v6, v9, v8
	s_delay_alu instid0(VALU_DEP_1) | instskip(NEXT) | instid1(VALU_DEP_1)
	v_div_fmas_f32 v6, v6, v7, v9
	v_div_fixup_f32 v8, v6, v4, 1.0
.LBB88_142:
	s_mul_i32 s3, s33, s38
	v_cvt_f32_f16_e32 v11, v47
	s_add_i32 s3, s3, s15
	v_cvt_f32_f16_e32 v12, v48
	v_add_nc_u32_e32 v4, s3, v36
	v_cmp_eq_u32_e32 vcc_lo, 0, v38
	s_delay_alu instid0(VALU_DEP_2) | instskip(SKIP_2) | instid1(VALU_DEP_1)
	v_mad_u64_u32 v[9:10], null, v4, s39, s[34:35]
	v_mov_b32_e32 v10, 0
	v_lshrrev_b32_e32 v4, 16, v47
	v_cvt_f32_f16_e32 v4, v4
	s_delay_alu instid0(VALU_DEP_4) | instskip(SKIP_1) | instid1(VALU_DEP_1)
	v_mad_u64_u32 v[6:7], null, s1, v9, s[14:15]
	v_lshrrev_b32_e32 v7, 16, v48
	v_cvt_f32_f16_e32 v7, v7
	s_delay_alu instid0(VALU_DEP_3) | instskip(NEXT) | instid1(VALU_DEP_1)
	v_lshl_add_u32 v9, v6, 7, v37
	v_lshlrev_b64 v[13:14], 2, v[9:10]
	v_mul_f32_e32 v9, v8, v11
	v_mul_f32_e32 v11, v8, v12
	v_mul_f32_e32 v12, v8, v7
	v_mul_f32_e32 v10, v8, v4
	v_add_co_u32 v7, s0, s28, v13
	s_delay_alu instid0(VALU_DEP_1)
	v_add_co_ci_u32_e64 v8, s0, s29, v14, s0
	s_and_b32 s0, vcc_lo, s4
	global_store_b128 v[7:8], v[9:12], off
	s_and_saveexec_b32 s4, s0
	s_cbranch_execz .LBB88_144
; %bb.143:
	v_ashrrev_i32_e32 v7, 31, v6
	v_dual_mov_b32 v8, v0 :: v_dual_mov_b32 v9, v2
	s_delay_alu instid0(VALU_DEP_2) | instskip(NEXT) | instid1(VALU_DEP_1)
	v_lshlrev_b64 v[6:7], 3, v[6:7]
	v_add_co_u32 v6, vcc_lo, s30, v6
	s_delay_alu instid0(VALU_DEP_2)
	v_add_co_ci_u32_e32 v7, vcc_lo, s31, v7, vcc_lo
	global_store_b64 v[6:7], v[8:9], off
.LBB88_144:
	s_or_b32 exec_lo, exec_lo, s4
	v_cmp_gt_i32_e32 vcc_lo, s38, v35
	s_and_b32 exec_lo, exec_lo, vcc_lo
	s_cbranch_execz .LBB88_149
; %bb.145:
	v_mov_b32_e32 v0, 1.0
	s_and_not1_b32 vcc_lo, exec_lo, s2
	s_cbranch_vccnz .LBB88_147
; %bb.146:
	v_div_scale_f32 v0, null, v5, v5, 1.0
	s_delay_alu instid0(VALU_DEP_1) | instskip(SKIP_2) | instid1(VALU_DEP_1)
	v_rcp_f32_e32 v2, v0
	s_waitcnt_depctr 0xfff
	v_fma_f32 v4, -v0, v2, 1.0
	v_fmac_f32_e32 v2, v4, v2
	v_div_scale_f32 v4, vcc_lo, 1.0, v5, 1.0
	s_delay_alu instid0(VALU_DEP_1) | instskip(NEXT) | instid1(VALU_DEP_1)
	v_mul_f32_e32 v6, v4, v2
	v_fma_f32 v7, -v0, v6, v4
	s_delay_alu instid0(VALU_DEP_1) | instskip(NEXT) | instid1(VALU_DEP_1)
	v_fmac_f32_e32 v6, v7, v2
	v_fma_f32 v0, -v0, v6, v4
	s_delay_alu instid0(VALU_DEP_1) | instskip(NEXT) | instid1(VALU_DEP_1)
	v_div_fmas_f32 v0, v0, v2, v6
	v_div_fixup_f32 v0, v0, v5, 1.0
.LBB88_147:
	v_cvt_f32_f16_e32 v8, v45
	v_add_nc_u32_e32 v2, s3, v34
	v_cvt_f32_f16_e32 v11, v44
	s_delay_alu instid0(VALU_DEP_2) | instskip(SKIP_2) | instid1(VALU_DEP_2)
	v_mad_u64_u32 v[6:7], null, v2, s39, s[34:35]
	v_lshrrev_b32_e32 v7, 16, v44
	v_lshrrev_b32_e32 v2, 16, v45
	v_cvt_f32_f16_e32 v12, v7
	s_delay_alu instid0(VALU_DEP_4) | instskip(SKIP_1) | instid1(VALU_DEP_4)
	v_mad_u64_u32 v[4:5], null, s1, v6, s[14:15]
	v_dual_mov_b32 v6, 0 :: v_dual_mul_f32 v7, v0, v11
	v_cvt_f32_f16_e32 v2, v2
	s_delay_alu instid0(VALU_DEP_3) | instskip(NEXT) | instid1(VALU_DEP_1)
	v_lshl_add_u32 v5, v4, 7, v37
	v_lshlrev_b64 v[9:10], 2, v[5:6]
	v_mul_f32_e32 v5, v0, v8
	s_delay_alu instid0(VALU_DEP_4) | instskip(SKIP_1) | instid1(VALU_DEP_4)
	v_mul_f32_e32 v6, v0, v2
	v_mul_f32_e32 v8, v0, v12
	v_add_co_u32 v9, vcc_lo, s28, v9
	v_add_co_ci_u32_e32 v10, vcc_lo, s29, v10, vcc_lo
	global_store_b128 v[9:10], v[5:8], off
	s_and_b32 exec_lo, exec_lo, s0
	s_cbranch_execz .LBB88_149
; %bb.148:
	v_ashrrev_i32_e32 v5, 31, v4
	v_mov_b32_e32 v2, v1
	s_delay_alu instid0(VALU_DEP_2) | instskip(NEXT) | instid1(VALU_DEP_1)
	v_lshlrev_b64 v[4:5], 3, v[4:5]
	v_add_co_u32 v4, vcc_lo, s30, v4
	s_delay_alu instid0(VALU_DEP_2)
	v_add_co_ci_u32_e32 v5, vcc_lo, s31, v5, vcc_lo
	global_store_b64 v[4:5], v[2:3], off
	s_nop 0
	s_sendmsg sendmsg(MSG_DEALLOC_VGPRS)
	s_endpgm
.LBB88_149:
	s_nop 0
	s_sendmsg sendmsg(MSG_DEALLOC_VGPRS)
	s_endpgm
	.section	.rodata,"a",@progbits
	.p2align	6, 0x0
	.amdhsa_kernel _ZL15flash_attn_tileILi128ELi128ELi16ELi1ELb1EEvPKcS1_S1_S1_S1_PKiPfP15HIP_vector_typeIfLj2EEffffjfiS5_IjLj3EEiiiiiiiiiiiliiliiiiil
		.amdhsa_group_segment_fixed_size 43008
		.amdhsa_private_segment_fixed_size 32
		.amdhsa_kernarg_size 464
		.amdhsa_user_sgpr_count 13
		.amdhsa_user_sgpr_dispatch_ptr 0
		.amdhsa_user_sgpr_queue_ptr 0
		.amdhsa_user_sgpr_kernarg_segment_ptr 1
		.amdhsa_user_sgpr_dispatch_id 0
		.amdhsa_user_sgpr_private_segment_size 0
		.amdhsa_wavefront_size32 1
		.amdhsa_uses_dynamic_stack 0
		.amdhsa_enable_private_segment 1
		.amdhsa_system_sgpr_workgroup_id_x 1
		.amdhsa_system_sgpr_workgroup_id_y 1
		.amdhsa_system_sgpr_workgroup_id_z 1
		.amdhsa_system_sgpr_workgroup_info 0
		.amdhsa_system_vgpr_workitem_id 1
		.amdhsa_next_free_vgpr 141
		.amdhsa_next_free_sgpr 47
		.amdhsa_reserve_vcc 1
		.amdhsa_float_round_mode_32 0
		.amdhsa_float_round_mode_16_64 0
		.amdhsa_float_denorm_mode_32 3
		.amdhsa_float_denorm_mode_16_64 3
		.amdhsa_dx10_clamp 1
		.amdhsa_ieee_mode 1
		.amdhsa_fp16_overflow 0
		.amdhsa_workgroup_processor_mode 1
		.amdhsa_memory_ordered 1
		.amdhsa_forward_progress 0
		.amdhsa_shared_vgpr_count 0
		.amdhsa_exception_fp_ieee_invalid_op 0
		.amdhsa_exception_fp_denorm_src 0
		.amdhsa_exception_fp_ieee_div_zero 0
		.amdhsa_exception_fp_ieee_overflow 0
		.amdhsa_exception_fp_ieee_underflow 0
		.amdhsa_exception_fp_ieee_inexact 0
		.amdhsa_exception_int_div_zero 0
	.end_amdhsa_kernel
	.section	.text._ZL15flash_attn_tileILi128ELi128ELi16ELi1ELb1EEvPKcS1_S1_S1_S1_PKiPfP15HIP_vector_typeIfLj2EEffffjfiS5_IjLj3EEiiiiiiiiiiiliiliiiiil,"axG",@progbits,_ZL15flash_attn_tileILi128ELi128ELi16ELi1ELb1EEvPKcS1_S1_S1_S1_PKiPfP15HIP_vector_typeIfLj2EEffffjfiS5_IjLj3EEiiiiiiiiiiiliiliiiiil,comdat
.Lfunc_end88:
	.size	_ZL15flash_attn_tileILi128ELi128ELi16ELi1ELb1EEvPKcS1_S1_S1_S1_PKiPfP15HIP_vector_typeIfLj2EEffffjfiS5_IjLj3EEiiiiiiiiiiiliiliiiiil, .Lfunc_end88-_ZL15flash_attn_tileILi128ELi128ELi16ELi1ELb1EEvPKcS1_S1_S1_S1_PKiPfP15HIP_vector_typeIfLj2EEffffjfiS5_IjLj3EEiiiiiiiiiiiliiliiiiil
                                        ; -- End function
	.section	.AMDGPU.csdata,"",@progbits
; Kernel info:
; codeLenInByte = 50564
; NumSgprs: 49
; NumVgprs: 141
; ScratchSize: 32
; MemoryBound: 0
; FloatMode: 240
; IeeeMode: 1
; LDSByteSize: 43008 bytes/workgroup (compile time only)
; SGPRBlocks: 6
; VGPRBlocks: 17
; NumSGPRsForWavesPerEU: 49
; NumVGPRsForWavesPerEU: 141
; Occupancy: 6
; WaveLimiterHint : 1
; COMPUTE_PGM_RSRC2:SCRATCH_EN: 1
; COMPUTE_PGM_RSRC2:USER_SGPR: 13
; COMPUTE_PGM_RSRC2:TRAP_HANDLER: 0
; COMPUTE_PGM_RSRC2:TGID_X_EN: 1
; COMPUTE_PGM_RSRC2:TGID_Y_EN: 1
; COMPUTE_PGM_RSRC2:TGID_Z_EN: 1
; COMPUTE_PGM_RSRC2:TIDIG_COMP_CNT: 1
	.section	.text._ZL15flash_attn_tileILi128ELi128ELi8ELi1ELb1EEvPKcS1_S1_S1_S1_PKiPfP15HIP_vector_typeIfLj2EEffffjfiS5_IjLj3EEiiiiiiiiiiiliiliiiiil,"axG",@progbits,_ZL15flash_attn_tileILi128ELi128ELi8ELi1ELb1EEvPKcS1_S1_S1_S1_PKiPfP15HIP_vector_typeIfLj2EEffffjfiS5_IjLj3EEiiiiiiiiiiiliiliiiiil,comdat
	.globl	_ZL15flash_attn_tileILi128ELi128ELi8ELi1ELb1EEvPKcS1_S1_S1_S1_PKiPfP15HIP_vector_typeIfLj2EEffffjfiS5_IjLj3EEiiiiiiiiiiiliiliiiiil ; -- Begin function _ZL15flash_attn_tileILi128ELi128ELi8ELi1ELb1EEvPKcS1_S1_S1_S1_PKiPfP15HIP_vector_typeIfLj2EEffffjfiS5_IjLj3EEiiiiiiiiiiiliiliiiiil
	.p2align	8
	.type	_ZL15flash_attn_tileILi128ELi128ELi8ELi1ELb1EEvPKcS1_S1_S1_S1_PKiPfP15HIP_vector_typeIfLj2EEffffjfiS5_IjLj3EEiiiiiiiiiiiliiliiiiil,@function
_ZL15flash_attn_tileILi128ELi128ELi8ELi1ELb1EEvPKcS1_S1_S1_S1_PKiPfP15HIP_vector_typeIfLj2EEffffjfiS5_IjLj3EEiiiiiiiiiiiliiliiiiil: ; @_ZL15flash_attn_tileILi128ELi128ELi8ELi1ELb1EEvPKcS1_S1_S1_S1_PKiPfP15HIP_vector_typeIfLj2EEffffjfiS5_IjLj3EEiiiiiiiiiiiliiliiiiil
; %bb.0:
	s_clause 0x3
	s_load_b128 s[8:11], s[0:1], 0x5c
	s_load_b64 s[42:43], s[0:1], 0x80
	s_load_b512 s[16:31], s[0:1], 0x0
	s_load_b64 s[44:45], s[0:1], 0xb8
	s_mov_b64 s[40:41], 0
	s_waitcnt lgkmcnt(0)
	v_cvt_f32_u32_e32 v1, s11
	s_sub_i32 s3, 0, s11
	s_delay_alu instid0(VALU_DEP_1) | instskip(SKIP_2) | instid1(VALU_DEP_1)
	v_rcp_iflag_f32_e32 v1, v1
	s_waitcnt_depctr 0xfff
	v_mul_f32_e32 v1, 0x4f7ffffe, v1
	v_cvt_u32_f32_e32 v1, v1
	s_delay_alu instid0(VALU_DEP_1) | instskip(NEXT) | instid1(VALU_DEP_1)
	v_readfirstlane_b32 s2, v1
	s_mul_i32 s3, s3, s2
	s_delay_alu instid0(SALU_CYCLE_1) | instskip(NEXT) | instid1(SALU_CYCLE_1)
	s_mul_hi_u32 s3, s2, s3
	s_add_i32 s2, s2, s3
	s_delay_alu instid0(SALU_CYCLE_1) | instskip(NEXT) | instid1(SALU_CYCLE_1)
	s_mul_hi_u32 s2, s15, s2
	s_mul_i32 s3, s2, s11
	s_add_i32 s4, s2, 1
	s_sub_i32 s3, s15, s3
	s_delay_alu instid0(SALU_CYCLE_1)
	s_sub_i32 s5, s3, s11
	s_cmp_ge_u32 s3, s11
	s_cselect_b32 s2, s4, s2
	s_cselect_b32 s3, s5, s3
	s_add_i32 s4, s2, 1
	s_cmp_ge_u32 s3, s11
	s_cselect_b32 s33, s4, s2
	s_abs_i32 s2, s43
	s_abs_i32 s6, s11
	v_cvt_f32_u32_e32 v1, s2
	s_sub_i32 s4, 0, s2
	s_mul_i32 s5, s33, s11
	s_delay_alu instid0(SALU_CYCLE_1) | instskip(NEXT) | instid1(VALU_DEP_1)
	s_sub_i32 s34, s15, s5
	v_rcp_iflag_f32_e32 v1, v1
	s_waitcnt_depctr 0xfff
	v_mul_f32_e32 v1, 0x4f7ffffe, v1
	s_delay_alu instid0(VALU_DEP_1) | instskip(NEXT) | instid1(VALU_DEP_1)
	v_cvt_u32_f32_e32 v1, v1
	v_readfirstlane_b32 s3, v1
	s_delay_alu instid0(VALU_DEP_1) | instskip(NEXT) | instid1(SALU_CYCLE_1)
	s_mul_i32 s4, s4, s3
	s_mul_hi_u32 s4, s3, s4
	s_delay_alu instid0(SALU_CYCLE_1) | instskip(SKIP_4) | instid1(SALU_CYCLE_1)
	s_add_i32 s3, s3, s4
	s_xor_b32 s4, s11, s43
	s_mul_hi_u32 s3, s6, s3
	s_ashr_i32 s4, s4, 31
	s_mul_i32 s5, s3, s2
	s_sub_i32 s5, s6, s5
	s_add_i32 s6, s3, 1
	s_sub_i32 s7, s5, s2
	s_cmp_ge_u32 s5, s2
	s_cselect_b32 s3, s6, s3
	s_cselect_b32 s5, s7, s5
	s_add_i32 s6, s3, 1
	s_cmp_ge_u32 s5, s2
	s_cselect_b32 s2, s6, s3
	s_abs_i32 s43, s34
	s_xor_b32 s2, s2, s4
	s_delay_alu instid0(SALU_CYCLE_1) | instskip(NEXT) | instid1(SALU_CYCLE_1)
	s_sub_i32 s46, s2, s4
	s_abs_i32 s12, s46
	s_delay_alu instid0(SALU_CYCLE_1) | instskip(SKIP_1) | instid1(VALU_DEP_1)
	v_cvt_f32_u32_e32 v1, s12
	s_sub_i32 s3, 0, s12
	v_rcp_iflag_f32_e32 v1, v1
	s_waitcnt_depctr 0xfff
	v_mul_f32_e32 v1, 0x4f7ffffe, v1
	s_delay_alu instid0(VALU_DEP_1) | instskip(NEXT) | instid1(VALU_DEP_1)
	v_cvt_u32_f32_e32 v1, v1
	v_readfirstlane_b32 s2, v1
	s_delay_alu instid0(VALU_DEP_1) | instskip(NEXT) | instid1(SALU_CYCLE_1)
	s_mul_i32 s3, s3, s2
	s_mul_hi_u32 s3, s2, s3
	s_delay_alu instid0(SALU_CYCLE_1)
	s_add_i32 s2, s2, s3
	s_cmp_eq_u64 s[22:23], 0
	s_cbranch_scc1 .LBB89_2
; %bb.1:
	s_abs_i32 s3, s44
	s_abs_i32 s6, s33
	v_cvt_f32_u32_e32 v1, s3
	s_sub_i32 s5, 0, s3
	s_delay_alu instid0(VALU_DEP_1) | instskip(SKIP_2) | instid1(VALU_DEP_1)
	v_rcp_iflag_f32_e32 v1, v1
	s_waitcnt_depctr 0xfff
	v_mul_f32_e32 v1, 0x4f7ffffe, v1
	v_cvt_u32_f32_e32 v1, v1
	s_delay_alu instid0(VALU_DEP_1) | instskip(NEXT) | instid1(VALU_DEP_1)
	v_readfirstlane_b32 s4, v1
	s_mul_i32 s5, s5, s4
	s_delay_alu instid0(SALU_CYCLE_1) | instskip(NEXT) | instid1(SALU_CYCLE_1)
	s_mul_hi_u32 s5, s4, s5
	s_add_i32 s7, s4, s5
	s_load_b64 s[4:5], s[0:1], 0xc8
	s_mul_hi_u32 s7, s6, s7
	s_delay_alu instid0(SALU_CYCLE_1) | instskip(NEXT) | instid1(SALU_CYCLE_1)
	s_mul_i32 s7, s7, s3
	s_sub_i32 s6, s6, s7
	s_ashr_i32 s7, s33, 31
	s_sub_i32 s15, s6, s3
	s_cmp_ge_u32 s6, s3
	s_cselect_b32 s6, s15, s6
	s_delay_alu instid0(SALU_CYCLE_1) | instskip(SKIP_2) | instid1(SALU_CYCLE_1)
	s_sub_i32 s15, s6, s3
	s_cmp_ge_u32 s6, s3
	s_cselect_b32 s3, s15, s6
	s_xor_b32 s3, s3, s7
	s_delay_alu instid0(SALU_CYCLE_1)
	s_sub_i32 s3, s3, s7
	s_waitcnt lgkmcnt(0)
	s_mul_i32 s5, s3, s5
	s_mul_hi_u32 s6, s3, s4
	s_ashr_i32 s7, s3, 31
	s_add_i32 s5, s6, s5
	s_mul_i32 s7, s7, s4
	s_mul_i32 s3, s3, s4
	s_add_i32 s5, s5, s7
	s_add_u32 s40, s22, s3
	s_addc_u32 s41, s23, s5
.LBB89_2:
	s_clause 0x1
	s_load_b128 s[36:39], s[0:1], 0x40
	s_load_b64 s[22:23], s[0:1], 0x50
	v_mov_b32_e32 v47, 1.0
	s_waitcnt lgkmcnt(0)
	v_cmp_le_f32_e64 s3, s37, 0
	s_mul_hi_u32 s37, s43, s2
	s_delay_alu instid0(VALU_DEP_1)
	s_and_b32 vcc_lo, exec_lo, s3
	s_cbranch_vccnz .LBB89_4
; %bb.3:
	s_sub_i32 s2, s34, s22
	s_add_i32 s3, s34, 1
	s_lshl_b32 s2, s2, 1
	v_mov_b32_e32 v1, s38
	s_or_b32 s2, s2, 1
	s_cmp_lt_u32 s34, s22
	s_cselect_b32 vcc_lo, -1, 0
	s_delay_alu instid0(VALU_DEP_1)
	v_cndmask_b32_e32 v3, s39, v1, vcc_lo
	s_and_b32 s4, vcc_lo, exec_lo
	s_cselect_b32 s2, s3, s2
	s_mov_b32 s3, 0x3e76c4e1
	v_cvt_f32_i32_e32 v1, s2
	v_cmp_neq_f32_e32 vcc_lo, 1.0, v3
	s_delay_alu instid0(VALU_DEP_2) | instskip(NEXT) | instid1(VALU_DEP_1)
	v_cndmask_b32_e32 v4, 1.0, v1, vcc_lo
	v_cmp_eq_f32_e32 vcc_lo, 0, v4
	v_cndmask_b32_e64 v5, |v3|, 1.0, vcc_lo
	s_delay_alu instid0(VALU_DEP_1) | instskip(NEXT) | instid1(VALU_DEP_1)
	v_frexp_mant_f32_e32 v1, v5
	v_cmp_gt_f32_e64 s2, 0x3f2aaaab, v1
	s_delay_alu instid0(VALU_DEP_1) | instskip(NEXT) | instid1(VALU_DEP_1)
	v_cndmask_b32_e64 v2, 1.0, 2.0, s2
	v_mul_f32_e32 v1, v1, v2
	s_delay_alu instid0(VALU_DEP_1) | instskip(SKIP_1) | instid1(VALU_DEP_2)
	v_add_f32_e32 v2, 1.0, v1
	v_add_f32_e32 v7, -1.0, v1
	v_rcp_f32_e32 v6, v2
	s_waitcnt_depctr 0xfff
	v_mul_f32_e32 v8, v7, v6
	s_delay_alu instid0(VALU_DEP_1) | instskip(NEXT) | instid1(VALU_DEP_1)
	v_dual_add_f32 v9, -1.0, v2 :: v_dual_mul_f32 v10, v2, v8
	v_sub_f32_e32 v1, v1, v9
	v_cndmask_b32_e64 v3, v3, 1.0, vcc_lo
	s_delay_alu instid0(VALU_DEP_3) | instskip(NEXT) | instid1(VALU_DEP_2)
	v_fma_f32 v2, v8, v2, -v10
	v_cmp_eq_f32_e64 s4, 0, v3
	s_delay_alu instid0(VALU_DEP_2) | instskip(NEXT) | instid1(VALU_DEP_1)
	v_fmac_f32_e32 v2, v8, v1
	v_add_f32_e32 v1, v10, v2
	s_delay_alu instid0(VALU_DEP_1) | instskip(NEXT) | instid1(VALU_DEP_1)
	v_dual_sub_f32 v10, v1, v10 :: v_dual_sub_f32 v9, v7, v1
	v_dual_sub_f32 v2, v10, v2 :: v_dual_sub_f32 v7, v7, v9
	s_delay_alu instid0(VALU_DEP_1) | instskip(NEXT) | instid1(VALU_DEP_1)
	v_sub_f32_e32 v1, v7, v1
	v_add_f32_e32 v1, v2, v1
	s_delay_alu instid0(VALU_DEP_1) | instskip(NEXT) | instid1(VALU_DEP_1)
	v_add_f32_e32 v1, v9, v1
	v_mul_f32_e32 v1, v6, v1
	s_delay_alu instid0(VALU_DEP_1) | instskip(NEXT) | instid1(VALU_DEP_1)
	v_add_f32_e32 v6, v8, v1
	v_sub_f32_e32 v2, v6, v8
	v_mul_f32_e32 v7, v6, v6
	s_delay_alu instid0(VALU_DEP_2) | instskip(NEXT) | instid1(VALU_DEP_2)
	v_sub_f32_e32 v8, v1, v2
	v_fma_f32 v9, v6, v6, -v7
	s_delay_alu instid0(VALU_DEP_2) | instskip(NEXT) | instid1(VALU_DEP_1)
	v_add_f32_e32 v1, v8, v8
	v_fmac_f32_e32 v9, v6, v1
	v_cvt_f64_f32_e32 v[1:2], v5
	s_delay_alu instid0(VALU_DEP_2) | instskip(NEXT) | instid1(VALU_DEP_1)
	v_add_f32_e32 v10, v7, v9
	v_fmaak_f32 v11, s3, v10, 0x3e91f4c4
	v_sub_f32_e32 v7, v10, v7
	v_mul_f32_e32 v14, v6, v10
	s_delay_alu instid0(VALU_DEP_3) | instskip(NEXT) | instid1(VALU_DEP_3)
	v_fmaak_f32 v11, v10, v11, 0x3ecccdef
	v_sub_f32_e32 v7, v9, v7
	s_delay_alu instid0(VALU_DEP_2) | instskip(NEXT) | instid1(VALU_DEP_1)
	v_mul_f32_e32 v12, v10, v11
	v_fma_f32 v9, v10, v11, -v12
	s_delay_alu instid0(VALU_DEP_1) | instskip(NEXT) | instid1(VALU_DEP_1)
	v_fmac_f32_e32 v9, v7, v11
	v_add_f32_e32 v11, v12, v9
	v_frexp_exp_i32_f64_e32 v1, v[1:2]
	s_delay_alu instid0(VALU_DEP_2) | instskip(NEXT) | instid1(VALU_DEP_1)
	v_sub_f32_e32 v12, v11, v12
	v_sub_f32_e32 v2, v9, v12
	v_fma_f32 v12, v10, v6, -v14
	s_delay_alu instid0(VALU_DEP_2) | instskip(NEXT) | instid1(VALU_DEP_2)
	v_add_f32_e32 v2, 0x31739010, v2
	v_dual_add_f32 v13, 0x3f2aaaaa, v11 :: v_dual_fmac_f32 v12, v10, v8
	v_ldexp_f32 v8, v8, 1
	s_delay_alu instid0(VALU_DEP_2) | instskip(NEXT) | instid1(VALU_DEP_1)
	v_dual_add_f32 v9, 0xbf2aaaaa, v13 :: v_dual_fmac_f32 v12, v7, v6
	v_sub_f32_e32 v9, v11, v9
	s_delay_alu instid0(VALU_DEP_1) | instskip(NEXT) | instid1(VALU_DEP_3)
	v_add_f32_e32 v2, v2, v9
	v_add_f32_e32 v9, v14, v12
	s_delay_alu instid0(VALU_DEP_2) | instskip(NEXT) | instid1(VALU_DEP_1)
	v_add_f32_e32 v7, v13, v2
	v_sub_f32_e32 v10, v13, v7
	s_delay_alu instid0(VALU_DEP_3) | instskip(SKIP_2) | instid1(VALU_DEP_4)
	v_mul_f32_e32 v11, v9, v7
	v_sub_f32_e32 v13, v9, v14
	v_subrev_co_ci_u32_e64 v1, s2, 0, v1, s2
	v_add_f32_e32 v2, v2, v10
	s_delay_alu instid0(VALU_DEP_4) | instskip(NEXT) | instid1(VALU_DEP_4)
	v_fma_f32 v10, v9, v7, -v11
	v_sub_f32_e32 v12, v12, v13
	s_delay_alu instid0(VALU_DEP_4) | instskip(NEXT) | instid1(VALU_DEP_3)
	v_cvt_f32_i32_e32 v1, v1
	v_fmac_f32_e32 v10, v9, v2
	v_ldexp_f32 v2, v6, 1
	s_delay_alu instid0(VALU_DEP_2) | instskip(NEXT) | instid1(VALU_DEP_1)
	v_fmac_f32_e32 v10, v12, v7
	v_add_f32_e32 v6, v11, v10
	s_delay_alu instid0(VALU_DEP_1) | instskip(NEXT) | instid1(VALU_DEP_1)
	v_add_f32_e32 v7, v2, v6
	v_dual_sub_f32 v2, v7, v2 :: v_dual_sub_f32 v9, v6, v11
	s_delay_alu instid0(VALU_DEP_1) | instskip(NEXT) | instid1(VALU_DEP_2)
	v_sub_f32_e32 v2, v6, v2
	v_sub_f32_e32 v9, v10, v9
	s_delay_alu instid0(VALU_DEP_1) | instskip(NEXT) | instid1(VALU_DEP_1)
	v_add_f32_e32 v6, v8, v9
	v_dual_mul_f32 v11, 0x3f317218, v1 :: v_dual_add_f32 v2, v6, v2
	s_delay_alu instid0(VALU_DEP_1) | instskip(NEXT) | instid1(VALU_DEP_2)
	v_fma_f32 v10, 0x3f317218, v1, -v11
	v_add_f32_e32 v8, v7, v2
	s_delay_alu instid0(VALU_DEP_1) | instskip(NEXT) | instid1(VALU_DEP_1)
	v_sub_f32_e32 v7, v8, v7
	v_dual_fmamk_f32 v1, v1, 0xb102e308, v10 :: v_dual_sub_f32 v2, v2, v7
	s_delay_alu instid0(VALU_DEP_1) | instskip(NEXT) | instid1(VALU_DEP_1)
	v_add_f32_e32 v6, v11, v1
	v_add_f32_e32 v9, v6, v8
	s_delay_alu instid0(VALU_DEP_1) | instskip(NEXT) | instid1(VALU_DEP_1)
	v_dual_sub_f32 v11, v6, v11 :: v_dual_sub_f32 v10, v9, v6
	v_sub_f32_e32 v12, v9, v10
	s_delay_alu instid0(VALU_DEP_2) | instskip(NEXT) | instid1(VALU_DEP_2)
	v_sub_f32_e32 v1, v1, v11
	v_dual_sub_f32 v7, v8, v10 :: v_dual_sub_f32 v6, v6, v12
	s_delay_alu instid0(VALU_DEP_2) | instskip(NEXT) | instid1(VALU_DEP_2)
	v_add_f32_e32 v8, v1, v2
	v_add_f32_e32 v6, v7, v6
	s_delay_alu instid0(VALU_DEP_1) | instskip(NEXT) | instid1(VALU_DEP_1)
	v_add_f32_e32 v6, v8, v6
	v_dual_sub_f32 v7, v8, v1 :: v_dual_add_f32 v10, v9, v6
	s_delay_alu instid0(VALU_DEP_1) | instskip(SKIP_1) | instid1(VALU_DEP_3)
	v_sub_f32_e32 v8, v8, v7
	v_sub_f32_e32 v2, v2, v7
	;; [unrolled: 1-line block ×3, first 2 shown]
	s_delay_alu instid0(VALU_DEP_3) | instskip(NEXT) | instid1(VALU_DEP_1)
	v_sub_f32_e32 v1, v1, v8
	v_add_f32_e32 v1, v2, v1
	s_delay_alu instid0(VALU_DEP_3) | instskip(NEXT) | instid1(VALU_DEP_1)
	v_sub_f32_e32 v2, v6, v7
	v_add_f32_e32 v1, v1, v2
	s_delay_alu instid0(VALU_DEP_1) | instskip(NEXT) | instid1(VALU_DEP_1)
	v_add_f32_e32 v2, v10, v1
	v_mul_f32_e32 v7, v4, v2
	v_sub_f32_e32 v6, v2, v10
	s_delay_alu instid0(VALU_DEP_2) | instskip(NEXT) | instid1(VALU_DEP_2)
	v_fma_f32 v2, v4, v2, -v7
	v_sub_f32_e32 v1, v1, v6
	v_cmp_class_f32_e64 s2, v7, 0x204
	s_delay_alu instid0(VALU_DEP_2) | instskip(NEXT) | instid1(VALU_DEP_1)
	v_fmac_f32_e32 v2, v4, v1
	v_add_f32_e32 v1, v7, v2
	s_delay_alu instid0(VALU_DEP_1) | instskip(NEXT) | instid1(VALU_DEP_1)
	v_cndmask_b32_e64 v6, v1, v7, s2
	v_cmp_eq_f32_e64 s2, 0x42b17218, v6
	s_delay_alu instid0(VALU_DEP_1) | instskip(SKIP_1) | instid1(VALU_DEP_2)
	v_cndmask_b32_e64 v8, 0, 0x37000000, s2
	v_cmp_neq_f32_e64 s2, 0x7f800000, |v6|
	v_sub_f32_e32 v9, v6, v8
	v_trunc_f32_e32 v6, v4
	s_delay_alu instid0(VALU_DEP_2) | instskip(NEXT) | instid1(VALU_DEP_1)
	v_mul_f32_e32 v10, 0x3fb8aa3b, v9
	v_fma_f32 v11, 0x3fb8aa3b, v9, -v10
	v_rndne_f32_e32 v12, v10
	s_delay_alu instid0(VALU_DEP_1) | instskip(NEXT) | instid1(VALU_DEP_1)
	v_dual_fmamk_f32 v11, v9, 0x32a5705f, v11 :: v_dual_sub_f32 v10, v10, v12
	v_add_f32_e32 v10, v10, v11
	v_sub_f32_e32 v1, v1, v7
	v_cvt_i32_f32_e32 v7, v12
	s_delay_alu instid0(VALU_DEP_3) | instskip(NEXT) | instid1(VALU_DEP_2)
	v_exp_f32_e32 v10, v10
	v_sub_f32_e32 v1, v2, v1
	s_delay_alu instid0(VALU_DEP_1)
	v_cndmask_b32_e64 v1, 0, v1, s2
	v_cmp_ngt_f32_e64 s2, 0xc2ce8ed0, v9
	s_waitcnt_depctr 0xfff
	v_ldexp_f32 v2, v10, v7
	v_mul_f32_e32 v7, 0.5, v4
	v_add_f32_e32 v1, v8, v1
	s_delay_alu instid0(VALU_DEP_3) | instskip(NEXT) | instid1(VALU_DEP_3)
	v_cndmask_b32_e64 v2, 0, v2, s2
	v_trunc_f32_e32 v10, v7
	v_cmp_nlt_f32_e64 s2, 0x42b17218, v9
	s_delay_alu instid0(VALU_DEP_2) | instskip(NEXT) | instid1(VALU_DEP_2)
	v_cmp_neq_f32_e64 s3, v10, v7
	v_cndmask_b32_e64 v2, 0x7f800000, v2, s2
	v_cmp_eq_f32_e64 s2, v6, v4
	s_delay_alu instid0(VALU_DEP_2) | instskip(NEXT) | instid1(VALU_DEP_2)
	v_fma_f32 v1, v2, v1, v2
	s_and_b32 vcc_lo, s2, s3
	v_cmp_class_f32_e64 s3, v2, 0x204
	v_cndmask_b32_e32 v6, 1.0, v3, vcc_lo
	s_delay_alu instid0(VALU_DEP_2) | instskip(SKIP_1) | instid1(VALU_DEP_2)
	v_cndmask_b32_e64 v1, v1, v2, s3
	v_cmp_gt_f32_e64 s3, 0, v4
	v_bfi_b32 v1, 0x7fffffff, v1, v6
	v_cndmask_b32_e32 v6, 0, v3, vcc_lo
	s_delay_alu instid0(VALU_DEP_3)
	s_xor_b32 s3, s3, s4
	v_cmp_eq_f32_e32 vcc_lo, 0x7f800000, v5
	v_cndmask_b32_e64 v2, 0x7f800000, 0, s3
	v_cndmask_b32_e64 v4, 0x7fc00000, v1, s2
	v_cmp_gt_f32_e64 s2, 0, v3
	s_or_b32 vcc_lo, vcc_lo, s4
	s_delay_alu instid0(VALU_DEP_3) | instskip(NEXT) | instid1(VALU_DEP_2)
	v_bfi_b32 v2, 0x7fffffff, v2, v6
	v_cndmask_b32_e64 v1, v1, v4, s2
	s_delay_alu instid0(VALU_DEP_1) | instskip(SKIP_1) | instid1(VALU_DEP_2)
	v_cndmask_b32_e32 v1, v1, v2, vcc_lo
	v_cmp_o_f32_e32 vcc_lo, v3, v3
	v_cndmask_b32_e32 v47, 0x7fc00000, v1, vcc_lo
.LBB89_4:
	v_bfe_u32 v46, v0, 10, 10
	s_lshl_b32 s15, s13, 3
	s_load_b128 s[4:7], s[0:1], 0x70
	s_ashr_i32 s35, s34, 31
	s_ashr_i32 s38, s46, 31
	v_lshlrev_b32_e32 v36, 1, v46
	v_and_b32_e32 v38, 0x3ff, v0
	s_delay_alu instid0(VALU_DEP_2) | instskip(NEXT) | instid1(VALU_DEP_2)
	v_or_b32_e32 v34, 1, v36
	v_lshlrev_b32_e32 v12, 1, v38
	s_delay_alu instid0(VALU_DEP_2) | instskip(SKIP_1) | instid1(VALU_DEP_2)
	v_add_nc_u32_e32 v35, s15, v34
	v_lshlrev_b32_e32 v14, 6, v34
	v_mul_hi_u32 v2, v35, s8
	s_waitcnt lgkmcnt(0)
	s_mul_i32 s2, s33, s6
	s_mul_i32 s3, s34, s5
	s_ashr_i32 s5, s2, 31
	s_add_u32 s2, s16, s2
	s_addc_u32 s5, s17, s5
	s_ashr_i32 s6, s3, 31
	v_add_nc_u32_e32 v2, v35, v2
	s_add_u32 s2, s2, s3
	s_addc_u32 s3, s5, s6
	s_ashr_i32 s5, s4, 31
	s_delay_alu instid0(SALU_CYCLE_1) | instskip(SKIP_3) | instid1(VALU_DEP_1)
	v_alignbit_b32 v5, s5, s4, 2
	v_lshrrev_b32_e32 v2, s9, v2
	s_lshr_b32 s4, s5, 2
	s_cmp_eq_u64 s[26:27], 0
	v_mul_lo_u32 v3, v2, s10
	s_delay_alu instid0(VALU_DEP_1) | instskip(NEXT) | instid1(VALU_DEP_1)
	v_sub_nc_u32_e32 v8, v35, v3
	v_mad_u64_u32 v[3:4], null, v5, v8, 0
	v_add_nc_u32_e32 v39, s15, v36
	s_delay_alu instid0(VALU_DEP_1) | instskip(NEXT) | instid1(VALU_DEP_1)
	v_mul_hi_u32 v1, v39, s8
	v_add_nc_u32_e32 v1, v39, v1
	s_delay_alu instid0(VALU_DEP_1) | instskip(NEXT) | instid1(VALU_DEP_1)
	v_lshrrev_b32_e32 v1, s9, v1
	v_mul_lo_u32 v1, v1, s10
	s_delay_alu instid0(VALU_DEP_1) | instskip(NEXT) | instid1(VALU_DEP_1)
	v_sub_nc_u32_e32 v51, v39, v1
	v_mad_u64_u32 v[1:2], null, v5, v51, 0
	s_delay_alu instid0(VALU_DEP_1) | instskip(SKIP_1) | instid1(VALU_DEP_1)
	v_mad_u64_u32 v[5:6], null, s4, v51, v[2:3]
	v_mov_b32_e32 v2, v4
	v_mad_u64_u32 v[6:7], null, s4, v8, v[2:3]
	s_delay_alu instid0(VALU_DEP_3) | instskip(SKIP_1) | instid1(VALU_DEP_2)
	v_dual_mov_b32 v2, v5 :: v_dual_lshlrev_b32 v5, 4, v38
	v_lshlrev_b32_e32 v8, 7, v46
	v_lshlrev_b64 v[0:1], 2, v[1:2]
	s_delay_alu instid0(VALU_DEP_4) | instskip(NEXT) | instid1(VALU_DEP_4)
	v_mov_b32_e32 v4, v6
	v_add_co_u32 v5, s2, s2, v5
	s_delay_alu instid0(VALU_DEP_1) | instskip(NEXT) | instid1(VALU_DEP_3)
	v_add_co_ci_u32_e64 v6, null, s3, 0, s2
	v_lshlrev_b64 v[2:3], 2, v[3:4]
	s_delay_alu instid0(VALU_DEP_3) | instskip(NEXT) | instid1(VALU_DEP_3)
	v_add_co_u32 v0, vcc_lo, v5, v0
	v_add_co_ci_u32_e32 v1, vcc_lo, v6, v1, vcc_lo
	v_add_lshl_u32 v13, v8, v12, 2
	s_delay_alu instid0(VALU_DEP_4)
	v_add_co_u32 v4, vcc_lo, v5, v2
	v_add_co_ci_u32_e32 v5, vcc_lo, v6, v3, vcc_lo
	s_clause 0x1
	global_load_b128 v[0:3], v[0:1], off
	global_load_b128 v[4:7], v[4:5], off
	s_mov_b32 s3, 0
	s_waitcnt vmcnt(1)
	v_fma_mixlo_f16 v9, v2, s36, 0
	v_fma_mixlo_f16 v8, v0, s36, 0
	s_waitcnt vmcnt(0)
	v_fma_mixlo_f16 v11, v6, s36, 0
	v_fma_mixlo_f16 v10, v4, s36, 0
	v_add_lshl_u32 v0, v14, v12, 2
	v_fma_mixhi_f16 v9, v3, s36, 0
	v_fma_mixhi_f16 v8, v1, s36, 0
	;; [unrolled: 1-line block ×4, first 2 shown]
	ds_store_b64 v13, v[8:9] offset:9216
	ds_store_b64 v0, v[10:11] offset:9216
	s_waitcnt lgkmcnt(0)
	s_barrier
	buffer_gl0_inv
	s_cbranch_scc1 .LBB89_6
; %bb.5:
	s_load_b32 s2, s[0:1], 0xd0
	s_waitcnt lgkmcnt(0)
	s_mul_i32 s2, s2, s33
	s_delay_alu instid0(SALU_CYCLE_1) | instskip(NEXT) | instid1(SALU_CYCLE_1)
	s_add_i32 s2, s2, s13
	s_lshl_b64 s[2:3], s[2:3], 2
	s_delay_alu instid0(SALU_CYCLE_1)
	s_add_u32 s2, s26, s2
	s_addc_u32 s3, s27, s3
	s_load_b32 s42, s[2:3], 0x0
.LBB89_6:
	s_clause 0x1
	s_load_b64 s[2:3], s[0:1], 0x8c
	s_load_b128 s[4:7], s[0:1], 0x98
	s_ashr_i32 s13, s33, 31
	s_load_b64 s[46:47], s[0:1], 0xa8
	s_ashr_i32 s22, s45, 1
	s_mul_i32 s17, s37, s12
	v_dual_mov_b32 v6, 0 :: v_dual_lshlrev_b32 v37, 2, v38
	v_mov_b32_e32 v44, 0
	v_lshrrev_b32_e32 v53, 3, v38
	v_mul_u32_u24_e32 v52, 0x90, v38
	s_delay_alu instid0(VALU_DEP_4)
	v_and_b32_e32 v49, 60, v37
	v_and_b32_e32 v54, 28, v37
	v_or_b32_e32 v50, 1, v39
	v_lshrrev_b32_e32 v48, 4, v38
	v_lshlrev_b32_e32 v41, 3, v38
	v_mbcnt_lo_u32_b32 v40, -1, 0
	s_mov_b32 s44, 0xfeffffff
	s_waitcnt lgkmcnt(0)
	s_ashr_i32 s26, s2, 2
	s_mul_i32 s2, s33, s5
	s_mul_hi_u32 s5, s33, s4
	s_ashr_i32 s16, s6, 2
	s_mul_i32 s6, s13, s4
	s_add_i32 s2, s5, s2
	s_mul_i32 s4, s33, s4
	s_add_i32 s2, s2, s6
	s_add_u32 s4, s18, s4
	s_addc_u32 s2, s19, s2
	s_sub_i32 s6, s43, s17
	s_xor_b32 s5, s35, s38
	s_add_i32 s17, s37, 1
	s_sub_i32 s18, s6, s12
	s_cmp_ge_u32 s6, s12
	s_mul_i32 s13, s13, s46
	s_cselect_b32 s17, s17, s37
	s_cselect_b32 s6, s18, s6
	s_add_i32 s18, s17, 1
	s_cmp_ge_u32 s6, s12
	s_mul_i32 s12, s33, s47
	s_cselect_b32 s6, s18, s17
	s_mul_hi_u32 s17, s33, s46
	s_xor_b32 s6, s6, s5
	s_mul_i32 s18, s33, s46
	s_sub_i32 s6, s6, s5
	s_delay_alu instid0(SALU_CYCLE_1)
	s_mul_i32 s3, s6, s3
	s_mul_i32 s6, s6, s7
	s_ashr_i32 s5, s3, 31
	s_add_u32 s4, s4, s3
	s_addc_u32 s5, s2, s5
	s_add_i32 s2, s17, s12
	s_delay_alu instid0(SALU_CYCLE_1)
	s_add_i32 s2, s2, s13
	s_add_u32 s3, s20, s18
	s_addc_u32 s2, s21, s2
	s_ashr_i32 s12, s6, 31
	s_add_u32 s7, s3, s6
	s_addc_u32 s17, s2, s12
	s_lshl_b32 s6, s14, 6
	s_sub_i32 s12, s42, 64
	s_delay_alu instid0(SALU_CYCLE_1)
	s_cmp_ge_i32 s6, s12
	s_cbranch_scc1 .LBB89_36
; %bb.7:
	v_mul_hi_u32 v2, s8, v50
	v_lshl_add_u32 v1, v46, 2, v53
	v_dual_mov_b32 v42, 0 :: v_dual_lshlrev_b32 v3, 2, v54
	v_dual_mov_b32 v72, 0xfeffffff :: v_dual_add_nc_u32 v5, v48, v36
	s_delay_alu instid0(VALU_DEP_3)
	v_mul_lo_u32 v0, s26, v1
	s_lshl_b32 s2, s26, 4
	v_dual_mov_b32 v43, 0 :: v_dual_add_nc_u32 v4, v50, v2
	v_mad_u32_u24 v56, 0x90, v1, v3
	s_cmp_lg_u64 s[40:41], 0
	v_dual_mov_b32 v44, 0 :: v_dual_lshlrev_b32 v11, 2, v49
	s_delay_alu instid0(VALU_DEP_3)
	v_lshrrev_b32_e32 v1, s9, v4
	v_mul_lo_u32 v4, s16, v5
	s_cselect_b32 s13, -1, 0
	s_lshl_b32 s3, s16, 3
	v_dual_mov_b32 v45, 0 :: v_dual_add_nc_u32 v2, s2, v0
	v_mul_lo_u32 v9, v1, s10
	v_mov_b32_e32 v73, 0xfeffffff
	v_ashrrev_i32_e32 v1, 31, v0
	v_add_nc_u32_e32 v10, s3, v4
	v_add_nc_u32_e32 v6, s2, v2
	v_ashrrev_i32_e32 v3, 31, v2
	v_lshl_or_b32 v61, v5, 8, v11
	v_ashrrev_i32_e32 v5, 31, v4
	v_add_nc_u32_e32 v12, s3, v10
	v_add_nc_u32_e32 v8, s2, v6
	v_sub_nc_u32_e32 v13, v50, v9
	v_ashrrev_i32_e32 v7, 31, v6
	v_ashrrev_i32_e32 v11, 31, v10
	v_add_nc_u32_e32 v14, s3, v12
	v_ashrrev_i32_e32 v9, 31, v8
	v_mul_lo_u32 v62, v13, s22
	v_ashrrev_i32_e32 v13, 31, v12
	v_mul_lo_u32 v60, v51, s22
	v_ashrrev_i32_e32 v15, 31, v14
	v_lshlrev_b64 v[18:19], 2, v[0:1]
	v_lshlrev_b64 v[20:21], 2, v[2:3]
	;; [unrolled: 1-line block ×8, first 2 shown]
	v_lshl_add_u32 v55, v46, 9, 0x2400
	v_dual_mov_b32 v70, 0 :: v_dual_add_nc_u32 v57, 0x900, v56
	v_dual_mov_b32 v71, 0 :: v_dual_add_nc_u32 v58, 0x1200, v56
	v_add_nc_u32_e32 v59, 0x1b00, v56
	v_lshl_add_u32 v63, v46, 8, 0x2c00
	v_add_nc_u32_e32 v64, 0x800, v61
	v_add_nc_u32_e32 v65, 0x1000, v61
	;; [unrolled: 1-line block ×3, first 2 shown]
	s_add_u32 s2, s0, 0xd0
	v_lshlrev_b32_e32 v67, 2, v54
	v_lshlrev_b32_e32 v68, 2, v49
	v_mbcnt_lo_u32_b32 v69, -1, 0
	s_addc_u32 s3, s1, 0
	s_add_u32 s18, s40, 64
	s_addc_u32 s19, s41, 0
	s_mov_b32 s20, 0xbbbac73d
.LBB89_8:                               ; =>This Inner Loop Header: Depth=1
	s_mul_hi_i32 s37, s6, s26
	s_mul_i32 s36, s6, s26
	v_dual_mov_b32 v16, 0 :: v_dual_mov_b32 v17, 0
	s_lshl_b64 s[36:37], s[36:37], 2
	s_delay_alu instid0(SALU_CYCLE_1)
	s_add_u32 s21, s4, s36
	s_addc_u32 s27, s5, s37
	v_add_co_u32 v0, vcc_lo, s21, v18
	v_add_co_ci_u32_e32 v1, vcc_lo, s27, v19, vcc_lo
	v_add_co_u32 v2, vcc_lo, s21, v20
	v_add_co_ci_u32_e32 v3, vcc_lo, s27, v21, vcc_lo
	s_delay_alu instid0(VALU_DEP_4) | instskip(NEXT) | instid1(VALU_DEP_4)
	v_add_co_u32 v0, vcc_lo, v0, v67
	v_add_co_ci_u32_e32 v1, vcc_lo, 0, v1, vcc_lo
	s_delay_alu instid0(VALU_DEP_4) | instskip(NEXT) | instid1(VALU_DEP_4)
	v_add_co_u32 v2, vcc_lo, v2, v67
	v_add_co_ci_u32_e32 v3, vcc_lo, 0, v3, vcc_lo
	v_add_co_u32 v4, vcc_lo, s21, v22
	v_add_co_ci_u32_e32 v5, vcc_lo, s27, v23, vcc_lo
	;; [unrolled: 2-line block ×3, first 2 shown]
	s_delay_alu instid0(VALU_DEP_4) | instskip(NEXT) | instid1(VALU_DEP_4)
	v_add_co_u32 v4, vcc_lo, v4, v67
	v_add_co_ci_u32_e32 v5, vcc_lo, 0, v5, vcc_lo
	s_delay_alu instid0(VALU_DEP_4) | instskip(NEXT) | instid1(VALU_DEP_4)
	v_add_co_u32 v6, vcc_lo, v6, v67
	v_add_co_ci_u32_e32 v7, vcc_lo, 0, v7, vcc_lo
	s_clause 0x3
	global_load_b128 v[8:11], v[0:1], off
	global_load_b128 v[12:15], v[2:3], off
	;; [unrolled: 1-line block ×4, first 2 shown]
	s_waitcnt vmcnt(3)
	ds_store_b128 v56, v[8:11]
	s_waitcnt vmcnt(2)
	ds_store_b128 v57, v[12:15]
	;; [unrolled: 2-line block ×4, first 2 shown]
	s_waitcnt lgkmcnt(0)
	s_barrier
	buffer_gl0_inv
	ds_load_b128 v[10:13], v52
	ds_load_b128 v[74:77], v55
	ds_load_b128 v[78:81], v55 offset:256
	ds_load_b128 v[82:85], v52 offset:4608
	v_dual_mov_b32 v8, 0 :: v_dual_mov_b32 v9, 0
	s_waitcnt lgkmcnt(2)
	;;#ASMSTART
	v_dot2_f32_f16 v8, v10, v74, v8
	;;#ASMEND
	;;#ASMSTART
	v_dot2_f32_f16 v8, v11, v75, v8
	;;#ASMEND
	;;#ASMSTART
	v_dot2_f32_f16 v8, v12, v76, v8
	;;#ASMEND
	;;#ASMSTART
	v_dot2_f32_f16 v8, v13, v77, v8
	;;#ASMEND
	s_waitcnt lgkmcnt(1)
	;;#ASMSTART
	v_dot2_f32_f16 v16, v10, v78, v16
	;;#ASMEND
	;;#ASMSTART
	v_dot2_f32_f16 v16, v11, v79, v16
	;;#ASMEND
	;;#ASMSTART
	v_dot2_f32_f16 v16, v12, v80, v16
	;;#ASMEND
	;;#ASMSTART
	v_dot2_f32_f16 v16, v13, v81, v16
	;;#ASMEND
	s_waitcnt lgkmcnt(0)
	;;#ASMSTART
	v_dot2_f32_f16 v9, v82, v74, v9
	;;#ASMEND
	;;#ASMSTART
	v_dot2_f32_f16 v9, v83, v75, v9
	;;#ASMEND
	;;#ASMSTART
	v_dot2_f32_f16 v9, v84, v76, v9
	;;#ASMEND
	;;#ASMSTART
	v_dot2_f32_f16 v9, v85, v77, v9
	;;#ASMEND
	;;#ASMSTART
	v_dot2_f32_f16 v17, v82, v78, v17
	;;#ASMEND
	;;#ASMSTART
	v_dot2_f32_f16 v17, v83, v79, v17
	;;#ASMEND
	;;#ASMSTART
	v_dot2_f32_f16 v17, v84, v80, v17
	;;#ASMEND
	;;#ASMSTART
	v_dot2_f32_f16 v17, v85, v81, v17
	;;#ASMEND
	ds_load_b128 v[10:13], v52 offset:16
	ds_load_b128 v[74:77], v55 offset:16
	ds_load_b128 v[78:81], v55 offset:272
	ds_load_b128 v[82:85], v52 offset:4624
	s_waitcnt lgkmcnt(2)
	;;#ASMSTART
	v_dot2_f32_f16 v8, v10, v74, v8
	;;#ASMEND
	;;#ASMSTART
	v_dot2_f32_f16 v8, v11, v75, v8
	;;#ASMEND
	;;#ASMSTART
	v_dot2_f32_f16 v8, v12, v76, v8
	;;#ASMEND
	;;#ASMSTART
	v_dot2_f32_f16 v8, v13, v77, v8
	;;#ASMEND
	s_waitcnt lgkmcnt(1)
	;;#ASMSTART
	v_dot2_f32_f16 v16, v10, v78, v16
	;;#ASMEND
	;;#ASMSTART
	v_dot2_f32_f16 v16, v11, v79, v16
	;;#ASMEND
	;;#ASMSTART
	v_dot2_f32_f16 v16, v12, v80, v16
	;;#ASMEND
	;;#ASMSTART
	v_dot2_f32_f16 v16, v13, v81, v16
	;;#ASMEND
	s_waitcnt lgkmcnt(0)
	;;#ASMSTART
	v_dot2_f32_f16 v9, v82, v74, v9
	;;#ASMEND
	;;#ASMSTART
	v_dot2_f32_f16 v9, v83, v75, v9
	;;#ASMEND
	;;#ASMSTART
	v_dot2_f32_f16 v9, v84, v76, v9
	;;#ASMEND
	;;#ASMSTART
	v_dot2_f32_f16 v9, v85, v77, v9
	;;#ASMEND
	;;#ASMSTART
	v_dot2_f32_f16 v17, v82, v78, v17
	;;#ASMEND
	;;#ASMSTART
	v_dot2_f32_f16 v17, v83, v79, v17
	;;#ASMEND
	;;#ASMSTART
	v_dot2_f32_f16 v17, v84, v80, v17
	;;#ASMEND
	;;#ASMSTART
	v_dot2_f32_f16 v17, v85, v81, v17
	;;#ASMEND
	ds_load_b128 v[10:13], v52 offset:32
	ds_load_b128 v[74:77], v55 offset:32
	ds_load_b128 v[78:81], v55 offset:288
	ds_load_b128 v[82:85], v52 offset:4640
	;; [unrolled: 55-line block ×7, first 2 shown]
	s_waitcnt lgkmcnt(2)
	;;#ASMSTART
	v_dot2_f32_f16 v8, v10, v74, v8
	;;#ASMEND
	;;#ASMSTART
	v_dot2_f32_f16 v8, v11, v75, v8
	;;#ASMEND
	;;#ASMSTART
	v_dot2_f32_f16 v8, v12, v76, v8
	;;#ASMEND
	;;#ASMSTART
	v_dot2_f32_f16 v8, v13, v77, v8
	;;#ASMEND
	s_waitcnt lgkmcnt(1)
	;;#ASMSTART
	v_dot2_f32_f16 v16, v10, v78, v16
	;;#ASMEND
	;;#ASMSTART
	v_dot2_f32_f16 v16, v11, v79, v16
	;;#ASMEND
	;;#ASMSTART
	v_dot2_f32_f16 v16, v12, v80, v16
	;;#ASMEND
	;;#ASMSTART
	v_dot2_f32_f16 v16, v13, v81, v16
	;;#ASMEND
	s_waitcnt lgkmcnt(0)
	;;#ASMSTART
	v_dot2_f32_f16 v9, v82, v74, v9
	;;#ASMEND
	;;#ASMSTART
	v_dot2_f32_f16 v9, v83, v75, v9
	;;#ASMEND
	;;#ASMSTART
	v_dot2_f32_f16 v9, v84, v76, v9
	;;#ASMEND
	;;#ASMSTART
	v_dot2_f32_f16 v9, v85, v77, v9
	;;#ASMEND
	;;#ASMSTART
	v_dot2_f32_f16 v17, v82, v78, v17
	;;#ASMEND
	;;#ASMSTART
	v_dot2_f32_f16 v17, v83, v79, v17
	;;#ASMEND
	;; [unrolled: 3-line block ×4, first 2 shown]
	s_barrier
	buffer_gl0_inv
	s_clause 0x3
	global_load_b128 v[10:13], v[0:1], off offset:128
	global_load_b128 v[0:3], v[2:3], off offset:128
	;; [unrolled: 1-line block ×4, first 2 shown]
	s_waitcnt vmcnt(3)
	ds_store_b128 v56, v[10:13]
	s_waitcnt vmcnt(2)
	ds_store_b128 v57, v[0:3]
	;; [unrolled: 2-line block ×4, first 2 shown]
	s_waitcnt lgkmcnt(0)
	s_barrier
	buffer_gl0_inv
	ds_load_b128 v[0:3], v52
	ds_load_b128 v[4:7], v55 offset:128
	ds_load_b128 v[10:13], v55 offset:384
	ds_load_b128 v[74:77], v52 offset:4608
	s_waitcnt lgkmcnt(2)
	;;#ASMSTART
	v_dot2_f32_f16 v8, v0, v4, v8
	;;#ASMEND
	;;#ASMSTART
	v_dot2_f32_f16 v8, v1, v5, v8
	;;#ASMEND
	;;#ASMSTART
	v_dot2_f32_f16 v8, v2, v6, v8
	;;#ASMEND
	;;#ASMSTART
	v_dot2_f32_f16 v8, v3, v7, v8
	;;#ASMEND
	s_waitcnt lgkmcnt(1)
	;;#ASMSTART
	v_dot2_f32_f16 v16, v0, v10, v16
	;;#ASMEND
	;;#ASMSTART
	v_dot2_f32_f16 v16, v1, v11, v16
	;;#ASMEND
	;;#ASMSTART
	v_dot2_f32_f16 v16, v2, v12, v16
	;;#ASMEND
	;;#ASMSTART
	v_dot2_f32_f16 v16, v3, v13, v16
	;;#ASMEND
	s_waitcnt lgkmcnt(0)
	;;#ASMSTART
	v_dot2_f32_f16 v9, v74, v4, v9
	;;#ASMEND
	;;#ASMSTART
	v_dot2_f32_f16 v9, v75, v5, v9
	;;#ASMEND
	;;#ASMSTART
	v_dot2_f32_f16 v9, v76, v6, v9
	;;#ASMEND
	;;#ASMSTART
	v_dot2_f32_f16 v9, v77, v7, v9
	;;#ASMEND
	;;#ASMSTART
	v_dot2_f32_f16 v17, v74, v10, v17
	;;#ASMEND
	;;#ASMSTART
	v_dot2_f32_f16 v17, v75, v11, v17
	;;#ASMEND
	;;#ASMSTART
	v_dot2_f32_f16 v17, v76, v12, v17
	;;#ASMEND
	;;#ASMSTART
	v_dot2_f32_f16 v17, v77, v13, v17
	;;#ASMEND
	ds_load_b128 v[0:3], v52 offset:16
	ds_load_b128 v[4:7], v55 offset:144
	ds_load_b128 v[10:13], v55 offset:400
	ds_load_b128 v[74:77], v52 offset:4624
	s_waitcnt lgkmcnt(2)
	;;#ASMSTART
	v_dot2_f32_f16 v8, v0, v4, v8
	;;#ASMEND
	;;#ASMSTART
	v_dot2_f32_f16 v8, v1, v5, v8
	;;#ASMEND
	;;#ASMSTART
	v_dot2_f32_f16 v8, v2, v6, v8
	;;#ASMEND
	;;#ASMSTART
	v_dot2_f32_f16 v8, v3, v7, v8
	;;#ASMEND
	s_waitcnt lgkmcnt(1)
	;;#ASMSTART
	v_dot2_f32_f16 v16, v0, v10, v16
	;;#ASMEND
	;;#ASMSTART
	v_dot2_f32_f16 v16, v1, v11, v16
	;;#ASMEND
	;;#ASMSTART
	v_dot2_f32_f16 v16, v2, v12, v16
	;;#ASMEND
	;;#ASMSTART
	v_dot2_f32_f16 v16, v3, v13, v16
	;;#ASMEND
	s_waitcnt lgkmcnt(0)
	;;#ASMSTART
	v_dot2_f32_f16 v9, v74, v4, v9
	;;#ASMEND
	;;#ASMSTART
	v_dot2_f32_f16 v9, v75, v5, v9
	;;#ASMEND
	;;#ASMSTART
	v_dot2_f32_f16 v9, v76, v6, v9
	;;#ASMEND
	;;#ASMSTART
	v_dot2_f32_f16 v9, v77, v7, v9
	;;#ASMEND
	;;#ASMSTART
	v_dot2_f32_f16 v17, v74, v10, v17
	;;#ASMEND
	;;#ASMSTART
	v_dot2_f32_f16 v17, v75, v11, v17
	;;#ASMEND
	;;#ASMSTART
	v_dot2_f32_f16 v17, v76, v12, v17
	;;#ASMEND
	;;#ASMSTART
	v_dot2_f32_f16 v17, v77, v13, v17
	;;#ASMEND
	ds_load_b128 v[0:3], v52 offset:32
	;; [unrolled: 55-line block ×7, first 2 shown]
	ds_load_b128 v[4:7], v55 offset:240
	ds_load_b128 v[10:13], v55 offset:496
	;; [unrolled: 1-line block ×3, first 2 shown]
	s_waitcnt lgkmcnt(2)
	;;#ASMSTART
	v_dot2_f32_f16 v8, v0, v4, v8
	;;#ASMEND
	;;#ASMSTART
	v_dot2_f32_f16 v8, v1, v5, v8
	;;#ASMEND
	;; [unrolled: 3-line block ×4, first 2 shown]
	s_waitcnt lgkmcnt(1)
	;;#ASMSTART
	v_dot2_f32_f16 v16, v0, v10, v16
	;;#ASMEND
	;;#ASMSTART
	v_dot2_f32_f16 v16, v1, v11, v16
	;;#ASMEND
	;; [unrolled: 3-line block ×4, first 2 shown]
	s_waitcnt lgkmcnt(0)
	;;#ASMSTART
	v_dot2_f32_f16 v9, v74, v4, v9
	;;#ASMEND
	v_cmp_ngt_f32_e64 s21, 0x3f200000, |v8|
	;;#ASMSTART
	v_dot2_f32_f16 v9, v75, v5, v9
	;;#ASMEND
	;;#ASMSTART
	v_dot2_f32_f16 v9, v76, v6, v9
	;;#ASMEND
	;; [unrolled: 3-line block ×7, first 2 shown]
                                        ; implicit-def: $vgpr3
	s_and_saveexec_b32 s27, s21
	s_delay_alu instid0(SALU_CYCLE_1)
	s_xor_b32 s21, exec_lo, s27
	s_cbranch_execz .LBB89_10
; %bb.9:                                ;   in Loop: Header=BB89_8 Depth=1
	v_add_f32_e64 v0, |v8|, |v8|
	s_delay_alu instid0(VALU_DEP_1) | instskip(SKIP_1) | instid1(VALU_DEP_2)
	v_mul_f32_e32 v1, 0x3fb8aa3b, v0
	v_cmp_ngt_f32_e32 vcc_lo, 0xc2ce8ed0, v0
	v_rndne_f32_e32 v2, v1
	v_fma_f32 v3, 0x3fb8aa3b, v0, -v1
	s_delay_alu instid0(VALU_DEP_2) | instskip(NEXT) | instid1(VALU_DEP_2)
	v_sub_f32_e32 v1, v1, v2
	v_fmac_f32_e32 v3, 0x32a5705f, v0
	v_cvt_i32_f32_e32 v2, v2
	s_delay_alu instid0(VALU_DEP_2) | instskip(NEXT) | instid1(VALU_DEP_1)
	v_add_f32_e32 v1, v1, v3
	v_exp_f32_e32 v1, v1
	s_waitcnt_depctr 0xfff
	v_ldexp_f32 v1, v1, v2
	s_delay_alu instid0(VALU_DEP_1) | instskip(SKIP_1) | instid1(VALU_DEP_2)
	v_cndmask_b32_e32 v1, 0, v1, vcc_lo
	v_cmp_nlt_f32_e32 vcc_lo, 0x42b17218, v0
	v_cndmask_b32_e32 v0, 0x7f800000, v1, vcc_lo
	s_delay_alu instid0(VALU_DEP_1) | instskip(NEXT) | instid1(VALU_DEP_1)
	v_add_f32_e32 v0, 1.0, v0
	v_rcp_f32_e32 v0, v0
	s_waitcnt_depctr 0xfff
	v_fma_f32 v3, v0, -2.0, 1.0
.LBB89_10:                              ;   in Loop: Header=BB89_8 Depth=1
	s_and_not1_saveexec_b32 s21, s21
; %bb.11:                               ;   in Loop: Header=BB89_8 Depth=1
	v_mul_f32_e32 v0, v8, v8
	s_delay_alu instid0(VALU_DEP_1) | instskip(NEXT) | instid1(VALU_DEP_1)
	v_fmaak_f32 v1, s20, v0, 0x3ca908c9
	v_fmaak_f32 v1, v0, v1, 0xbd5c1c4e
	s_delay_alu instid0(VALU_DEP_1) | instskip(NEXT) | instid1(VALU_DEP_1)
	v_fmaak_f32 v1, v0, v1, 0x3e088382
	v_fmaak_f32 v1, v0, v1, 0xbeaaaa99
	s_delay_alu instid0(VALU_DEP_1) | instskip(NEXT) | instid1(VALU_DEP_1)
	v_mul_f32_e64 v1, |v8|, v1
	v_fma_f32 v3, v0, v1, |v8|
; %bb.12:                               ;   in Loop: Header=BB89_8 Depth=1
	s_or_b32 exec_lo, exec_lo, s21
	v_add_nc_u32_e32 v2, s6, v38
	s_and_not1_b32 vcc_lo, exec_lo, s13
	s_delay_alu instid0(VALU_DEP_1) | instskip(NEXT) | instid1(VALU_DEP_1)
	v_add_nc_u32_e32 v0, v2, v60
	v_ashrrev_i32_e32 v1, 31, v0
	s_cbranch_vccnz .LBB89_34
; %bb.13:                               ;   in Loop: Header=BB89_8 Depth=1
	s_delay_alu instid0(VALU_DEP_1) | instskip(NEXT) | instid1(VALU_DEP_1)
	v_lshlrev_b64 v[4:5], 1, v[0:1]
	v_add_co_u32 v4, vcc_lo, s40, v4
	s_delay_alu instid0(VALU_DEP_2) | instskip(SKIP_3) | instid1(VALU_DEP_1)
	v_add_co_ci_u32_e32 v5, vcc_lo, s41, v5, vcc_lo
	flat_load_u16 v4, v[4:5]
	s_waitcnt vmcnt(0) lgkmcnt(0)
	v_cvt_f32_f16_e32 v4, v4
	v_mul_f32_e32 v75, v47, v4
	v_cmp_ngt_f32_e64 s21, 0x3f200000, |v9|
                                        ; implicit-def: $vgpr4
	s_delay_alu instid0(VALU_DEP_1) | instskip(NEXT) | instid1(SALU_CYCLE_1)
	s_and_saveexec_b32 s27, s21
	s_xor_b32 s21, exec_lo, s27
	s_cbranch_execz .LBB89_15
.LBB89_14:                              ;   in Loop: Header=BB89_8 Depth=1
	v_add_f32_e64 v4, |v9|, |v9|
	s_delay_alu instid0(VALU_DEP_1) | instskip(SKIP_1) | instid1(VALU_DEP_2)
	v_mul_f32_e32 v5, 0x3fb8aa3b, v4
	v_cmp_ngt_f32_e32 vcc_lo, 0xc2ce8ed0, v4
	v_rndne_f32_e32 v6, v5
	v_fma_f32 v7, 0x3fb8aa3b, v4, -v5
	s_delay_alu instid0(VALU_DEP_2) | instskip(NEXT) | instid1(VALU_DEP_2)
	v_sub_f32_e32 v5, v5, v6
	v_fmac_f32_e32 v7, 0x32a5705f, v4
	v_cvt_i32_f32_e32 v6, v6
	s_delay_alu instid0(VALU_DEP_2) | instskip(NEXT) | instid1(VALU_DEP_1)
	v_add_f32_e32 v5, v5, v7
	v_exp_f32_e32 v5, v5
	s_waitcnt_depctr 0xfff
	v_ldexp_f32 v5, v5, v6
	s_delay_alu instid0(VALU_DEP_1) | instskip(SKIP_1) | instid1(VALU_DEP_2)
	v_cndmask_b32_e32 v5, 0, v5, vcc_lo
	v_cmp_nlt_f32_e32 vcc_lo, 0x42b17218, v4
	v_cndmask_b32_e32 v4, 0x7f800000, v5, vcc_lo
	s_delay_alu instid0(VALU_DEP_1) | instskip(NEXT) | instid1(VALU_DEP_1)
	v_add_f32_e32 v4, 1.0, v4
	v_rcp_f32_e32 v4, v4
	s_waitcnt_depctr 0xfff
	v_fma_f32 v4, v4, -2.0, 1.0
.LBB89_15:                              ;   in Loop: Header=BB89_8 Depth=1
	s_and_not1_saveexec_b32 s21, s21
	s_cbranch_execz .LBB89_18
; %bb.16:                               ;   in Loop: Header=BB89_8 Depth=1
	v_mul_f32_e32 v4, v9, v9
	s_delay_alu instid0(VALU_DEP_1) | instskip(NEXT) | instid1(VALU_DEP_1)
	v_fmaak_f32 v5, s20, v4, 0x3ca908c9
	v_fmaak_f32 v5, v4, v5, 0xbd5c1c4e
	s_delay_alu instid0(VALU_DEP_1) | instskip(NEXT) | instid1(VALU_DEP_1)
	v_fmaak_f32 v5, v4, v5, 0x3e088382
	v_fmaak_f32 v5, v4, v5, 0xbeaaaa99
	s_delay_alu instid0(VALU_DEP_1) | instskip(NEXT) | instid1(VALU_DEP_1)
	v_mul_f32_e64 v5, |v9|, v5
	v_fma_f32 v4, v4, v5, |v9|
	s_or_b32 exec_lo, exec_lo, s21
	s_delay_alu instid0(SALU_CYCLE_1)
	s_and_not1_b32 vcc_lo, exec_lo, s13
	s_cbranch_vccz .LBB89_19
.LBB89_17:                              ;   in Loop: Header=BB89_8 Depth=1
	v_mov_b32_e32 v77, 0
	s_branch .LBB89_20
.LBB89_18:                              ;   in Loop: Header=BB89_8 Depth=1
	s_or_b32 exec_lo, exec_lo, s21
	s_delay_alu instid0(SALU_CYCLE_1)
	s_and_not1_b32 vcc_lo, exec_lo, s13
	s_cbranch_vccnz .LBB89_17
.LBB89_19:                              ;   in Loop: Header=BB89_8 Depth=1
	v_lshlrev_b64 v[0:1], 1, v[0:1]
	s_delay_alu instid0(VALU_DEP_1) | instskip(NEXT) | instid1(VALU_DEP_2)
	v_add_co_u32 v0, vcc_lo, s18, v0
	v_add_co_ci_u32_e32 v1, vcc_lo, s19, v1, vcc_lo
	flat_load_u16 v0, v[0:1]
	s_waitcnt vmcnt(0) lgkmcnt(0)
	v_cvt_f32_f16_e32 v0, v0
	s_delay_alu instid0(VALU_DEP_1)
	v_mul_f32_e32 v77, v47, v0
.LBB89_20:                              ;   in Loop: Header=BB89_8 Depth=1
	v_bfi_b32 v0, 0x7fffffff, v3, v8
	v_xor_b32_e32 v3, 16, v69
	v_bfi_b32 v1, 0x7fffffff, v4, v9
	v_cmp_ngt_f32_e64 s21, 0x3f200000, |v16|
                                        ; implicit-def: $vgpr85
	s_delay_alu instid0(VALU_DEP_3) | instskip(SKIP_1) | instid1(VALU_DEP_4)
	v_cmp_gt_i32_e32 vcc_lo, 32, v3
	v_dual_fmac_f32 v75, s23, v0 :: v_dual_cndmask_b32 v0, v69, v3
	v_fmac_f32_e32 v77, s23, v1
	s_delay_alu instid0(VALU_DEP_2) | instskip(NEXT) | instid1(VALU_DEP_2)
	v_dual_add_f32 v1, 0x40051340, v75 :: v_dual_lshlrev_b32 v82, 2, v0
	v_add_f32_e32 v3, 0x40051340, v77
	s_delay_alu instid0(VALU_DEP_1)
	v_max3_f32 v0, v72, v1, v3
	v_xor_b32_e32 v3, 8, v69
	ds_bpermute_b32 v1, v82, v0
	v_cmp_gt_i32_e32 vcc_lo, 32, v3
	s_waitcnt lgkmcnt(0)
	v_max_f32_e32 v1, v1, v1
	s_delay_alu instid0(VALU_DEP_1) | instskip(NEXT) | instid1(VALU_DEP_1)
	v_dual_cndmask_b32 v3, v69, v3 :: v_dual_max_f32 v0, v0, v1
	v_lshlrev_b32_e32 v83, 2, v3
	v_xor_b32_e32 v3, 4, v69
	ds_bpermute_b32 v1, v83, v0
	v_cmp_gt_i32_e32 vcc_lo, 32, v3
	s_waitcnt lgkmcnt(0)
	v_max_f32_e32 v1, v1, v1
	s_delay_alu instid0(VALU_DEP_1) | instskip(NEXT) | instid1(VALU_DEP_1)
	v_dual_max_f32 v0, v0, v1 :: v_dual_cndmask_b32 v3, v69, v3
	v_lshlrev_b32_e32 v84, 2, v3
	v_xor_b32_e32 v3, 2, v69
	ds_bpermute_b32 v1, v84, v0
	v_cmp_gt_i32_e32 vcc_lo, 32, v3
	s_waitcnt lgkmcnt(0)
	v_max_f32_e32 v1, v1, v1
	s_delay_alu instid0(VALU_DEP_1) | instskip(NEXT) | instid1(VALU_DEP_1)
	v_dual_max_f32 v0, v0, v1 :: v_dual_cndmask_b32 v3, v69, v3
	v_lshlrev_b32_e32 v74, 2, v3
	v_xor_b32_e32 v3, 1, v69
	ds_bpermute_b32 v1, v74, v0
	v_cmp_gt_i32_e32 vcc_lo, 32, v3
	v_cndmask_b32_e32 v3, v69, v3, vcc_lo
	s_waitcnt lgkmcnt(0)
	s_delay_alu instid0(VALU_DEP_1) | instskip(NEXT) | instid1(VALU_DEP_1)
	v_dual_max_f32 v1, v1, v1 :: v_dual_lshlrev_b32 v80, 2, v3
	v_max_f32_e32 v76, v0, v1
	ds_bpermute_b32 v78, v80, v76
	s_and_saveexec_b32 s27, s21
	s_delay_alu instid0(SALU_CYCLE_1)
	s_xor_b32 s21, exec_lo, s27
	s_cbranch_execz .LBB89_22
; %bb.21:                               ;   in Loop: Header=BB89_8 Depth=1
	v_add_f32_e64 v0, |v16|, |v16|
	s_delay_alu instid0(VALU_DEP_1) | instskip(SKIP_1) | instid1(VALU_DEP_2)
	v_mul_f32_e32 v1, 0x3fb8aa3b, v0
	v_cmp_ngt_f32_e32 vcc_lo, 0xc2ce8ed0, v0
	v_rndne_f32_e32 v3, v1
	v_fma_f32 v4, 0x3fb8aa3b, v0, -v1
	s_delay_alu instid0(VALU_DEP_1) | instskip(SKIP_1) | instid1(VALU_DEP_2)
	v_dual_sub_f32 v1, v1, v3 :: v_dual_fmac_f32 v4, 0x32a5705f, v0
	v_cvt_i32_f32_e32 v3, v3
	v_add_f32_e32 v1, v1, v4
	s_delay_alu instid0(VALU_DEP_1) | instskip(SKIP_2) | instid1(VALU_DEP_1)
	v_exp_f32_e32 v1, v1
	s_waitcnt_depctr 0xfff
	v_ldexp_f32 v1, v1, v3
	v_cndmask_b32_e32 v1, 0, v1, vcc_lo
	v_cmp_nlt_f32_e32 vcc_lo, 0x42b17218, v0
	s_delay_alu instid0(VALU_DEP_2) | instskip(NEXT) | instid1(VALU_DEP_1)
	v_cndmask_b32_e32 v0, 0x7f800000, v1, vcc_lo
	v_add_f32_e32 v0, 1.0, v0
	s_delay_alu instid0(VALU_DEP_1)
	v_rcp_f32_e32 v0, v0
	s_waitcnt_depctr 0xfff
	v_fma_f32 v85, v0, -2.0, 1.0
.LBB89_22:                              ;   in Loop: Header=BB89_8 Depth=1
	s_and_not1_saveexec_b32 s21, s21
; %bb.23:                               ;   in Loop: Header=BB89_8 Depth=1
	v_mul_f32_e32 v0, v16, v16
	s_delay_alu instid0(VALU_DEP_1) | instskip(NEXT) | instid1(VALU_DEP_1)
	v_fmaak_f32 v1, s20, v0, 0x3ca908c9
	v_fmaak_f32 v1, v0, v1, 0xbd5c1c4e
	s_delay_alu instid0(VALU_DEP_1) | instskip(NEXT) | instid1(VALU_DEP_1)
	v_fmaak_f32 v1, v0, v1, 0x3e088382
	v_fmaak_f32 v1, v0, v1, 0xbeaaaa99
	s_delay_alu instid0(VALU_DEP_1) | instskip(NEXT) | instid1(VALU_DEP_1)
	v_mul_f32_e64 v1, |v16|, v1
	v_fma_f32 v85, v0, v1, |v16|
; %bb.24:                               ;   in Loop: Header=BB89_8 Depth=1
	s_or_b32 exec_lo, exec_lo, s21
	v_add_nc_u32_e32 v0, v2, v62
	s_and_not1_b32 vcc_lo, exec_lo, s13
	s_delay_alu instid0(VALU_DEP_1)
	v_ashrrev_i32_e32 v1, 31, v0
	s_cbranch_vccnz .LBB89_35
; %bb.25:                               ;   in Loop: Header=BB89_8 Depth=1
	s_delay_alu instid0(VALU_DEP_1) | instskip(NEXT) | instid1(VALU_DEP_1)
	v_lshlrev_b64 v[2:3], 1, v[0:1]
	v_add_co_u32 v2, vcc_lo, s40, v2
	s_delay_alu instid0(VALU_DEP_2) | instskip(SKIP_3) | instid1(VALU_DEP_1)
	v_add_co_ci_u32_e32 v3, vcc_lo, s41, v3, vcc_lo
	flat_load_u16 v2, v[2:3]
	s_waitcnt vmcnt(0) lgkmcnt(0)
	v_cvt_f32_f16_e32 v2, v2
	v_mul_f32_e32 v79, v47, v2
	v_cmp_ngt_f32_e64 s21, 0x3f200000, |v17|
                                        ; implicit-def: $vgpr86
	s_delay_alu instid0(VALU_DEP_1) | instskip(NEXT) | instid1(SALU_CYCLE_1)
	s_and_saveexec_b32 s27, s21
	s_xor_b32 s21, exec_lo, s27
	s_cbranch_execz .LBB89_27
.LBB89_26:                              ;   in Loop: Header=BB89_8 Depth=1
	v_add_f32_e64 v2, |v17|, |v17|
	s_delay_alu instid0(VALU_DEP_1) | instskip(SKIP_1) | instid1(VALU_DEP_2)
	v_mul_f32_e32 v3, 0x3fb8aa3b, v2
	v_cmp_ngt_f32_e32 vcc_lo, 0xc2ce8ed0, v2
	v_rndne_f32_e32 v4, v3
	v_fma_f32 v5, 0x3fb8aa3b, v2, -v3
	s_delay_alu instid0(VALU_DEP_2) | instskip(NEXT) | instid1(VALU_DEP_2)
	v_sub_f32_e32 v3, v3, v4
	v_fmac_f32_e32 v5, 0x32a5705f, v2
	v_cvt_i32_f32_e32 v4, v4
	s_delay_alu instid0(VALU_DEP_2) | instskip(NEXT) | instid1(VALU_DEP_1)
	v_add_f32_e32 v3, v3, v5
	v_exp_f32_e32 v3, v3
	s_waitcnt_depctr 0xfff
	v_ldexp_f32 v3, v3, v4
	s_delay_alu instid0(VALU_DEP_1) | instskip(SKIP_1) | instid1(VALU_DEP_2)
	v_cndmask_b32_e32 v3, 0, v3, vcc_lo
	v_cmp_nlt_f32_e32 vcc_lo, 0x42b17218, v2
	v_cndmask_b32_e32 v2, 0x7f800000, v3, vcc_lo
	s_delay_alu instid0(VALU_DEP_1) | instskip(NEXT) | instid1(VALU_DEP_1)
	v_add_f32_e32 v2, 1.0, v2
	v_rcp_f32_e32 v2, v2
	s_waitcnt_depctr 0xfff
	v_fma_f32 v86, v2, -2.0, 1.0
.LBB89_27:                              ;   in Loop: Header=BB89_8 Depth=1
	s_and_not1_saveexec_b32 s21, s21
	s_cbranch_execz .LBB89_30
; %bb.28:                               ;   in Loop: Header=BB89_8 Depth=1
	v_mul_f32_e32 v2, v17, v17
	s_delay_alu instid0(VALU_DEP_1) | instskip(NEXT) | instid1(VALU_DEP_1)
	v_fmaak_f32 v3, s20, v2, 0x3ca908c9
	v_fmaak_f32 v3, v2, v3, 0xbd5c1c4e
	s_delay_alu instid0(VALU_DEP_1) | instskip(NEXT) | instid1(VALU_DEP_1)
	v_fmaak_f32 v3, v2, v3, 0x3e088382
	v_fmaak_f32 v3, v2, v3, 0xbeaaaa99
	s_delay_alu instid0(VALU_DEP_1) | instskip(NEXT) | instid1(VALU_DEP_1)
	v_mul_f32_e64 v3, |v17|, v3
	v_fma_f32 v86, v2, v3, |v17|
	s_or_b32 exec_lo, exec_lo, s21
	s_delay_alu instid0(SALU_CYCLE_1)
	s_and_not1_b32 vcc_lo, exec_lo, s13
	s_cbranch_vccz .LBB89_31
.LBB89_29:                              ;   in Loop: Header=BB89_8 Depth=1
	v_mov_b32_e32 v81, 0
	s_branch .LBB89_32
.LBB89_30:                              ;   in Loop: Header=BB89_8 Depth=1
	s_or_b32 exec_lo, exec_lo, s21
	s_delay_alu instid0(SALU_CYCLE_1)
	s_and_not1_b32 vcc_lo, exec_lo, s13
	s_cbranch_vccnz .LBB89_29
.LBB89_31:                              ;   in Loop: Header=BB89_8 Depth=1
	v_lshlrev_b64 v[0:1], 1, v[0:1]
	s_delay_alu instid0(VALU_DEP_1) | instskip(NEXT) | instid1(VALU_DEP_2)
	v_add_co_u32 v0, vcc_lo, s18, v0
	v_add_co_ci_u32_e32 v1, vcc_lo, s19, v1, vcc_lo
	flat_load_u16 v0, v[0:1]
	s_waitcnt vmcnt(0) lgkmcnt(0)
	v_cvt_f32_f16_e32 v0, v0
	s_delay_alu instid0(VALU_DEP_1)
	v_mul_f32_e32 v81, v47, v0
.LBB89_32:                              ;   in Loop: Header=BB89_8 Depth=1
	s_mul_hi_i32 s37, s6, s16
	s_mul_i32 s36, s6, s16
	s_waitcnt lgkmcnt(0)
	s_lshl_b64 s[36:37], s[36:37], 2
	s_barrier
	s_add_u32 s21, s7, s36
	s_addc_u32 s27, s17, s37
	v_add_co_u32 v0, vcc_lo, s21, v26
	v_add_co_ci_u32_e32 v1, vcc_lo, s27, v27, vcc_lo
	v_add_co_u32 v2, vcc_lo, s21, v28
	v_add_co_ci_u32_e32 v3, vcc_lo, s27, v29, vcc_lo
	s_delay_alu instid0(VALU_DEP_4) | instskip(NEXT) | instid1(VALU_DEP_4)
	v_add_co_u32 v0, vcc_lo, v0, v68
	v_add_co_ci_u32_e32 v1, vcc_lo, 0, v1, vcc_lo
	s_delay_alu instid0(VALU_DEP_4) | instskip(NEXT) | instid1(VALU_DEP_4)
	v_add_co_u32 v4, vcc_lo, v2, v68
	v_add_co_ci_u32_e32 v5, vcc_lo, 0, v3, vcc_lo
	v_add_co_u32 v2, vcc_lo, s21, v30
	v_add_co_ci_u32_e32 v3, vcc_lo, s27, v31, vcc_lo
	;; [unrolled: 2-line block ×3, first 2 shown]
	s_delay_alu instid0(VALU_DEP_4) | instskip(NEXT) | instid1(VALU_DEP_4)
	v_add_co_u32 v8, vcc_lo, v2, v68
	v_add_co_ci_u32_e32 v9, vcc_lo, 0, v3, vcc_lo
	s_delay_alu instid0(VALU_DEP_4) | instskip(NEXT) | instid1(VALU_DEP_4)
	v_add_co_u32 v12, vcc_lo, v6, v68
	v_add_co_ci_u32_e32 v13, vcc_lo, 0, v7, vcc_lo
	buffer_gl0_inv
	s_clause 0x3
	global_load_b128 v[0:3], v[0:1], off
	global_load_b128 v[4:7], v[4:5], off
	global_load_b128 v[8:11], v[8:9], off
	global_load_b128 v[12:15], v[12:13], off
	v_bfi_b32 v16, 0x7fffffff, v85, v16
	v_bfi_b32 v17, 0x7fffffff, v86, v17
	s_or_b32 s21, s6, 32
	s_delay_alu instid0(SALU_CYCLE_1) | instskip(NEXT) | instid1(VALU_DEP_2)
	s_mul_hi_i32 s37, s21, s16
	v_fmac_f32_e32 v79, s23, v16
	s_delay_alu instid0(VALU_DEP_2) | instskip(SKIP_1) | instid1(SALU_CYCLE_1)
	v_fmac_f32_e32 v81, s23, v17
	s_mul_i32 s36, s21, s16
	s_lshl_b64 s[36:37], s[36:37], 2
	s_delay_alu instid0(VALU_DEP_1) | instskip(SKIP_2) | instid1(VALU_DEP_1)
	v_dual_add_f32 v16, 0x40051340, v79 :: v_dual_add_f32 v17, 0x40051340, v81
	s_add_u32 s21, s7, s36
	s_addc_u32 s27, s17, s37
	v_max3_f32 v16, v73, v16, v17
	ds_bpermute_b32 v17, v82, v16
	s_waitcnt lgkmcnt(0)
	v_dual_max_f32 v82, v78, v78 :: v_dual_max_f32 v17, v17, v17
	s_delay_alu instid0(VALU_DEP_1) | instskip(SKIP_4) | instid1(VALU_DEP_1)
	v_max_f32_e32 v16, v16, v17
	ds_bpermute_b32 v17, v83, v16
	v_max_f32_e32 v83, v76, v76
	s_waitcnt lgkmcnt(0)
	v_max_f32_e32 v17, v17, v17
	v_max_f32_e32 v16, v16, v17
	ds_bpermute_b32 v17, v84, v16
	v_add_nc_u32_e32 v84, v63, v37
	s_waitcnt lgkmcnt(0)
	v_max_f32_e32 v17, v17, v17
	s_delay_alu instid0(VALU_DEP_1) | instskip(SKIP_3) | instid1(VALU_DEP_1)
	v_max_f32_e32 v16, v16, v17
	ds_bpermute_b32 v17, v74, v16
	s_waitcnt lgkmcnt(0)
	v_max_f32_e32 v17, v17, v17
	v_dual_max_f32 v17, v16, v17 :: v_dual_max_f32 v16, v83, v82
	v_add_nc_u32_e32 v76, 0x1000, v41
	v_add_nc_u32_e32 v78, 0x800, v41
	v_add_co_u32 v82, vcc_lo, s21, v26
	s_delay_alu instid0(VALU_DEP_4) | instskip(SKIP_3) | instid1(VALU_DEP_3)
	v_sub_f32_e32 v77, v77, v16
	v_sub_f32_e32 v75, v75, v16
	v_add_co_ci_u32_e32 v83, vcc_lo, s27, v27, vcc_lo
	v_add_co_u32 v85, vcc_lo, s21, v28
	v_mul_f32_e32 v90, 0x3fb8aa3b, v75
	v_add_co_ci_u32_e32 v86, vcc_lo, s27, v29, vcc_lo
	v_add_co_u32 v87, vcc_lo, s21, v30
	s_delay_alu instid0(VALU_DEP_3) | instskip(SKIP_3) | instid1(VALU_DEP_4)
	v_rndne_f32_e32 v95, v90
	v_fma_f32 v94, 0x3fb8aa3b, v75, -v90
	v_add_co_ci_u32_e32 v88, vcc_lo, s27, v31, vcc_lo
	v_add_co_u32 v91, vcc_lo, s21, v32
	v_sub_f32_e32 v90, v90, v95
	ds_bpermute_b32 v80, v80, v17
	v_fmac_f32_e32 v94, 0x32a5705f, v75
	v_mul_f32_e32 v89, 0x3fb8aa3b, v77
	v_add_co_ci_u32_e32 v92, vcc_lo, s27, v33, vcc_lo
	v_add_co_u32 v165, vcc_lo, v82, v68
	s_delay_alu instid0(VALU_DEP_4) | instskip(NEXT) | instid1(VALU_DEP_4)
	v_add_f32_e32 v90, v90, v94
	v_rndne_f32_e32 v93, v89
	v_add_co_ci_u32_e32 v166, vcc_lo, 0, v83, vcc_lo
	v_cvt_i32_f32_e32 v95, v95
	s_delay_alu instid0(VALU_DEP_4)
	v_exp_f32_e32 v90, v90
	v_cmp_ngt_f32_e32 vcc_lo, 0xc2ce8ed0, v77
	s_waitcnt lgkmcnt(0)
	v_max_f32_e32 v80, v80, v80
	s_waitcnt_depctr 0xfff
	v_ldexp_f32 v83, v90, v95
	v_max_f32_e32 v17, v17, v80
	v_fma_f32 v80, 0x3fb8aa3b, v77, -v89
	s_delay_alu instid0(VALU_DEP_2) | instskip(SKIP_3) | instid1(VALU_DEP_4)
	v_sub_f32_e32 v96, v79, v17
	v_sub_f32_e32 v81, v81, v17
	;; [unrolled: 1-line block ×3, first 2 shown]
	v_cvt_i32_f32_e32 v93, v93
	v_mul_f32_e32 v89, 0x3fb8aa3b, v96
	s_delay_alu instid0(VALU_DEP_4) | instskip(NEXT) | instid1(VALU_DEP_2)
	v_mul_f32_e32 v97, 0x3fb8aa3b, v81
	v_rndne_f32_e32 v98, v89
	s_delay_alu instid0(VALU_DEP_2) | instskip(SKIP_1) | instid1(VALU_DEP_1)
	v_fma_f32 v99, 0x3fb8aa3b, v81, -v97
	v_rndne_f32_e32 v100, v97
	v_dual_fmac_f32 v99, 0x32a5705f, v81 :: v_dual_sub_f32 v94, v97, v100
	v_fmac_f32_e32 v80, 0x32a5705f, v77
	v_add_nc_u32_e32 v74, 0x1800, v41
	v_cvt_i32_f32_e32 v90, v100
	s_delay_alu instid0(VALU_DEP_3) | instskip(SKIP_2) | instid1(VALU_DEP_3)
	v_add_f32_e32 v79, v79, v80
	v_fma_f32 v80, 0x3fb8aa3b, v96, -v89
	v_sub_f32_e32 v89, v89, v98
	v_exp_f32_e32 v79, v79
	s_delay_alu instid0(VALU_DEP_2) | instskip(NEXT) | instid1(VALU_DEP_1)
	v_fmac_f32_e32 v80, 0x32a5705f, v96
	v_dual_add_f32 v80, v89, v80 :: v_dual_add_f32 v89, v94, v99
	s_waitcnt_depctr 0xfff
	v_ldexp_f32 v79, v79, v93
	v_exp_f32_e32 v80, v80
	v_exp_f32_e32 v82, v89
	v_cvt_i32_f32_e32 v89, v98
	s_delay_alu instid0(VALU_DEP_2) | instskip(SKIP_3) | instid1(TRANS32_DEP_2)
	v_cndmask_b32_e32 v79, 0, v79, vcc_lo
	v_cmp_ngt_f32_e32 vcc_lo, 0xc2ce8ed0, v75
	v_cndmask_b32_e32 v83, 0, v83, vcc_lo
	v_cmp_nlt_f32_e32 vcc_lo, 0x42b17218, v77
	v_ldexp_f32 v80, v80, v89
	s_delay_alu instid0(TRANS32_DEP_1) | instskip(SKIP_2) | instid1(VALU_DEP_4)
	v_ldexp_f32 v82, v82, v90
	v_cndmask_b32_e32 v79, 0x7f800000, v79, vcc_lo
	v_cmp_ngt_f32_e32 vcc_lo, 0xc2ce8ed0, v96
	v_cndmask_b32_e32 v77, 0, v80, vcc_lo
	v_cmp_ngt_f32_e32 vcc_lo, 0xc2ce8ed0, v81
	v_cndmask_b32_e32 v82, 0, v82, vcc_lo
	v_cmp_nlt_f32_e32 vcc_lo, 0x42b17218, v75
	v_cndmask_b32_e32 v80, 0x7f800000, v83, vcc_lo
	v_cmp_nlt_f32_e32 vcc_lo, 0x42b17218, v96
	;; [unrolled: 2-line block ×3, first 2 shown]
	v_cvt_f16_f32_e32 v81, v79
	s_delay_alu instid0(VALU_DEP_3) | instskip(SKIP_4) | instid1(VALU_DEP_4)
	v_cvt_f16_f32_e32 v83, v75
	v_cndmask_b32_e32 v77, 0x7f800000, v82, vcc_lo
	v_add_co_u32 v169, vcc_lo, v85, v68
	v_cvt_f16_f32_e32 v82, v80
	v_add_co_ci_u32_e32 v170, vcc_lo, 0, v86, vcc_lo
	v_cvt_f16_f32_e32 v85, v77
	v_add_co_u32 v173, vcc_lo, v87, v68
	v_add_co_ci_u32_e32 v174, vcc_lo, 0, v88, vcc_lo
	v_pack_b32_f16 v82, v82, v83
	s_delay_alu instid0(VALU_DEP_4)
	v_pack_b32_f16 v81, v81, v85
	v_add_co_u32 v177, vcc_lo, v91, v68
	v_add_co_ci_u32_e32 v178, vcc_lo, 0, v92, vcc_lo
	ds_store_2addr_b32 v84, v82, v81 offset1:32
	s_waitcnt vmcnt(3)
	ds_store_b128 v61, v[0:3]
	s_waitcnt vmcnt(2)
	ds_store_b128 v64, v[4:7]
	;; [unrolled: 2-line block ×4, first 2 shown]
	s_waitcnt lgkmcnt(0)
	s_barrier
	buffer_gl0_inv
	ds_load_2addr_b64 v[2:5], v41 offset1:32
	ds_load_b128 v[6:9], v63
	ds_load_b128 v[10:13], v63 offset:16
	ds_load_b128 v[81:84], v63 offset:32
	ds_load_b128 v[85:88], v63 offset:48
	ds_load_2addr_b64 v[89:92], v41 offset0:64 offset1:96
	ds_load_2addr_b64 v[93:96], v41 offset0:128 offset1:160
	;; [unrolled: 1-line block ×3, first 2 shown]
	ds_load_2addr_b64 v[101:104], v78 offset1:32
	ds_load_2addr_b64 v[105:108], v78 offset0:64 offset1:96
	ds_load_2addr_b64 v[109:112], v78 offset0:128 offset1:160
	;; [unrolled: 1-line block ×3, first 2 shown]
	ds_load_2addr_b64 v[117:120], v76 offset1:32
	ds_load_2addr_b64 v[121:124], v76 offset0:64 offset1:96
	ds_load_2addr_b64 v[125:128], v76 offset0:128 offset1:160
	ds_load_b128 v[129:132], v63 offset:64
	ds_load_b128 v[133:136], v63 offset:80
	ds_load_2addr_b64 v[137:140], v76 offset0:192 offset1:224
	ds_load_2addr_b64 v[141:144], v74 offset1:32
	ds_load_2addr_b64 v[145:148], v74 offset0:64 offset1:96
	ds_load_2addr_b64 v[149:152], v74 offset0:128 offset1:160
	ds_load_b128 v[153:156], v63 offset:96
	ds_load_b128 v[157:160], v63 offset:112
	ds_load_2addr_b64 v[161:164], v74 offset0:192 offset1:224
	s_waitcnt lgkmcnt(0)
	s_barrier
	buffer_gl0_inv
	s_clause 0x3
	global_load_b128 v[165:168], v[165:166], off
	global_load_b128 v[169:172], v[169:170], off
	;; [unrolled: 1-line block ×4, first 2 shown]
	v_dual_sub_f32 v0, v73, v17 :: v_dual_sub_f32 v1, v72, v16
	s_waitcnt vmcnt(3)
	ds_store_b128 v61, v[165:168]
	s_waitcnt vmcnt(2)
	ds_store_b128 v64, v[169:172]
	;; [unrolled: 2-line block ×4, first 2 shown]
	v_dual_mul_f32 v14, 0x3fb8aa3b, v0 :: v_dual_mul_f32 v15, 0x3fb8aa3b, v1
	v_cmp_ngt_f32_e32 vcc_lo, 0xc2ce8ed0, v0
	s_waitcnt lgkmcnt(0)
	s_barrier
	s_delay_alu instid0(VALU_DEP_2)
	v_fma_f32 v72, 0x3fb8aa3b, v0, -v14
	v_rndne_f32_e32 v73, v14
	v_fma_f32 v181, 0x3fb8aa3b, v1, -v15
	v_rndne_f32_e32 v182, v15
	buffer_gl0_inv
	v_fmac_f32_e32 v72, 0x32a5705f, v0
	v_sub_f32_e32 v14, v14, v73
	v_fmac_f32_e32 v181, 0x32a5705f, v1
	s_delay_alu instid0(VALU_DEP_2) | instskip(SKIP_2) | instid1(VALU_DEP_3)
	v_dual_sub_f32 v15, v15, v182 :: v_dual_add_f32 v14, v14, v72
	v_cvt_i32_f32_e32 v72, v73
	v_cvt_i32_f32_e32 v73, v182
	v_exp_f32_e32 v14, v14
	s_waitcnt_depctr 0xfff
	v_ldexp_f32 v14, v14, v72
	v_pk_mul_f16 v72, v2, v6 op_sel_hi:[1,0]
	v_pk_mul_f16 v2, v2, v6 op_sel:[0,1]
	s_delay_alu instid0(VALU_DEP_3) | instskip(SKIP_1) | instid1(VALU_DEP_2)
	v_dual_cndmask_b32 v14, 0, v14 :: v_dual_add_f32 v15, v15, v181
	v_cmp_ngt_f32_e32 vcc_lo, 0xc2ce8ed0, v1
	v_exp_f32_e32 v15, v15
	s_waitcnt_depctr 0xfff
	v_ldexp_f32 v15, v15, v73
	v_pk_mul_f16 v73, v3, v6 op_sel_hi:[1,0]
	s_delay_alu instid0(VALU_DEP_2) | instskip(SKIP_3) | instid1(VALU_DEP_2)
	v_cndmask_b32_e32 v15, 0, v15, vcc_lo
	v_cmp_nlt_f32_e32 vcc_lo, 0x42b17218, v0
	v_cndmask_b32_e32 v0, 0x7f800000, v14, vcc_lo
	v_cmp_nlt_f32_e32 vcc_lo, 0x42b17218, v1
	v_cvt_f16_f32_e32 v14, v0
	v_cndmask_b32_e32 v1, 0x7f800000, v15, vcc_lo
	s_delay_alu instid0(VALU_DEP_2) | instskip(NEXT) | instid1(VALU_DEP_2)
	v_pk_mul_f16 v42, v14, v42 op_sel_hi:[0,1]
	v_cvt_f16_f32_e32 v15, v1
	v_pk_fma_f16 v2, v14, v43, v2 op_sel_hi:[0,1,1]
	s_delay_alu instid0(VALU_DEP_3) | instskip(NEXT) | instid1(VALU_DEP_3)
	v_pk_fma_f16 v3, v3, v6, v42 op_sel:[0,1,0]
	v_pk_fma_f16 v6, v15, v44, v72 op_sel_hi:[0,1,1]
	v_pk_fma_f16 v14, v15, v45, v73 op_sel_hi:[0,1,1]
	s_delay_alu instid0(VALU_DEP_4) | instskip(NEXT) | instid1(VALU_DEP_4)
	v_pk_fma_f16 v2, v4, v7, v2 op_sel:[0,1,0]
	v_pk_fma_f16 v3, v5, v7, v3 op_sel:[0,1,0]
	s_delay_alu instid0(VALU_DEP_4) | instskip(NEXT) | instid1(VALU_DEP_4)
	v_pk_fma_f16 v6, v4, v7, v6 op_sel_hi:[1,0,1]
	v_pk_fma_f16 v4, v5, v7, v14 op_sel_hi:[1,0,1]
	s_delay_alu instid0(VALU_DEP_4) | instskip(NEXT) | instid1(VALU_DEP_4)
	v_pk_fma_f16 v2, v89, v8, v2 op_sel:[0,1,0]
	v_pk_fma_f16 v3, v90, v8, v3 op_sel:[0,1,0]
	s_delay_alu instid0(VALU_DEP_4) | instskip(NEXT) | instid1(VALU_DEP_4)
	;; [unrolled: 6-line block ×27, first 2 shown]
	v_pk_fma_f16 v5, v147, v156, v5 op_sel_hi:[1,0,1]
	v_pk_fma_f16 v11, v148, v156, v4 op_sel_hi:[1,0,1]
	s_delay_alu instid0(VALU_DEP_4) | instskip(NEXT) | instid1(VALU_DEP_4)
	v_pk_fma_f16 v10, v149, v157, v10 op_sel:[0,1,0]
	v_pk_fma_f16 v12, v150, v157, v3 op_sel:[0,1,0]
	s_delay_alu instid0(VALU_DEP_4)
	v_pk_fma_f16 v13, v149, v157, v5 op_sel_hi:[1,0,1]
	ds_load_2addr_b64 v[2:5], v41 offset1:32
	ds_load_b128 v[6:9], v63 offset:128
	v_pk_fma_f16 v11, v150, v157, v11 op_sel_hi:[1,0,1]
	v_pk_fma_f16 v14, v151, v158, v10 op_sel:[0,1,0]
	v_pk_fma_f16 v12, v152, v158, v12 op_sel:[0,1,0]
	v_pk_fma_f16 v13, v151, v158, v13 op_sel_hi:[1,0,1]
	s_delay_alu instid0(VALU_DEP_4) | instskip(NEXT) | instid1(VALU_DEP_4)
	v_pk_fma_f16 v15, v152, v158, v11 op_sel_hi:[1,0,1]
	v_pk_fma_f16 v14, v161, v159, v14 op_sel:[0,1,0]
	s_delay_alu instid0(VALU_DEP_4) | instskip(NEXT) | instid1(VALU_DEP_4)
	v_pk_fma_f16 v42, v162, v159, v12 op_sel:[0,1,0]
	v_pk_fma_f16 v43, v161, v159, v13 op_sel_hi:[1,0,1]
	ds_load_2addr_b64 v[10:13], v41 offset0:64 offset1:96
	v_pk_fma_f16 v15, v162, v159, v15 op_sel_hi:[1,0,1]
	v_pk_fma_f16 v14, v163, v160, v14 op_sel:[0,1,0]
	v_pk_fma_f16 v72, v164, v160, v42 op_sel:[0,1,0]
	v_pk_fma_f16 v73, v163, v160, v43 op_sel_hi:[1,0,1]
	ds_load_b128 v[42:45], v63 offset:144
	ds_load_2addr_b64 v[81:84], v41 offset0:128 offset1:160
	v_pk_fma_f16 v15, v164, v160, v15 op_sel_hi:[1,0,1]
	ds_load_2addr_b64 v[85:88], v78 offset1:32
	ds_load_2addr_b64 v[89:92], v78 offset0:128 offset1:160
	ds_load_2addr_b64 v[93:96], v74 offset0:64 offset1:96
	s_waitcnt lgkmcnt(6)
	v_pk_fma_f16 v73, v2, v6, v73 op_sel_hi:[1,0,1]
	v_pk_fma_f16 v2, v2, v6, v14 op_sel:[0,1,0]
	v_pk_fma_f16 v14, v3, v6, v15 op_sel_hi:[1,0,1]
	v_pk_fma_f16 v3, v3, v6, v72 op_sel:[0,1,0]
	s_delay_alu instid0(VALU_DEP_4) | instskip(NEXT) | instid1(VALU_DEP_4)
	v_pk_fma_f16 v6, v4, v7, v73 op_sel_hi:[1,0,1]
	v_pk_fma_f16 v15, v4, v7, v2 op_sel:[0,1,0]
	s_delay_alu instid0(VALU_DEP_4) | instskip(NEXT) | instid1(VALU_DEP_4)
	v_pk_fma_f16 v14, v5, v7, v14 op_sel_hi:[1,0,1]
	v_pk_fma_f16 v7, v5, v7, v3 op_sel:[0,1,0]
	ds_load_2addr_b64 v[2:5], v41 offset0:192 offset1:224
	s_waitcnt lgkmcnt(6)
	v_pk_fma_f16 v6, v10, v8, v6 op_sel_hi:[1,0,1]
	v_pk_fma_f16 v10, v10, v8, v15 op_sel:[0,1,0]
	v_pk_fma_f16 v14, v11, v8, v14 op_sel_hi:[1,0,1]
	v_pk_fma_f16 v7, v11, v8, v7 op_sel:[0,1,0]
	s_delay_alu instid0(VALU_DEP_4) | instskip(NEXT) | instid1(VALU_DEP_4)
	v_pk_fma_f16 v6, v12, v9, v6 op_sel_hi:[1,0,1]
	v_pk_fma_f16 v10, v12, v9, v10 op_sel:[0,1,0]
	s_delay_alu instid0(VALU_DEP_4) | instskip(NEXT) | instid1(VALU_DEP_4)
	v_pk_fma_f16 v11, v13, v9, v14 op_sel_hi:[1,0,1]
	v_pk_fma_f16 v12, v13, v9, v7 op_sel:[0,1,0]
	s_waitcnt lgkmcnt(4)
	v_pk_fma_f16 v13, v81, v42, v6 op_sel_hi:[1,0,1]
	ds_load_b128 v[6:9], v63 offset:160
	v_pk_fma_f16 v14, v81, v42, v10 op_sel:[0,1,0]
	v_pk_fma_f16 v15, v82, v42, v11 op_sel_hi:[1,0,1]
	v_pk_fma_f16 v42, v82, v42, v12 op_sel:[0,1,0]
	v_pk_fma_f16 v72, v83, v43, v13 op_sel_hi:[1,0,1]
	ds_load_2addr_b64 v[10:13], v78 offset0:64 offset1:96
	v_pk_fma_f16 v14, v83, v43, v14 op_sel:[0,1,0]
	v_pk_fma_f16 v15, v84, v43, v15 op_sel_hi:[1,0,1]
	v_pk_fma_f16 v42, v84, v43, v42 op_sel:[0,1,0]
	ds_load_b128 v[81:84], v63 offset:176
	s_waitcnt lgkmcnt(3)
	v_pk_fma_f16 v43, v2, v44, v72 op_sel_hi:[1,0,1]
	v_pk_fma_f16 v2, v2, v44, v14 op_sel:[0,1,0]
	v_pk_fma_f16 v14, v3, v44, v15 op_sel_hi:[1,0,1]
	v_pk_fma_f16 v3, v3, v44, v42 op_sel:[0,1,0]
	s_delay_alu instid0(VALU_DEP_4) | instskip(NEXT) | instid1(VALU_DEP_4)
	v_pk_fma_f16 v15, v4, v45, v43 op_sel_hi:[1,0,1]
	v_pk_fma_f16 v2, v4, v45, v2 op_sel:[0,1,0]
	s_delay_alu instid0(VALU_DEP_4) | instskip(NEXT) | instid1(VALU_DEP_4)
	v_pk_fma_f16 v4, v5, v45, v14 op_sel_hi:[1,0,1]
	v_pk_fma_f16 v3, v5, v45, v3 op_sel:[0,1,0]
	ds_load_2addr_b64 v[42:45], v76 offset1:32
	s_waitcnt lgkmcnt(3)
	v_pk_fma_f16 v5, v85, v6, v15 op_sel_hi:[1,0,1]
	v_pk_fma_f16 v2, v85, v6, v2 op_sel:[0,1,0]
	v_pk_fma_f16 v4, v86, v6, v4 op_sel_hi:[1,0,1]
	v_pk_fma_f16 v3, v86, v6, v3 op_sel:[0,1,0]
	s_delay_alu instid0(VALU_DEP_4) | instskip(NEXT) | instid1(VALU_DEP_4)
	v_pk_fma_f16 v5, v87, v7, v5 op_sel_hi:[1,0,1]
	v_pk_fma_f16 v6, v87, v7, v2 op_sel:[0,1,0]
	s_delay_alu instid0(VALU_DEP_4) | instskip(NEXT) | instid1(VALU_DEP_4)
	v_pk_fma_f16 v14, v88, v7, v4 op_sel_hi:[1,0,1]
	v_pk_fma_f16 v7, v88, v7, v3 op_sel:[0,1,0]
	ds_load_2addr_b64 v[85:88], v76 offset0:128 offset1:160
	s_waitcnt lgkmcnt(3)
	v_pk_fma_f16 v15, v10, v8, v5 op_sel_hi:[1,0,1]
	ds_load_2addr_b64 v[2:5], v78 offset0:192 offset1:224
	v_pk_fma_f16 v6, v10, v8, v6 op_sel:[0,1,0]
	v_pk_fma_f16 v10, v11, v8, v14 op_sel_hi:[1,0,1]
	v_pk_fma_f16 v7, v11, v8, v7 op_sel:[0,1,0]
	v_pk_fma_f16 v8, v12, v9, v15 op_sel_hi:[1,0,1]
	s_delay_alu instid0(VALU_DEP_4) | instskip(NEXT) | instid1(VALU_DEP_4)
	v_pk_fma_f16 v11, v12, v9, v6 op_sel:[0,1,0]
	v_pk_fma_f16 v10, v13, v9, v10 op_sel_hi:[1,0,1]
	s_delay_alu instid0(VALU_DEP_4)
	v_pk_fma_f16 v12, v13, v9, v7 op_sel:[0,1,0]
	s_waitcnt lgkmcnt(3)
	v_pk_fma_f16 v13, v89, v81, v8 op_sel_hi:[1,0,1]
	ds_load_b128 v[6:9], v63 offset:192
	v_pk_fma_f16 v14, v89, v81, v11 op_sel:[0,1,0]
	v_pk_fma_f16 v15, v90, v81, v10 op_sel_hi:[1,0,1]
	v_pk_fma_f16 v72, v90, v81, v12 op_sel:[0,1,0]
	v_pk_fma_f16 v73, v91, v82, v13 op_sel_hi:[1,0,1]
	ds_load_2addr_b64 v[10:13], v76 offset0:64 offset1:96
	v_pk_fma_f16 v14, v91, v82, v14 op_sel:[0,1,0]
	v_pk_fma_f16 v15, v92, v82, v15 op_sel_hi:[1,0,1]
	v_pk_fma_f16 v72, v92, v82, v72 op_sel:[0,1,0]
	ds_load_b128 v[89:92], v63 offset:208
	s_waitcnt lgkmcnt(3)
	v_pk_fma_f16 v73, v2, v83, v73 op_sel_hi:[1,0,1]
	v_pk_fma_f16 v2, v2, v83, v14 op_sel:[0,1,0]
	v_pk_fma_f16 v14, v3, v83, v15 op_sel_hi:[1,0,1]
	v_pk_fma_f16 v3, v3, v83, v72 op_sel:[0,1,0]
	s_delay_alu instid0(VALU_DEP_4) | instskip(NEXT) | instid1(VALU_DEP_4)
	v_pk_fma_f16 v15, v4, v84, v73 op_sel_hi:[1,0,1]
	v_pk_fma_f16 v2, v4, v84, v2 op_sel:[0,1,0]
	s_delay_alu instid0(VALU_DEP_4) | instskip(NEXT) | instid1(VALU_DEP_4)
	v_pk_fma_f16 v4, v5, v84, v14 op_sel_hi:[1,0,1]
	v_pk_fma_f16 v3, v5, v84, v3 op_sel:[0,1,0]
	v_add_f32_e32 v5, v80, v79
	s_waitcnt lgkmcnt(2)
	v_pk_fma_f16 v14, v42, v6, v15 op_sel_hi:[1,0,1]
	v_pk_fma_f16 v2, v42, v6, v2 op_sel:[0,1,0]
	v_pk_fma_f16 v4, v43, v6, v4 op_sel_hi:[1,0,1]
	v_pk_fma_f16 v3, v43, v6, v3 op_sel:[0,1,0]
	ds_load_2addr_b64 v[78:81], v76 offset0:192 offset1:224
	v_pk_fma_f16 v6, v44, v7, v14 op_sel_hi:[1,0,1]
	v_pk_fma_f16 v2, v44, v7, v2 op_sel:[0,1,0]
	v_pk_fma_f16 v4, v45, v7, v4 op_sel_hi:[1,0,1]
	v_pk_fma_f16 v3, v45, v7, v3 op_sel:[0,1,0]
	ds_load_2addr_b64 v[42:45], v74 offset1:32
	s_waitcnt lgkmcnt(3)
	v_pk_fma_f16 v6, v10, v8, v6 op_sel_hi:[1,0,1]
	v_pk_fma_f16 v2, v10, v8, v2 op_sel:[0,1,0]
	v_pk_fma_f16 v4, v11, v8, v4 op_sel_hi:[1,0,1]
	v_pk_fma_f16 v3, v11, v8, v3 op_sel:[0,1,0]
	v_fmac_f32_e32 v5, v71, v1
	v_pk_fma_f16 v6, v12, v9, v6 op_sel_hi:[1,0,1]
	v_pk_fma_f16 v2, v12, v9, v2 op_sel:[0,1,0]
	v_pk_fma_f16 v4, v13, v9, v4 op_sel_hi:[1,0,1]
	v_pk_fma_f16 v3, v13, v9, v3 op_sel:[0,1,0]
	ds_load_2addr_b64 v[10:13], v74 offset0:128 offset1:160
	s_waitcnt lgkmcnt(3)
	v_pk_fma_f16 v14, v85, v89, v6 op_sel_hi:[1,0,1]
	ds_load_b128 v[6:9], v63 offset:224
	v_pk_fma_f16 v2, v85, v89, v2 op_sel:[0,1,0]
	ds_load_b128 v[82:85], v63 offset:240
	v_pk_fma_f16 v4, v86, v89, v4 op_sel_hi:[1,0,1]
	v_pk_fma_f16 v3, v86, v89, v3 op_sel:[0,1,0]
	v_pk_fma_f16 v14, v87, v90, v14 op_sel_hi:[1,0,1]
	v_pk_fma_f16 v2, v87, v90, v2 op_sel:[0,1,0]
	s_delay_alu instid0(VALU_DEP_4) | instskip(NEXT) | instid1(VALU_DEP_4)
	v_pk_fma_f16 v4, v88, v90, v4 op_sel_hi:[1,0,1]
	v_pk_fma_f16 v3, v88, v90, v3 op_sel:[0,1,0]
	s_waitcnt lgkmcnt(4)
	v_pk_fma_f16 v14, v78, v91, v14 op_sel_hi:[1,0,1]
	v_pk_fma_f16 v2, v78, v91, v2 op_sel:[0,1,0]
	ds_load_2addr_b64 v[86:89], v74 offset0:192 offset1:224
	v_pk_fma_f16 v4, v79, v91, v4 op_sel_hi:[1,0,1]
	v_pk_fma_f16 v3, v79, v91, v3 op_sel:[0,1,0]
	v_pk_fma_f16 v14, v80, v92, v14 op_sel_hi:[1,0,1]
	v_pk_fma_f16 v2, v80, v92, v2 op_sel:[0,1,0]
	s_waitcnt lgkmcnt(0)
	v_pk_fma_f16 v4, v81, v92, v4 op_sel_hi:[1,0,1]
	v_pk_fma_f16 v3, v81, v92, v3 op_sel:[0,1,0]
	v_pk_fma_f16 v14, v42, v6, v14 op_sel_hi:[1,0,1]
	v_pk_fma_f16 v2, v42, v6, v2 op_sel:[0,1,0]
	s_barrier
	v_pk_fma_f16 v4, v43, v6, v4 op_sel_hi:[1,0,1]
	v_pk_fma_f16 v3, v43, v6, v3 op_sel:[0,1,0]
	v_pk_fma_f16 v6, v44, v7, v14 op_sel_hi:[1,0,1]
	v_pk_fma_f16 v2, v44, v7, v2 op_sel:[0,1,0]
	buffer_gl0_inv
	v_pk_fma_f16 v4, v45, v7, v4 op_sel_hi:[1,0,1]
	v_pk_fma_f16 v3, v45, v7, v3 op_sel:[0,1,0]
	v_pk_fma_f16 v6, v93, v8, v6 op_sel_hi:[1,0,1]
	v_pk_fma_f16 v2, v93, v8, v2 op_sel:[0,1,0]
	s_load_b32 s21, s[2:3], 0x4
	v_pk_fma_f16 v4, v94, v8, v4 op_sel_hi:[1,0,1]
	v_pk_fma_f16 v3, v94, v8, v3 op_sel:[0,1,0]
	v_pk_fma_f16 v6, v95, v9, v6 op_sel_hi:[1,0,1]
	v_pk_fma_f16 v2, v95, v9, v2 op_sel:[0,1,0]
	s_delay_alu instid0(VALU_DEP_4) | instskip(NEXT) | instid1(VALU_DEP_4)
	v_pk_fma_f16 v4, v96, v9, v4 op_sel_hi:[1,0,1]
	v_pk_fma_f16 v3, v96, v9, v3 op_sel:[0,1,0]
	s_delay_alu instid0(VALU_DEP_4) | instskip(NEXT) | instid1(VALU_DEP_4)
	v_pk_fma_f16 v1, v10, v82, v6 op_sel_hi:[1,0,1]
	v_pk_fma_f16 v2, v10, v82, v2 op_sel:[0,1,0]
	v_add_f32_e32 v6, v75, v77
	v_pk_fma_f16 v4, v11, v82, v4 op_sel_hi:[1,0,1]
	v_pk_fma_f16 v3, v11, v82, v3 op_sel:[0,1,0]
	v_pk_fma_f16 v1, v12, v83, v1 op_sel_hi:[1,0,1]
	v_pk_fma_f16 v2, v12, v83, v2 op_sel:[0,1,0]
	v_fmac_f32_e32 v6, v70, v0
	v_pk_fma_f16 v4, v13, v83, v4 op_sel_hi:[1,0,1]
	v_pk_fma_f16 v3, v13, v83, v3 op_sel:[0,1,0]
	v_pk_fma_f16 v0, v86, v84, v1 op_sel_hi:[1,0,1]
	v_pk_fma_f16 v1, v86, v84, v2 op_sel:[0,1,0]
	s_waitcnt lgkmcnt(0)
	s_lshl_b32 s21, s21, 6
	v_pk_fma_f16 v2, v87, v84, v4 op_sel_hi:[1,0,1]
	v_pk_fma_f16 v3, v87, v84, v3 op_sel:[0,1,0]
	v_pk_fma_f16 v44, v88, v85, v0 op_sel_hi:[1,0,1]
	v_pk_fma_f16 v43, v88, v85, v1 op_sel:[0,1,0]
	s_add_i32 s6, s21, s6
	v_pk_fma_f16 v45, v89, v85, v2 op_sel_hi:[1,0,1]
	v_pk_fma_f16 v42, v89, v85, v3 op_sel:[0,1,0]
	s_cmp_lt_i32 s6, s12
	s_cbranch_scc0 .LBB89_37
; %bb.33:                               ;   in Loop: Header=BB89_8 Depth=1
	v_dual_mov_b32 v72, v16 :: v_dual_mov_b32 v73, v17
	v_dual_mov_b32 v71, v5 :: v_dual_mov_b32 v70, v6
	s_branch .LBB89_8
.LBB89_34:                              ;   in Loop: Header=BB89_8 Depth=1
	v_mov_b32_e32 v75, 0
	v_cmp_ngt_f32_e64 s21, 0x3f200000, |v9|
                                        ; implicit-def: $vgpr4
	s_delay_alu instid0(VALU_DEP_1) | instskip(NEXT) | instid1(SALU_CYCLE_1)
	s_and_saveexec_b32 s27, s21
	s_xor_b32 s21, exec_lo, s27
	s_cbranch_execz .LBB89_15
	s_branch .LBB89_14
.LBB89_35:                              ;   in Loop: Header=BB89_8 Depth=1
	v_mov_b32_e32 v79, 0
	v_cmp_ngt_f32_e64 s21, 0x3f200000, |v17|
                                        ; implicit-def: $vgpr86
	s_delay_alu instid0(VALU_DEP_1) | instskip(NEXT) | instid1(SALU_CYCLE_1)
	s_and_saveexec_b32 s27, s21
	s_xor_b32 s21, exec_lo, s27
	s_cbranch_execz .LBB89_27
	s_branch .LBB89_26
.LBB89_36:
	s_mov_b32 s45, s44
	s_delay_alu instid0(SALU_CYCLE_1)
	v_dual_mov_b32 v16, s44 :: v_dual_mov_b32 v17, s45
	v_dual_mov_b32 v5, 0 :: v_dual_mov_b32 v42, 0
	v_mov_b32_e32 v45, 0
	v_mov_b32_e32 v43, 0
.LBB89_37:
	s_cmp_gt_i32 s42, s6
	s_cbranch_scc1 .LBB89_39
; %bb.38:
	v_mbcnt_lo_u32_b32 v0, -1, 0
	v_mov_b32_e32 v10, 32
	s_delay_alu instid0(VALU_DEP_2)
	v_xor_b32_e32 v8, 16, v0
	v_xor_b32_e32 v7, 8, v0
	;; [unrolled: 1-line block ×5, first 2 shown]
	s_cbranch_execz .LBB89_40
	s_branch .LBB89_77
.LBB89_39:
                                        ; implicit-def: $vgpr0
                                        ; implicit-def: $vgpr10
                                        ; implicit-def: $vgpr8
                                        ; implicit-def: $vgpr7
                                        ; implicit-def: $vgpr9
                                        ; implicit-def: $vgpr11
                                        ; implicit-def: $vgpr12
.LBB89_40:
	v_lshl_add_u32 v13, v46, 2, v53
	s_mul_hi_i32 s3, s6, s26
	s_mul_i32 s2, s6, s26
	s_sub_i32 s18, s42, s6
	s_lshl_b64 s[2:3], s[2:3], 2
	v_mul_lo_u32 v3, s26, v13
	s_add_u32 s4, s4, s2
	v_dual_mov_b32 v9, 0 :: v_dual_lshlrev_b32 v26, 2, v54
	s_addc_u32 s5, s5, s3
	v_cmp_gt_i32_e64 s2, s18, v13
	s_mov_b32 s36, 0
	s_mov_b64 s[12:13], src_private_base
	s_delay_alu instid0(VALU_DEP_3)
	v_ashrrev_i32_e32 v4, 31, v3
	s_mov_b32 s37, s36
	s_mov_b32 s38, s36
	s_lshl_b32 s12, s26, 4
	v_mad_u32_u24 v10, 0x90, v13, v26
	v_lshlrev_b64 v[0:1], 2, v[3:4]
	v_add_nc_u32_e32 v3, s12, v3
	s_delay_alu instid0(VALU_DEP_2) | instskip(NEXT) | instid1(VALU_DEP_3)
	v_add_co_u32 v0, vcc_lo, s4, v0
	v_add_co_ci_u32_e32 v1, vcc_lo, s5, v1, vcc_lo
	s_delay_alu instid0(VALU_DEP_3) | instskip(NEXT) | instid1(VALU_DEP_3)
	v_ashrrev_i32_e32 v4, 31, v3
	v_add_co_u32 v14, vcc_lo, v0, v26
	s_delay_alu instid0(VALU_DEP_3) | instskip(SKIP_2) | instid1(VALU_DEP_3)
	v_add_co_ci_u32_e32 v15, vcc_lo, 0, v1, vcc_lo
	v_dual_mov_b32 v0, s36 :: v_dual_mov_b32 v1, s37
	v_mov_b32_e32 v2, s38
	v_cndmask_b32_e64 v8, s13, v15, s2
	v_cndmask_b32_e64 v7, 0, v14, s2
	s_clause 0x1
	scratch_store_b32 off, v9, off
	scratch_store_b96 off, v[0:2], off offset:4
	flat_load_b128 v[18:21], v[7:8]
	v_lshlrev_b64 v[7:8], 2, v[3:4]
	s_clause 0x1
	scratch_store_b32 off, v9, off
	scratch_store_b96 off, v[0:2], off offset:4
	v_add_nc_u32_e32 v3, s12, v3
	v_add_co_u32 v4, vcc_lo, s4, v7
	v_add_co_ci_u32_e32 v7, vcc_lo, s5, v8, vcc_lo
	s_delay_alu instid0(VALU_DEP_2) | instskip(SKIP_1) | instid1(VALU_DEP_3)
	v_add_co_u32 v11, vcc_lo, v4, v26
	v_add_nc_u32_e32 v8, 16, v13
	v_add_co_ci_u32_e32 v12, vcc_lo, 0, v7, vcc_lo
	v_ashrrev_i32_e32 v4, 31, v3
	s_delay_alu instid0(VALU_DEP_3) | instskip(SKIP_1) | instid1(VALU_DEP_4)
	v_cmp_gt_i32_e32 vcc_lo, s18, v8
	v_cndmask_b32_e32 v7, 0, v11, vcc_lo
	v_cndmask_b32_e32 v8, s13, v12, vcc_lo
	s_waitcnt vmcnt(0) lgkmcnt(0)
	ds_store_b128 v10, v[18:21]
	flat_load_b128 v[20:23], v[7:8]
	v_lshlrev_b64 v[7:8], 2, v[3:4]
	s_clause 0x1
	scratch_store_b32 off, v9, off
	scratch_store_b96 off, v[0:2], off offset:4
	v_add_nc_u32_e32 v3, s12, v3
	v_add_co_u32 v4, s3, s4, v7
	s_delay_alu instid0(VALU_DEP_1) | instskip(SKIP_1) | instid1(VALU_DEP_3)
	v_add_co_ci_u32_e64 v7, s3, s5, v8, s3
	v_add_nc_u32_e32 v8, 32, v13
	v_add_co_u32 v18, s3, v4, v26
	s_delay_alu instid0(VALU_DEP_1) | instskip(NEXT) | instid1(VALU_DEP_3)
	v_add_co_ci_u32_e64 v19, s3, 0, v7, s3
	v_cmp_gt_i32_e64 s3, s18, v8
	v_ashrrev_i32_e32 v4, 31, v3
	s_delay_alu instid0(VALU_DEP_2) | instskip(SKIP_1) | instid1(VALU_DEP_3)
	v_cndmask_b32_e64 v8, s13, v19, s3
	v_cndmask_b32_e64 v7, 0, v18, s3
	v_lshlrev_b64 v[3:4], 2, v[3:4]
	s_delay_alu instid0(VALU_DEP_1) | instskip(NEXT) | instid1(VALU_DEP_1)
	v_add_co_u32 v3, s4, s4, v3
	v_add_co_ci_u32_e64 v4, s4, s5, v4, s4
	v_add_co_u32 v14, s5, 0x80, v14
	s_delay_alu instid0(VALU_DEP_1) | instskip(NEXT) | instid1(VALU_DEP_2)
	v_add_co_ci_u32_e64 v15, s5, 0, v15, s5
	v_cndmask_b32_e64 v14, 0, v14, s2
	s_delay_alu instid0(VALU_DEP_2) | instskip(SKIP_1) | instid1(VALU_DEP_1)
	v_cndmask_b32_e64 v15, s13, v15, s2
	v_add_co_u32 v11, s2, 0x80, v11
	v_add_co_ci_u32_e64 v12, s2, 0, v12, s2
	s_delay_alu instid0(VALU_DEP_2) | instskip(NEXT) | instid1(VALU_DEP_2)
	v_cndmask_b32_e32 v11, 0, v11, vcc_lo
	v_cndmask_b32_e32 v12, s13, v12, vcc_lo
	s_waitcnt vmcnt(0) lgkmcnt(0)
	ds_store_b128 v10, v[20:23] offset:2304
	flat_load_b128 v[22:25], v[7:8]
	v_add_nc_u32_e32 v7, 48, v13
	v_add_co_u32 v20, s4, v3, v26
	s_delay_alu instid0(VALU_DEP_1) | instskip(NEXT) | instid1(VALU_DEP_3)
	v_add_co_ci_u32_e64 v21, s4, 0, v4, s4
	v_cmp_gt_i32_e64 s4, s18, v7
	s_clause 0x1
	scratch_store_b32 off, v9, off
	scratch_store_b96 off, v[0:2], off offset:4
	v_dual_mov_b32 v13, 0 :: v_dual_lshlrev_b32 v8, 9, v46
	v_mov_b32_e32 v7, 0
	v_cndmask_b32_e64 v4, s13, v21, s4
	v_cndmask_b32_e64 v3, 0, v20, s4
	s_waitcnt vmcnt(0) lgkmcnt(0)
	ds_store_b128 v10, v[22:25] offset:4608
	flat_load_b128 v[22:25], v[3:4]
	v_dual_mov_b32 v3, 0 :: v_dual_mov_b32 v4, 0
	s_waitcnt vmcnt(0) lgkmcnt(0)
	ds_store_b128 v10, v[22:25] offset:6912
	s_waitcnt lgkmcnt(0)
	s_waitcnt_vscnt null, 0x0
	s_barrier
	buffer_gl0_inv
	ds_load_b128 v[22:25], v52
	ds_load_b128 v[26:29], v8 offset:9216
	ds_load_b128 v[30:33], v8 offset:9472
	ds_load_b128 v[53:56], v52 offset:4608
	s_waitcnt lgkmcnt(2)
	;;#ASMSTART
	v_dot2_f32_f16 v3, v22, v26, v3
	;;#ASMEND
	;;#ASMSTART
	v_dot2_f32_f16 v3, v23, v27, v3
	;;#ASMEND
	;;#ASMSTART
	v_dot2_f32_f16 v3, v24, v28, v3
	;;#ASMEND
	;;#ASMSTART
	v_dot2_f32_f16 v3, v25, v29, v3
	;;#ASMEND
	s_waitcnt lgkmcnt(1)
	;;#ASMSTART
	v_dot2_f32_f16 v13, v22, v30, v13
	;;#ASMEND
	;;#ASMSTART
	v_dot2_f32_f16 v13, v23, v31, v13
	;;#ASMEND
	;;#ASMSTART
	v_dot2_f32_f16 v13, v24, v32, v13
	;;#ASMEND
	;;#ASMSTART
	v_dot2_f32_f16 v13, v25, v33, v13
	;;#ASMEND
	s_waitcnt lgkmcnt(0)
	;;#ASMSTART
	v_dot2_f32_f16 v7, v53, v26, v7
	;;#ASMEND
	;;#ASMSTART
	v_dot2_f32_f16 v7, v54, v27, v7
	;;#ASMEND
	;;#ASMSTART
	v_dot2_f32_f16 v7, v55, v28, v7
	;;#ASMEND
	;;#ASMSTART
	v_dot2_f32_f16 v7, v56, v29, v7
	;;#ASMEND
	;;#ASMSTART
	v_dot2_f32_f16 v4, v53, v30, v4
	;;#ASMEND
	;;#ASMSTART
	v_dot2_f32_f16 v4, v54, v31, v4
	;;#ASMEND
	;;#ASMSTART
	v_dot2_f32_f16 v4, v55, v32, v4
	;;#ASMEND
	;;#ASMSTART
	v_dot2_f32_f16 v4, v56, v33, v4
	;;#ASMEND
	ds_load_b128 v[22:25], v52 offset:16
	ds_load_b128 v[26:29], v8 offset:9232
	ds_load_b128 v[30:33], v8 offset:9488
	ds_load_b128 v[53:56], v52 offset:4624
	s_waitcnt lgkmcnt(2)
	;;#ASMSTART
	v_dot2_f32_f16 v3, v22, v26, v3
	;;#ASMEND
	;;#ASMSTART
	v_dot2_f32_f16 v3, v23, v27, v3
	;;#ASMEND
	;;#ASMSTART
	v_dot2_f32_f16 v3, v24, v28, v3
	;;#ASMEND
	;;#ASMSTART
	v_dot2_f32_f16 v3, v25, v29, v3
	;;#ASMEND
	s_waitcnt lgkmcnt(1)
	;;#ASMSTART
	v_dot2_f32_f16 v13, v22, v30, v13
	;;#ASMEND
	;;#ASMSTART
	v_dot2_f32_f16 v13, v23, v31, v13
	;;#ASMEND
	;;#ASMSTART
	v_dot2_f32_f16 v13, v24, v32, v13
	;;#ASMEND
	;;#ASMSTART
	v_dot2_f32_f16 v13, v25, v33, v13
	;;#ASMEND
	s_waitcnt lgkmcnt(0)
	;;#ASMSTART
	v_dot2_f32_f16 v7, v53, v26, v7
	;;#ASMEND
	;;#ASMSTART
	v_dot2_f32_f16 v7, v54, v27, v7
	;;#ASMEND
	;;#ASMSTART
	v_dot2_f32_f16 v7, v55, v28, v7
	;;#ASMEND
	;;#ASMSTART
	v_dot2_f32_f16 v7, v56, v29, v7
	;;#ASMEND
	;;#ASMSTART
	v_dot2_f32_f16 v4, v53, v30, v4
	;;#ASMEND
	;;#ASMSTART
	v_dot2_f32_f16 v4, v54, v31, v4
	;;#ASMEND
	;;#ASMSTART
	v_dot2_f32_f16 v4, v55, v32, v4
	;;#ASMEND
	;;#ASMSTART
	v_dot2_f32_f16 v4, v56, v33, v4
	;;#ASMEND
	ds_load_b128 v[22:25], v52 offset:32
	;; [unrolled: 55-line block ×7, first 2 shown]
	ds_load_b128 v[26:29], v8 offset:9328
	ds_load_b128 v[30:33], v8 offset:9584
	;; [unrolled: 1-line block ×3, first 2 shown]
	s_waitcnt lgkmcnt(2)
	;;#ASMSTART
	v_dot2_f32_f16 v3, v22, v26, v3
	;;#ASMEND
	;;#ASMSTART
	v_dot2_f32_f16 v3, v23, v27, v3
	;;#ASMEND
	;;#ASMSTART
	v_dot2_f32_f16 v3, v24, v28, v3
	;;#ASMEND
	;;#ASMSTART
	v_dot2_f32_f16 v3, v25, v29, v3
	;;#ASMEND
	s_waitcnt lgkmcnt(1)
	;;#ASMSTART
	v_dot2_f32_f16 v13, v22, v30, v13
	;;#ASMEND
	;;#ASMSTART
	v_dot2_f32_f16 v13, v23, v31, v13
	;;#ASMEND
	;;#ASMSTART
	v_dot2_f32_f16 v13, v24, v32, v13
	;;#ASMEND
	;;#ASMSTART
	v_dot2_f32_f16 v13, v25, v33, v13
	;;#ASMEND
	;; [unrolled: 13-line block ×3, first 2 shown]
	;;#ASMSTART
	v_dot2_f32_f16 v4, v53, v30, v4
	;;#ASMEND
	;;#ASMSTART
	v_dot2_f32_f16 v4, v54, v31, v4
	;;#ASMEND
	;;#ASMSTART
	v_dot2_f32_f16 v4, v55, v32, v4
	;;#ASMEND
	;;#ASMSTART
	v_dot2_f32_f16 v4, v56, v33, v4
	;;#ASMEND
	s_barrier
	buffer_gl0_inv
	s_clause 0x1
	scratch_store_b32 off, v9, off
	scratch_store_b96 off, v[0:2], off offset:4
	flat_load_b128 v[22:25], v[14:15]
	s_clause 0x1
	scratch_store_b32 off, v9, off
	scratch_store_b96 off, v[0:2], off offset:4
	s_waitcnt vmcnt(0) lgkmcnt(0)
	ds_store_b128 v10, v[22:25]
	flat_load_b128 v[22:25], v[11:12]
	v_add_co_u32 v11, vcc_lo, 0x80, v18
	v_add_co_ci_u32_e32 v12, vcc_lo, 0, v19, vcc_lo
	s_clause 0x1
	scratch_store_b32 off, v9, off
	scratch_store_b96 off, v[0:2], off offset:4
	v_cndmask_b32_e64 v11, 0, v11, s3
	v_cndmask_b32_e64 v12, s13, v12, s3
	s_waitcnt vmcnt(0) lgkmcnt(0)
	ds_store_b128 v10, v[22:25] offset:2304
	flat_load_b128 v[22:25], v[11:12]
	v_add_co_u32 v11, vcc_lo, 0x80, v20
	v_add_co_ci_u32_e32 v12, vcc_lo, 0, v21, vcc_lo
	s_clause 0x1
	scratch_store_b32 off, v9, off
	scratch_store_b96 off, v[0:2], off offset:4
	v_cndmask_b32_e64 v11, 0, v11, s4
                                        ; implicit-def: $vgpr0
	v_cndmask_b32_e64 v12, s13, v12, s4
	s_waitcnt vmcnt(0) lgkmcnt(0)
	ds_store_b128 v10, v[22:25] offset:4608
	flat_load_b128 v[18:21], v[11:12]
	s_waitcnt vmcnt(0) lgkmcnt(0)
	ds_store_b128 v10, v[18:21] offset:6912
	s_waitcnt lgkmcnt(0)
	s_waitcnt_vscnt null, 0x0
	s_barrier
	buffer_gl0_inv
	ds_load_b128 v[9:12], v52
	ds_load_b128 v[18:21], v8 offset:9344
	ds_load_b128 v[22:25], v8 offset:9600
	ds_load_b128 v[26:29], v52 offset:4608
	s_waitcnt lgkmcnt(2)
	;;#ASMSTART
	v_dot2_f32_f16 v3, v9, v18, v3
	;;#ASMEND
	;;#ASMSTART
	v_dot2_f32_f16 v3, v10, v19, v3
	;;#ASMEND
	;;#ASMSTART
	v_dot2_f32_f16 v3, v11, v20, v3
	;;#ASMEND
	;;#ASMSTART
	v_dot2_f32_f16 v3, v12, v21, v3
	;;#ASMEND
	s_waitcnt lgkmcnt(1)
	;;#ASMSTART
	v_dot2_f32_f16 v13, v9, v22, v13
	;;#ASMEND
	;;#ASMSTART
	v_dot2_f32_f16 v13, v10, v23, v13
	;;#ASMEND
	;;#ASMSTART
	v_dot2_f32_f16 v13, v11, v24, v13
	;;#ASMEND
	;;#ASMSTART
	v_dot2_f32_f16 v13, v12, v25, v13
	;;#ASMEND
	s_waitcnt lgkmcnt(0)
	;;#ASMSTART
	v_dot2_f32_f16 v7, v26, v18, v7
	;;#ASMEND
	;;#ASMSTART
	v_dot2_f32_f16 v7, v27, v19, v7
	;;#ASMEND
	;;#ASMSTART
	v_dot2_f32_f16 v7, v28, v20, v7
	;;#ASMEND
	;;#ASMSTART
	v_dot2_f32_f16 v7, v29, v21, v7
	;;#ASMEND
	;;#ASMSTART
	v_dot2_f32_f16 v4, v26, v22, v4
	;;#ASMEND
	;;#ASMSTART
	v_dot2_f32_f16 v4, v27, v23, v4
	;;#ASMEND
	;;#ASMSTART
	v_dot2_f32_f16 v4, v28, v24, v4
	;;#ASMEND
	;;#ASMSTART
	v_dot2_f32_f16 v4, v29, v25, v4
	;;#ASMEND
	ds_load_b128 v[9:12], v52 offset:16
	ds_load_b128 v[18:21], v8 offset:9360
	ds_load_b128 v[22:25], v8 offset:9616
	ds_load_b128 v[26:29], v52 offset:4624
	s_waitcnt lgkmcnt(2)
	;;#ASMSTART
	v_dot2_f32_f16 v3, v9, v18, v3
	;;#ASMEND
	;;#ASMSTART
	v_dot2_f32_f16 v3, v10, v19, v3
	;;#ASMEND
	;;#ASMSTART
	v_dot2_f32_f16 v3, v11, v20, v3
	;;#ASMEND
	;;#ASMSTART
	v_dot2_f32_f16 v3, v12, v21, v3
	;;#ASMEND
	s_waitcnt lgkmcnt(1)
	;;#ASMSTART
	v_dot2_f32_f16 v13, v9, v22, v13
	;;#ASMEND
	;;#ASMSTART
	v_dot2_f32_f16 v13, v10, v23, v13
	;;#ASMEND
	;;#ASMSTART
	v_dot2_f32_f16 v13, v11, v24, v13
	;;#ASMEND
	;;#ASMSTART
	v_dot2_f32_f16 v13, v12, v25, v13
	;;#ASMEND
	s_waitcnt lgkmcnt(0)
	;;#ASMSTART
	v_dot2_f32_f16 v7, v26, v18, v7
	;;#ASMEND
	;;#ASMSTART
	v_dot2_f32_f16 v7, v27, v19, v7
	;;#ASMEND
	;;#ASMSTART
	v_dot2_f32_f16 v7, v28, v20, v7
	;;#ASMEND
	;;#ASMSTART
	v_dot2_f32_f16 v7, v29, v21, v7
	;;#ASMEND
	;;#ASMSTART
	v_dot2_f32_f16 v4, v26, v22, v4
	;;#ASMEND
	;;#ASMSTART
	v_dot2_f32_f16 v4, v27, v23, v4
	;;#ASMEND
	;;#ASMSTART
	v_dot2_f32_f16 v4, v28, v24, v4
	;;#ASMEND
	;;#ASMSTART
	v_dot2_f32_f16 v4, v29, v25, v4
	;;#ASMEND
	ds_load_b128 v[9:12], v52 offset:32
	;; [unrolled: 55-line block ×7, first 2 shown]
	ds_load_b128 v[18:21], v8 offset:9456
	ds_load_b128 v[22:25], v8 offset:9712
	;; [unrolled: 1-line block ×3, first 2 shown]
	s_waitcnt lgkmcnt(2)
	;;#ASMSTART
	v_dot2_f32_f16 v3, v9, v18, v3
	;;#ASMEND
	;;#ASMSTART
	v_dot2_f32_f16 v3, v10, v19, v3
	;;#ASMEND
	;; [unrolled: 3-line block ×4, first 2 shown]
	s_waitcnt lgkmcnt(1)
	;;#ASMSTART
	v_dot2_f32_f16 v13, v9, v22, v13
	;;#ASMEND
	;;#ASMSTART
	v_dot2_f32_f16 v13, v10, v23, v13
	;;#ASMEND
	;; [unrolled: 3-line block ×4, first 2 shown]
	s_waitcnt lgkmcnt(0)
	;;#ASMSTART
	v_dot2_f32_f16 v7, v26, v18, v7
	;;#ASMEND
	v_cmp_ngt_f32_e64 s2, 0x3f200000, |v3|
	;;#ASMSTART
	v_dot2_f32_f16 v7, v27, v19, v7
	;;#ASMEND
	;;#ASMSTART
	v_dot2_f32_f16 v7, v28, v20, v7
	;;#ASMEND
	;; [unrolled: 3-line block ×7, first 2 shown]
	s_and_saveexec_b32 s3, s2
	s_delay_alu instid0(SALU_CYCLE_1)
	s_xor_b32 s2, exec_lo, s3
	s_cbranch_execz .LBB89_42
; %bb.41:
	v_add_f32_e64 v0, |v3|, |v3|
	s_delay_alu instid0(VALU_DEP_1) | instskip(SKIP_1) | instid1(VALU_DEP_2)
	v_mul_f32_e32 v1, 0x3fb8aa3b, v0
	v_cmp_ngt_f32_e32 vcc_lo, 0xc2ce8ed0, v0
	v_rndne_f32_e32 v2, v1
	v_fma_f32 v8, 0x3fb8aa3b, v0, -v1
	s_delay_alu instid0(VALU_DEP_1) | instskip(SKIP_1) | instid1(VALU_DEP_2)
	v_dual_sub_f32 v1, v1, v2 :: v_dual_fmamk_f32 v8, v0, 0x32a5705f, v8
	v_cvt_i32_f32_e32 v2, v2
	v_add_f32_e32 v1, v1, v8
	s_delay_alu instid0(VALU_DEP_1) | instskip(SKIP_2) | instid1(VALU_DEP_1)
	v_exp_f32_e32 v1, v1
	s_waitcnt_depctr 0xfff
	v_ldexp_f32 v1, v1, v2
	v_cndmask_b32_e32 v1, 0, v1, vcc_lo
	v_cmp_nlt_f32_e32 vcc_lo, 0x42b17218, v0
	s_delay_alu instid0(VALU_DEP_2) | instskip(NEXT) | instid1(VALU_DEP_1)
	v_cndmask_b32_e32 v0, 0x7f800000, v1, vcc_lo
	v_add_f32_e32 v0, 1.0, v0
	s_delay_alu instid0(VALU_DEP_1)
	v_rcp_f32_e32 v0, v0
	s_waitcnt_depctr 0xfff
	v_fma_f32 v0, v0, -2.0, 1.0
.LBB89_42:
	s_and_not1_saveexec_b32 s2, s2
; %bb.43:
	v_mul_f32_e32 v0, v3, v3
	s_mov_b32 s3, 0xbbbac73d
	s_delay_alu instid0(VALU_DEP_1) | instid1(SALU_CYCLE_1)
	v_fmaak_f32 v1, s3, v0, 0x3ca908c9
	s_delay_alu instid0(VALU_DEP_1) | instskip(NEXT) | instid1(VALU_DEP_1)
	v_fmaak_f32 v1, v0, v1, 0xbd5c1c4e
	v_fmaak_f32 v1, v0, v1, 0x3e088382
	s_delay_alu instid0(VALU_DEP_1) | instskip(NEXT) | instid1(VALU_DEP_1)
	v_fmaak_f32 v1, v0, v1, 0xbeaaaa99
	v_mul_f32_e64 v1, |v3|, v1
	s_delay_alu instid0(VALU_DEP_1)
	v_fma_f32 v0, v0, v1, |v3|
; %bb.44:
	s_or_b32 exec_lo, exec_lo, s2
	s_delay_alu instid0(VALU_DEP_1) | instskip(SKIP_3) | instid1(VALU_DEP_2)
	v_bfi_b32 v0, 0x7fffffff, v0, v3
	s_cmp_lg_u64 s[40:41], 0
	v_mad_u64_u32 v[2:3], null, v51, s22, s[6:7]
	s_cselect_b32 s4, -1, 0
	v_mul_f32_e32 v14, s23, v0
	v_dual_mov_b32 v0, v16 :: v_dual_mov_b32 v1, v17
	v_cmp_gt_i32_e64 s2, s18, v38
	v_cndmask_b32_e64 v15, 0, 1, s4
	s_delay_alu instid0(VALU_DEP_2)
	s_and_saveexec_b32 s3, s2
	s_cbranch_execz .LBB89_49
; %bb.45:
	s_and_not1_b32 vcc_lo, exec_lo, s4
	s_cbranch_vccnz .LBB89_47
; %bb.46:
	v_add_nc_u32_e32 v0, v2, v38
	s_delay_alu instid0(VALU_DEP_1) | instskip(NEXT) | instid1(VALU_DEP_1)
	v_ashrrev_i32_e32 v1, 31, v0
	v_lshlrev_b64 v[0:1], 1, v[0:1]
	s_delay_alu instid0(VALU_DEP_1) | instskip(NEXT) | instid1(VALU_DEP_2)
	v_add_co_u32 v0, vcc_lo, s40, v0
	v_add_co_ci_u32_e32 v1, vcc_lo, s41, v1, vcc_lo
	flat_load_u16 v0, v[0:1]
	s_waitcnt vmcnt(0) lgkmcnt(0)
	v_cvt_f32_f16_e32 v0, v0
	s_delay_alu instid0(VALU_DEP_1)
	v_mul_f32_e32 v0, v47, v0
	s_branch .LBB89_48
.LBB89_47:
	v_mov_b32_e32 v0, 0
.LBB89_48:
	s_delay_alu instid0(VALU_DEP_1) | instskip(NEXT) | instid1(VALU_DEP_1)
	v_add_f32_e32 v14, v14, v0
	v_dual_max_f32 v0, v16, v16 :: v_dual_add_f32 v1, 0x40051340, v14
	s_delay_alu instid0(VALU_DEP_1)
	v_dual_max_f32 v0, v0, v1 :: v_dual_mov_b32 v1, v17
.LBB89_49:
	s_or_b32 exec_lo, exec_lo, s3
	v_cmp_ngt_f32_e64 s3, 0x3f200000, |v7|
                                        ; implicit-def: $vgpr3
	s_delay_alu instid0(VALU_DEP_1) | instskip(NEXT) | instid1(SALU_CYCLE_1)
	s_and_saveexec_b32 s4, s3
	s_xor_b32 s3, exec_lo, s4
	s_cbranch_execz .LBB89_51
; %bb.50:
	v_add_f32_e64 v3, |v7|, |v7|
	s_delay_alu instid0(VALU_DEP_1) | instskip(SKIP_1) | instid1(VALU_DEP_2)
	v_mul_f32_e32 v8, 0x3fb8aa3b, v3
	v_cmp_ngt_f32_e32 vcc_lo, 0xc2ce8ed0, v3
	v_rndne_f32_e32 v9, v8
	v_fma_f32 v10, 0x3fb8aa3b, v3, -v8
	s_delay_alu instid0(VALU_DEP_2) | instskip(NEXT) | instid1(VALU_DEP_2)
	v_sub_f32_e32 v8, v8, v9
	v_fmamk_f32 v10, v3, 0x32a5705f, v10
	v_cvt_i32_f32_e32 v9, v9
	s_delay_alu instid0(VALU_DEP_2) | instskip(NEXT) | instid1(VALU_DEP_1)
	v_add_f32_e32 v8, v8, v10
	v_exp_f32_e32 v8, v8
	s_waitcnt_depctr 0xfff
	v_ldexp_f32 v8, v8, v9
	s_delay_alu instid0(VALU_DEP_1) | instskip(SKIP_1) | instid1(VALU_DEP_2)
	v_cndmask_b32_e32 v8, 0, v8, vcc_lo
	v_cmp_nlt_f32_e32 vcc_lo, 0x42b17218, v3
	v_cndmask_b32_e32 v3, 0x7f800000, v8, vcc_lo
	s_delay_alu instid0(VALU_DEP_1) | instskip(NEXT) | instid1(VALU_DEP_1)
	v_add_f32_e32 v3, 1.0, v3
	v_rcp_f32_e32 v3, v3
	s_waitcnt_depctr 0xfff
	v_fma_f32 v3, v3, -2.0, 1.0
.LBB89_51:
	s_and_not1_saveexec_b32 s3, s3
; %bb.52:
	v_mul_f32_e32 v3, v7, v7
	s_mov_b32 s4, 0xbbbac73d
	s_delay_alu instid0(VALU_DEP_1) | instid1(SALU_CYCLE_1)
	v_fmaak_f32 v8, s4, v3, 0x3ca908c9
	s_delay_alu instid0(VALU_DEP_1) | instskip(NEXT) | instid1(VALU_DEP_1)
	v_fmaak_f32 v8, v3, v8, 0xbd5c1c4e
	v_fmaak_f32 v8, v3, v8, 0x3e088382
	s_delay_alu instid0(VALU_DEP_1) | instskip(NEXT) | instid1(VALU_DEP_1)
	v_fmaak_f32 v8, v3, v8, 0xbeaaaa99
	v_mul_f32_e64 v8, |v7|, v8
	s_delay_alu instid0(VALU_DEP_1)
	v_fma_f32 v3, v3, v8, |v7|
; %bb.53:
	s_or_b32 exec_lo, exec_lo, s3
	s_delay_alu instid0(VALU_DEP_1) | instskip(SKIP_1) | instid1(VALU_DEP_2)
	v_bfi_b32 v3, 0x7fffffff, v3, v7
	v_add_nc_u32_e32 v20, 32, v38
	v_mul_f32_e32 v18, s23, v3
	s_delay_alu instid0(VALU_DEP_2) | instskip(NEXT) | instid1(VALU_DEP_1)
	v_cmp_gt_i32_e64 s3, s18, v20
	s_and_saveexec_b32 s4, s3
	s_cbranch_execz .LBB89_58
; %bb.54:
	v_cmp_ne_u32_e32 vcc_lo, 1, v15
	s_cbranch_vccnz .LBB89_56
; %bb.55:
	v_ashrrev_i32_e32 v3, 31, v2
	v_add_co_u32 v2, vcc_lo, v2, v38
	s_delay_alu instid0(VALU_DEP_2) | instskip(NEXT) | instid1(VALU_DEP_1)
	v_add_co_ci_u32_e32 v3, vcc_lo, 0, v3, vcc_lo
	v_lshlrev_b64 v[2:3], 1, v[2:3]
	s_delay_alu instid0(VALU_DEP_1) | instskip(NEXT) | instid1(VALU_DEP_2)
	v_add_co_u32 v2, vcc_lo, s40, v2
	v_add_co_ci_u32_e32 v3, vcc_lo, s41, v3, vcc_lo
	flat_load_u16 v2, v[2:3] offset:64
	s_waitcnt vmcnt(0) lgkmcnt(0)
	v_cvt_f32_f16_e32 v2, v2
	s_delay_alu instid0(VALU_DEP_1)
	v_mul_f32_e32 v2, v47, v2
	s_branch .LBB89_57
.LBB89_56:
	v_mov_b32_e32 v2, 0
.LBB89_57:
	s_delay_alu instid0(VALU_DEP_1) | instskip(SKIP_1) | instid1(VALU_DEP_2)
	v_add_f32_e32 v18, v18, v2
	v_max_f32_e32 v0, v0, v0
	v_add_f32_e32 v2, 0x40051340, v18
	s_delay_alu instid0(VALU_DEP_1)
	v_max_f32_e32 v0, v0, v2
.LBB89_58:
	s_or_b32 exec_lo, exec_lo, s4
	v_xor_b32_e32 v8, 16, v40
	v_xor_b32_e32 v7, 8, v40
	;; [unrolled: 1-line block ×4, first 2 shown]
	v_cmp_ngt_f32_e64 s4, 0x3f200000, |v13|
	v_cmp_gt_i32_e32 vcc_lo, 32, v8
                                        ; implicit-def: $vgpr19
	v_cndmask_b32_e32 v2, v40, v8, vcc_lo
	v_cmp_gt_i32_e32 vcc_lo, 32, v7
	s_delay_alu instid0(VALU_DEP_2) | instskip(SKIP_3) | instid1(VALU_DEP_1)
	v_lshlrev_b32_e32 v21, 2, v2
	ds_bpermute_b32 v2, v21, v0
	s_waitcnt lgkmcnt(0)
	v_dual_cndmask_b32 v3, v40, v7 :: v_dual_max_f32 v2, v2, v2
	v_dual_max_f32 v9, v0, v0 :: v_dual_lshlrev_b32 v0, 2, v3
	s_delay_alu instid0(VALU_DEP_1)
	v_max_f32_e32 v2, v9, v2
	v_xor_b32_e32 v9, 4, v40
	ds_bpermute_b32 v3, v0, v2
	v_cmp_gt_i32_e32 vcc_lo, 32, v9
	v_cndmask_b32_e32 v10, v40, v9, vcc_lo
	v_cmp_gt_i32_e32 vcc_lo, 32, v11
	s_delay_alu instid0(VALU_DEP_2) | instskip(SKIP_2) | instid1(VALU_DEP_2)
	v_lshlrev_b32_e32 v22, 2, v10
	v_cndmask_b32_e32 v10, v40, v11, vcc_lo
	v_cmp_gt_i32_e32 vcc_lo, 32, v12
	v_dual_cndmask_b32 v10, v40, v12 :: v_dual_lshlrev_b32 v25, 2, v10
	s_waitcnt lgkmcnt(0)
	v_max_f32_e32 v3, v3, v3
	s_delay_alu instid0(VALU_DEP_2) | instskip(NEXT) | instid1(VALU_DEP_2)
	v_dual_mov_b32 v10, 32 :: v_dual_lshlrev_b32 v23, 2, v10
	v_max_f32_e32 v2, v2, v3
	ds_bpermute_b32 v3, v22, v2
	s_waitcnt lgkmcnt(0)
	v_max_f32_e32 v3, v3, v3
	s_delay_alu instid0(VALU_DEP_1) | instskip(SKIP_3) | instid1(VALU_DEP_1)
	v_max_f32_e32 v2, v2, v3
	ds_bpermute_b32 v3, v25, v2
	s_waitcnt lgkmcnt(0)
	v_max_f32_e32 v3, v3, v3
	v_max_f32_e32 v2, v2, v3
	ds_bpermute_b32 v3, v23, v2
	s_and_saveexec_b32 s5, s4
	s_delay_alu instid0(SALU_CYCLE_1)
	s_xor_b32 s4, exec_lo, s5
	s_cbranch_execz .LBB89_60
; %bb.59:
	v_add_f32_e64 v19, |v13|, |v13|
	s_delay_alu instid0(VALU_DEP_1) | instskip(SKIP_1) | instid1(VALU_DEP_2)
	v_mul_f32_e32 v24, 0x3fb8aa3b, v19
	v_cmp_ngt_f32_e32 vcc_lo, 0xc2ce8ed0, v19
	v_rndne_f32_e32 v26, v24
	v_fma_f32 v27, 0x3fb8aa3b, v19, -v24
	s_delay_alu instid0(VALU_DEP_1) | instskip(SKIP_1) | instid1(VALU_DEP_2)
	v_dual_sub_f32 v24, v24, v26 :: v_dual_fmamk_f32 v27, v19, 0x32a5705f, v27
	v_cvt_i32_f32_e32 v26, v26
	v_add_f32_e32 v24, v24, v27
	s_delay_alu instid0(VALU_DEP_1) | instskip(SKIP_2) | instid1(VALU_DEP_1)
	v_exp_f32_e32 v24, v24
	s_waitcnt_depctr 0xfff
	v_ldexp_f32 v24, v24, v26
	v_cndmask_b32_e32 v24, 0, v24, vcc_lo
	v_cmp_nlt_f32_e32 vcc_lo, 0x42b17218, v19
	s_delay_alu instid0(VALU_DEP_2) | instskip(NEXT) | instid1(VALU_DEP_1)
	v_cndmask_b32_e32 v19, 0x7f800000, v24, vcc_lo
	v_add_f32_e32 v19, 1.0, v19
	s_delay_alu instid0(VALU_DEP_1)
	v_rcp_f32_e32 v19, v19
	s_waitcnt_depctr 0xfff
	v_fma_f32 v19, v19, -2.0, 1.0
.LBB89_60:
	s_and_not1_saveexec_b32 s4, s4
; %bb.61:
	v_mul_f32_e32 v19, v13, v13
	s_mov_b32 s5, 0xbbbac73d
	s_delay_alu instid0(VALU_DEP_1) | instid1(SALU_CYCLE_1)
	v_fmaak_f32 v24, s5, v19, 0x3ca908c9
	s_delay_alu instid0(VALU_DEP_1) | instskip(NEXT) | instid1(VALU_DEP_1)
	v_fmaak_f32 v24, v19, v24, 0xbd5c1c4e
	v_fmaak_f32 v24, v19, v24, 0x3e088382
	s_delay_alu instid0(VALU_DEP_1) | instskip(NEXT) | instid1(VALU_DEP_1)
	v_fmaak_f32 v24, v19, v24, 0xbeaaaa99
	v_mul_f32_e64 v24, |v13|, v24
	s_delay_alu instid0(VALU_DEP_1)
	v_fma_f32 v19, v19, v24, |v13|
; %bb.62:
	s_or_b32 exec_lo, exec_lo, s4
	v_mul_hi_u32 v24, s8, v50
	s_waitcnt lgkmcnt(0)
	v_dual_max_f32 v26, v3, v3 :: v_dual_max_f32 v27, v2, v2
	v_bfi_b32 v13, 0x7fffffff, v19, v13
	s_delay_alu instid0(VALU_DEP_1) | instskip(NEXT) | instid1(VALU_DEP_1)
	v_dual_mul_f32 v19, s23, v13 :: v_dual_add_nc_u32 v24, v50, v24
	v_lshrrev_b32_e32 v24, s9, v24
	s_delay_alu instid0(VALU_DEP_1) | instskip(NEXT) | instid1(VALU_DEP_1)
	v_mul_lo_u32 v24, v24, s10
	v_sub_nc_u32_e32 v24, v50, v24
	s_delay_alu instid0(VALU_DEP_1)
	v_mad_u64_u32 v[2:3], null, v24, s22, s[6:7]
	v_max_f32_e32 v3, v27, v26
	s_and_saveexec_b32 s4, s2
	s_cbranch_execz .LBB89_67
; %bb.63:
	v_cmp_ne_u32_e32 vcc_lo, 1, v15
	s_cbranch_vccnz .LBB89_65
; %bb.64:
	s_delay_alu instid0(VALU_DEP_3) | instskip(NEXT) | instid1(VALU_DEP_1)
	v_add_nc_u32_e32 v26, v2, v38
	v_ashrrev_i32_e32 v27, 31, v26
	s_delay_alu instid0(VALU_DEP_1) | instskip(NEXT) | instid1(VALU_DEP_1)
	v_lshlrev_b64 v[26:27], 1, v[26:27]
	v_add_co_u32 v26, vcc_lo, s40, v26
	s_delay_alu instid0(VALU_DEP_2) | instskip(SKIP_3) | instid1(VALU_DEP_1)
	v_add_co_ci_u32_e32 v27, vcc_lo, s41, v27, vcc_lo
	flat_load_u16 v13, v[26:27]
	s_waitcnt vmcnt(0) lgkmcnt(0)
	v_cvt_f32_f16_e32 v13, v13
	v_mul_f32_e32 v13, v47, v13
	s_branch .LBB89_66
.LBB89_65:
	v_mov_b32_e32 v13, 0
.LBB89_66:
	s_delay_alu instid0(VALU_DEP_1) | instskip(SKIP_1) | instid1(VALU_DEP_2)
	v_add_f32_e32 v19, v19, v13
	v_max_f32_e32 v1, v1, v1
	v_add_f32_e32 v13, 0x40051340, v19
	s_delay_alu instid0(VALU_DEP_1)
	v_max_f32_e32 v1, v1, v13
.LBB89_67:
	s_or_b32 exec_lo, exec_lo, s4
	v_cmp_ngt_f32_e64 s2, 0x3f200000, |v4|
                                        ; implicit-def: $vgpr13
	s_delay_alu instid0(VALU_DEP_1) | instskip(NEXT) | instid1(SALU_CYCLE_1)
	s_and_saveexec_b32 s4, s2
	s_xor_b32 s2, exec_lo, s4
	s_cbranch_execz .LBB89_69
; %bb.68:
	v_add_f32_e64 v13, |v4|, |v4|
	s_delay_alu instid0(VALU_DEP_1) | instskip(SKIP_1) | instid1(VALU_DEP_2)
	v_mul_f32_e32 v24, 0x3fb8aa3b, v13
	v_cmp_ngt_f32_e32 vcc_lo, 0xc2ce8ed0, v13
	v_rndne_f32_e32 v26, v24
	v_fma_f32 v27, 0x3fb8aa3b, v13, -v24
	s_delay_alu instid0(VALU_DEP_1) | instskip(SKIP_1) | instid1(VALU_DEP_2)
	v_dual_sub_f32 v24, v24, v26 :: v_dual_fmamk_f32 v27, v13, 0x32a5705f, v27
	v_cvt_i32_f32_e32 v26, v26
	v_add_f32_e32 v24, v24, v27
	s_delay_alu instid0(VALU_DEP_1) | instskip(SKIP_2) | instid1(VALU_DEP_1)
	v_exp_f32_e32 v24, v24
	s_waitcnt_depctr 0xfff
	v_ldexp_f32 v24, v24, v26
	v_cndmask_b32_e32 v24, 0, v24, vcc_lo
	v_cmp_nlt_f32_e32 vcc_lo, 0x42b17218, v13
	s_delay_alu instid0(VALU_DEP_2) | instskip(NEXT) | instid1(VALU_DEP_1)
	v_cndmask_b32_e32 v13, 0x7f800000, v24, vcc_lo
	v_add_f32_e32 v13, 1.0, v13
	s_delay_alu instid0(VALU_DEP_1)
	v_rcp_f32_e32 v13, v13
	s_waitcnt_depctr 0xfff
	v_fma_f32 v13, v13, -2.0, 1.0
.LBB89_69:
	s_and_not1_saveexec_b32 s2, s2
; %bb.70:
	v_mul_f32_e32 v13, v4, v4
	s_mov_b32 s4, 0xbbbac73d
	s_delay_alu instid0(VALU_DEP_1) | instid1(SALU_CYCLE_1)
	v_fmaak_f32 v24, s4, v13, 0x3ca908c9
	s_delay_alu instid0(VALU_DEP_1) | instskip(NEXT) | instid1(VALU_DEP_1)
	v_fmaak_f32 v24, v13, v24, 0xbd5c1c4e
	v_fmaak_f32 v24, v13, v24, 0x3e088382
	s_delay_alu instid0(VALU_DEP_1) | instskip(NEXT) | instid1(VALU_DEP_1)
	v_fmaak_f32 v24, v13, v24, 0xbeaaaa99
	v_mul_f32_e64 v24, |v4|, v24
	s_delay_alu instid0(VALU_DEP_1)
	v_fma_f32 v13, v13, v24, |v4|
; %bb.71:
	s_or_b32 exec_lo, exec_lo, s2
	s_delay_alu instid0(VALU_DEP_1) | instskip(NEXT) | instid1(VALU_DEP_1)
	v_bfi_b32 v4, 0x7fffffff, v13, v4
	v_mul_f32_e32 v24, s23, v4
	s_and_saveexec_b32 s2, s3
	s_cbranch_execz .LBB89_76
; %bb.72:
	v_cmp_ne_u32_e32 vcc_lo, 1, v15
	s_cbranch_vccnz .LBB89_74
; %bb.73:
	v_ashrrev_i32_e32 v4, 31, v2
	v_add_co_u32 v26, vcc_lo, v2, v38
	s_delay_alu instid0(VALU_DEP_2) | instskip(NEXT) | instid1(VALU_DEP_1)
	v_add_co_ci_u32_e32 v27, vcc_lo, 0, v4, vcc_lo
	v_lshlrev_b64 v[26:27], 1, v[26:27]
	s_delay_alu instid0(VALU_DEP_1) | instskip(NEXT) | instid1(VALU_DEP_2)
	v_add_co_u32 v26, vcc_lo, s40, v26
	v_add_co_ci_u32_e32 v27, vcc_lo, s41, v27, vcc_lo
	flat_load_u16 v2, v[26:27] offset:64
	s_waitcnt vmcnt(0) lgkmcnt(0)
	v_cvt_f32_f16_e32 v2, v2
	s_delay_alu instid0(VALU_DEP_1)
	v_mul_f32_e32 v2, v47, v2
	s_branch .LBB89_75
.LBB89_74:
	v_mov_b32_e32 v2, 0
.LBB89_75:
	s_delay_alu instid0(VALU_DEP_1) | instskip(NEXT) | instid1(VALU_DEP_1)
	v_dual_add_f32 v24, v24, v2 :: v_dual_max_f32 v1, v1, v1
	v_add_f32_e32 v2, 0x40051340, v24
	s_delay_alu instid0(VALU_DEP_1)
	v_max_f32_e32 v1, v1, v2
.LBB89_76:
	s_or_b32 exec_lo, exec_lo, s2
	ds_bpermute_b32 v2, v21, v1
	v_max_f32_e32 v1, v1, v1
	s_mov_b32 s20, 0
	s_mul_hi_i32 s3, s6, s16
	s_mov_b32 s21, s20
	s_mov_b32 s22, s20
	v_lshlrev_b32_e32 v21, 2, v49
	s_mul_i32 s2, s6, s16
	s_mov_b64 s[4:5], src_private_base
	s_lshl_b64 s[2:3], s[2:3], 2
	s_lshl_b32 s4, s16, 3
	s_add_u32 s8, s7, s2
	s_addc_u32 s9, s17, s3
	s_waitcnt lgkmcnt(0)
	s_barrier
	buffer_gl0_inv
	v_dual_sub_f32 v14, v14, v3 :: v_dual_lshlrev_b32 v13, 8, v46
	v_sub_f32_e32 v18, v18, v3
	s_delay_alu instid0(VALU_DEP_2) | instskip(NEXT) | instid1(VALU_DEP_3)
	v_dual_max_f32 v2, v2, v2 :: v_dual_add_nc_u32 v27, 0x2c00, v13
	v_cmp_ngt_f32_e32 vcc_lo, 0xc2ce8ed0, v14
	s_delay_alu instid0(VALU_DEP_3) | instskip(NEXT) | instid1(VALU_DEP_3)
	v_cmp_nlt_f32_e64 s2, 0x42b17218, v18
	v_dual_max_f32 v1, v1, v2 :: v_dual_add_nc_u32 v32, v27, v37
	ds_bpermute_b32 v0, v0, v1
	s_waitcnt lgkmcnt(0)
	v_max_f32_e32 v0, v0, v0
	s_delay_alu instid0(VALU_DEP_1) | instskip(SKIP_3) | instid1(VALU_DEP_1)
	v_max_f32_e32 v0, v1, v0
	ds_bpermute_b32 v1, v22, v0
	s_waitcnt lgkmcnt(0)
	v_dual_mov_b32 v22, 0 :: v_dual_max_f32 v1, v1, v1
	v_max_f32_e32 v0, v0, v1
	ds_bpermute_b32 v1, v25, v0
	v_mul_f32_e32 v25, 0x3fb8aa3b, v14
	s_delay_alu instid0(VALU_DEP_1) | instskip(SKIP_1) | instid1(VALU_DEP_2)
	v_fma_f32 v29, 0x3fb8aa3b, v14, -v25
	v_rndne_f32_e32 v30, v25
	v_fmac_f32_e32 v29, 0x32a5705f, v14
	s_delay_alu instid0(VALU_DEP_2) | instskip(SKIP_2) | instid1(VALU_DEP_1)
	v_cvt_i32_f32_e32 v50, v30
	s_waitcnt lgkmcnt(0)
	v_max_f32_e32 v1, v1, v1
	v_max_f32_e32 v4, v0, v1
	v_mov_b32_e32 v0, s20
	v_dual_mov_b32 v2, s22 :: v_dual_mov_b32 v1, s21
	s_clause 0x1
	scratch_store_b32 off, v22, off
	scratch_store_b96 off, v[0:2], off offset:4
	ds_bpermute_b32 v15, v23, v4
	v_dual_mul_f32 v26, 0x3fb8aa3b, v18 :: v_dual_add_nc_u32 v23, v48, v36
	s_delay_alu instid0(VALU_DEP_1) | instskip(SKIP_3) | instid1(VALU_DEP_2)
	v_mul_lo_u32 v28, s16, v23
	v_lshl_or_b32 v145, v23, 8, v21
	v_add_nc_u32_e32 v146, 16, v23
	v_add_nc_u32_e32 v144, 8, v23
	v_lshl_or_b32 v148, v146, 8, v21
	s_delay_alu instid0(VALU_DEP_2) | instskip(SKIP_3) | instid1(VALU_DEP_2)
	v_lshl_or_b32 v147, v144, 8, v21
	s_waitcnt lgkmcnt(0)
	v_max_f32_e32 v15, v15, v15
	v_rndne_f32_e32 v31, v26
	v_max_f32_e32 v4, v4, v15
	v_fma_f32 v15, 0x3fb8aa3b, v18, -v26
	s_delay_alu instid0(VALU_DEP_3) | instskip(SKIP_1) | instid1(VALU_DEP_4)
	v_dual_sub_f32 v25, v25, v30 :: v_dual_sub_f32 v26, v26, v31
	v_cvt_i32_f32_e32 v31, v31
	v_sub_f32_e32 v24, v24, v4
	v_sub_f32_e32 v19, v19, v4
	v_fmac_f32_e32 v15, 0x32a5705f, v18
	v_add_f32_e32 v25, v25, v29
	s_delay_alu instid0(VALU_DEP_3) | instskip(NEXT) | instid1(VALU_DEP_3)
	v_mul_f32_e32 v29, 0x3fb8aa3b, v19
	v_add_f32_e32 v15, v26, v15
	v_cmp_nlt_f32_e64 s3, 0x42b17218, v19
	s_delay_alu instid0(VALU_DEP_3) | instskip(NEXT) | instid1(VALU_DEP_3)
	v_fma_f32 v26, 0x3fb8aa3b, v19, -v29
	v_exp_f32_e32 v15, v15
	v_rndne_f32_e32 v46, v29
	s_delay_alu instid0(VALU_DEP_2) | instskip(SKIP_1) | instid1(VALU_DEP_2)
	v_fmac_f32_e32 v26, 0x32a5705f, v19
	v_exp_f32_e32 v25, v25
	v_sub_f32_e32 v49, v29, v46
	v_ashrrev_i32_e32 v29, 31, v28
	s_waitcnt_depctr 0xfff
	v_ldexp_f32 v15, v15, v31
	v_add_f32_e32 v26, v49, v26
	v_lshlrev_b64 v[29:30], 2, v[28:29]
	v_ldexp_f32 v25, v25, v50
	s_delay_alu instid0(VALU_DEP_3) | instskip(NEXT) | instid1(VALU_DEP_1)
	v_exp_f32_e32 v26, v26
	v_cndmask_b32_e32 v25, 0, v25, vcc_lo
	v_cmp_ngt_f32_e32 vcc_lo, 0xc2ce8ed0, v18
	v_cndmask_b32_e32 v15, 0, v15, vcc_lo
	v_cmp_nlt_f32_e32 vcc_lo, 0x42b17218, v14
	s_delay_alu instid0(VALU_DEP_2) | instskip(SKIP_4) | instid1(VALU_DEP_2)
	v_cndmask_b32_e64 v15, 0x7f800000, v15, s2
	v_cndmask_b32_e32 v14, 0x7f800000, v25, vcc_lo
	v_cmp_gt_u32_e32 vcc_lo, s18, v38
	v_mul_f32_e32 v33, 0x3fb8aa3b, v24
	v_cmp_ngt_f32_e64 s2, 0xc2ce8ed0, v19
	v_fma_f32 v47, 0x3fb8aa3b, v24, -v33
	v_rndne_f32_e32 v48, v33
	s_delay_alu instid0(VALU_DEP_2) | instskip(NEXT) | instid1(VALU_DEP_2)
	v_fmac_f32_e32 v47, 0x32a5705f, v24
	v_sub_f32_e32 v33, v33, v48
	s_delay_alu instid0(VALU_DEP_1) | instskip(NEXT) | instid1(VALU_DEP_1)
	v_add_f32_e32 v33, v33, v47
	v_exp_f32_e32 v31, v33
	v_cvt_i32_f32_e32 v33, v46
	v_cvt_i32_f32_e32 v46, v48
	s_delay_alu instid0(VALU_DEP_2) | instskip(SKIP_4) | instid1(VALU_DEP_1)
	v_ldexp_f32 v25, v26, v33
	s_waitcnt_depctr 0xfff
	v_ldexp_f32 v26, v31, v46
	v_cndmask_b32_e64 v18, 0, v25, s2
	v_cmp_ngt_f32_e64 s2, 0xc2ce8ed0, v24
	v_cndmask_b32_e64 v25, 0, v26, s2
	s_delay_alu instid0(VALU_DEP_3)
	v_cndmask_b32_e64 v26, 0x7f800000, v18, s3
	v_cmp_nlt_f32_e64 s3, 0x42b17218, v24
	v_cmp_gt_u32_e64 s2, s18, v20
	v_cndmask_b32_e32 v18, 0, v14, vcc_lo
	v_lshl_add_u32 v20, v20, 2, v27
	v_cndmask_b32_e32 v14, 0, v26, vcc_lo
	v_cndmask_b32_e64 v24, 0x7f800000, v25, s3
	v_add_co_u32 v25, s3, s8, v29
	s_delay_alu instid0(VALU_DEP_1) | instskip(SKIP_1) | instid1(VALU_DEP_4)
	v_add_co_ci_u32_e64 v31, s3, s9, v30, s3
	v_cndmask_b32_e64 v19, 0, v15, s2
	v_cndmask_b32_e64 v15, 0, v24, s2
	s_delay_alu instid0(VALU_DEP_4) | instskip(NEXT) | instid1(VALU_DEP_4)
	v_add_co_u32 v24, vcc_lo, v25, v21
	v_add_co_ci_u32_e32 v25, vcc_lo, 0, v31, vcc_lo
	v_cvt_f16_f32_e32 v26, v18
	v_cvt_f16_f32_e32 v33, v14
	;; [unrolled: 1-line block ×4, first 2 shown]
	v_cmp_gt_i32_e32 vcc_lo, s18, v23
	s_or_b32 s2, s6, 32
	v_pack_b32_f16 v26, v26, v33
	s_mul_hi_i32 s3, s2, s16
	v_pack_b32_f16 v27, v31, v46
	v_cndmask_b32_e32 v25, s5, v25, vcc_lo
	v_cndmask_b32_e32 v24, 0, v24, vcc_lo
	ds_store_b32 v32, v26
	ds_store_b32 v20, v27
	v_add_nc_u32_e32 v31, s4, v28
	s_mul_i32 s2, s2, s16
	flat_load_b128 v[24:27], v[24:25]
	s_clause 0x1
	scratch_store_b32 off, v22, off
	scratch_store_b96 off, v[0:2], off offset:4
	s_lshl_b64 s[2:3], s[2:3], 2
	v_ashrrev_i32_e32 v32, 31, v31
	s_add_u32 s2, s7, s2
	s_addc_u32 s3, s17, s3
	s_delay_alu instid0(VALU_DEP_1) | instskip(SKIP_1) | instid1(VALU_DEP_2)
	v_lshlrev_b64 v[138:139], 2, v[31:32]
	v_add_nc_u32_e32 v31, s4, v31
	v_add_co_u32 v20, vcc_lo, s8, v138
	s_delay_alu instid0(VALU_DEP_3) | instskip(NEXT) | instid1(VALU_DEP_2)
	v_add_co_ci_u32_e32 v28, vcc_lo, s9, v139, vcc_lo
	v_add_co_u32 v20, vcc_lo, v20, v21
	s_delay_alu instid0(VALU_DEP_2) | instskip(SKIP_1) | instid1(VALU_DEP_2)
	v_add_co_ci_u32_e32 v28, vcc_lo, 0, v28, vcc_lo
	v_cmp_gt_i32_e32 vcc_lo, s18, v144
	v_cndmask_b32_e32 v33, s5, v28, vcc_lo
	s_delay_alu instid0(VALU_DEP_4)
	v_cndmask_b32_e32 v32, 0, v20, vcc_lo
	s_waitcnt vmcnt(0) lgkmcnt(0)
	ds_store_b128 v145, v[24:27]
	flat_load_b128 v[24:27], v[32:33]
	v_ashrrev_i32_e32 v32, 31, v31
	s_clause 0x1
	scratch_store_b32 off, v22, off
	scratch_store_b96 off, v[0:2], off offset:4
	v_lshlrev_b64 v[140:141], 2, v[31:32]
	v_add_nc_u32_e32 v31, s4, v31
	s_sub_i32 s4, s18, 32
	s_delay_alu instid0(VALU_DEP_2) | instskip(NEXT) | instid1(VALU_DEP_3)
	v_add_co_u32 v20, vcc_lo, s8, v140
	v_add_co_ci_u32_e32 v28, vcc_lo, s9, v141, vcc_lo
	s_delay_alu instid0(VALU_DEP_2) | instskip(NEXT) | instid1(VALU_DEP_2)
	v_add_co_u32 v20, vcc_lo, v20, v21
	v_add_co_ci_u32_e32 v28, vcc_lo, 0, v28, vcc_lo
	v_cmp_gt_i32_e32 vcc_lo, s18, v146
	s_delay_alu instid0(VALU_DEP_2) | instskip(NEXT) | instid1(VALU_DEP_4)
	v_cndmask_b32_e32 v33, s5, v28, vcc_lo
	v_cndmask_b32_e32 v32, 0, v20, vcc_lo
	s_waitcnt vmcnt(0) lgkmcnt(0)
	ds_store_b128 v147, v[24:27]
	flat_load_b128 v[24:27], v[32:33]
	v_ashrrev_i32_e32 v32, 31, v31
	s_clause 0x1
	scratch_store_b32 off, v22, off
	scratch_store_b96 off, v[0:2], off offset:4
	v_lshlrev_b64 v[142:143], 2, v[31:32]
	s_delay_alu instid0(VALU_DEP_1) | instskip(NEXT) | instid1(VALU_DEP_2)
	v_add_co_u32 v20, vcc_lo, s8, v142
	v_add_co_ci_u32_e32 v28, vcc_lo, s9, v143, vcc_lo
	s_delay_alu instid0(VALU_DEP_2) | instskip(NEXT) | instid1(VALU_DEP_2)
	v_add_co_u32 v20, vcc_lo, v20, v21
	v_add_co_ci_u32_e32 v28, vcc_lo, 0, v28, vcc_lo
	v_add_nc_u32_e32 v33, 24, v23
	s_delay_alu instid0(VALU_DEP_1) | instskip(NEXT) | instid1(VALU_DEP_3)
	v_cmp_gt_i32_e32 vcc_lo, s18, v33
	v_cndmask_b32_e32 v32, s5, v28, vcc_lo
	v_cndmask_b32_e32 v31, 0, v20, vcc_lo
	v_add_co_u32 v20, vcc_lo, s2, v29
	v_add_co_ci_u32_e32 v29, vcc_lo, s3, v30, vcc_lo
	v_lshl_or_b32 v149, v33, 8, v21
	s_delay_alu instid0(VALU_DEP_3) | instskip(NEXT) | instid1(VALU_DEP_3)
	v_add_co_u32 v30, vcc_lo, v20, v21
	v_add_co_ci_u32_e32 v29, vcc_lo, 0, v29, vcc_lo
	v_cmp_gt_i32_e32 vcc_lo, s4, v23
	v_add_nc_u32_e32 v23, 0x1000, v41
	v_add_nc_u32_e32 v20, 0x1800, v41
	s_delay_alu instid0(VALU_DEP_4) | instskip(SKIP_3) | instid1(VALU_DEP_2)
	v_cndmask_b32_e32 v135, s5, v29, vcc_lo
	v_cndmask_b32_e32 v134, 0, v30, vcc_lo
	v_add_co_u32 v138, vcc_lo, s2, v138
	v_add_co_ci_u32_e32 v139, vcc_lo, s3, v139, vcc_lo
	v_add_co_u32 v138, vcc_lo, v138, v21
	s_delay_alu instid0(VALU_DEP_2) | instskip(SKIP_1) | instid1(VALU_DEP_2)
	v_add_co_ci_u32_e32 v139, vcc_lo, 0, v139, vcc_lo
	v_cmp_gt_i32_e32 vcc_lo, s4, v144
	v_cndmask_b32_e32 v139, s5, v139, vcc_lo
	s_delay_alu instid0(VALU_DEP_4)
	v_cndmask_b32_e32 v138, 0, v138, vcc_lo
	s_waitcnt vmcnt(0) lgkmcnt(0)
	ds_store_b128 v148, v[24:27]
	v_add_nc_u32_e32 v24, 0x800, v41
	flat_load_b128 v[25:28], v[31:32]
	s_waitcnt vmcnt(0) lgkmcnt(0)
	ds_store_b128 v149, v[25:28]
	s_waitcnt lgkmcnt(0)
	s_waitcnt_vscnt null, 0x0
	s_barrier
	buffer_gl0_inv
	ds_load_2addr_b64 v[25:28], v41 offset1:32
	ds_load_b128 v[29:32], v13 offset:11264
	ds_load_b128 v[46:49], v13 offset:11280
	;; [unrolled: 1-line block ×4, first 2 shown]
	ds_load_2addr_b64 v[58:61], v41 offset0:64 offset1:96
	ds_load_2addr_b64 v[62:65], v41 offset0:128 offset1:160
	;; [unrolled: 1-line block ×3, first 2 shown]
	ds_load_2addr_b64 v[70:73], v24 offset1:32
	ds_load_2addr_b64 v[74:77], v24 offset0:64 offset1:96
	ds_load_2addr_b64 v[78:81], v24 offset0:128 offset1:160
	;; [unrolled: 1-line block ×3, first 2 shown]
	ds_load_2addr_b64 v[86:89], v23 offset1:32
	ds_load_2addr_b64 v[90:93], v23 offset0:64 offset1:96
	ds_load_2addr_b64 v[94:97], v23 offset0:128 offset1:160
	ds_load_b128 v[98:101], v13 offset:11328
	ds_load_b128 v[102:105], v13 offset:11344
	ds_load_2addr_b64 v[106:109], v23 offset0:192 offset1:224
	ds_load_2addr_b64 v[110:113], v20 offset1:32
	ds_load_2addr_b64 v[114:117], v20 offset0:64 offset1:96
	ds_load_2addr_b64 v[118:121], v20 offset0:128 offset1:160
	ds_load_b128 v[122:125], v13 offset:11360
	ds_load_b128 v[126:129], v13 offset:11376
	ds_load_2addr_b64 v[130:133], v20 offset0:192 offset1:224
	s_waitcnt lgkmcnt(0)
	s_barrier
	buffer_gl0_inv
	s_clause 0x1
	scratch_store_b32 off, v22, off
	scratch_store_b96 off, v[0:2], off offset:4
	flat_load_b128 v[134:137], v[134:135]
	s_clause 0x1
	scratch_store_b32 off, v22, off
	scratch_store_b96 off, v[0:2], off offset:4
	s_waitcnt vmcnt(0) lgkmcnt(0)
	ds_store_b128 v145, v[134:137]
	flat_load_b128 v[134:137], v[138:139]
	v_add_co_u32 v138, vcc_lo, s2, v140
	v_add_co_ci_u32_e32 v139, vcc_lo, s3, v141, vcc_lo
	s_clause 0x1
	scratch_store_b32 off, v22, off
	scratch_store_b96 off, v[0:2], off offset:4
	v_add_co_u32 v138, vcc_lo, v138, v21
	v_add_co_ci_u32_e32 v139, vcc_lo, 0, v139, vcc_lo
	v_cmp_gt_i32_e32 vcc_lo, s4, v146
	s_delay_alu instid0(VALU_DEP_2) | instskip(NEXT) | instid1(VALU_DEP_4)
	v_cndmask_b32_e32 v139, s5, v139, vcc_lo
	v_cndmask_b32_e32 v138, 0, v138, vcc_lo
	s_waitcnt vmcnt(0) lgkmcnt(0)
	ds_store_b128 v147, v[134:137]
	flat_load_b128 v[134:137], v[138:139]
	v_add_co_u32 v138, vcc_lo, s2, v142
	v_add_co_ci_u32_e32 v139, vcc_lo, s3, v143, vcc_lo
	s_clause 0x1
	scratch_store_b32 off, v22, off
	scratch_store_b96 off, v[0:2], off offset:4
	v_sub_f32_e32 v0, v17, v4
	v_add_co_u32 v21, vcc_lo, v138, v21
	v_add_co_ci_u32_e32 v138, vcc_lo, 0, v139, vcc_lo
	v_cmp_gt_i32_e32 vcc_lo, s4, v33
	s_delay_alu instid0(VALU_DEP_4) | instskip(NEXT) | instid1(VALU_DEP_3)
	v_dual_mul_f32 v2, 0x3fb8aa3b, v0 :: v_dual_sub_f32 v1, v16, v3
	v_cndmask_b32_e32 v139, s5, v138, vcc_lo
	s_delay_alu instid0(VALU_DEP_2) | instskip(SKIP_1) | instid1(VALU_DEP_4)
	v_fma_f32 v17, 0x3fb8aa3b, v0, -v2
	v_cndmask_b32_e32 v138, 0, v21, vcc_lo
	v_mul_f32_e32 v16, 0x3fb8aa3b, v1
	v_rndne_f32_e32 v21, v2
	v_cmp_ngt_f32_e32 vcc_lo, 0xc2ce8ed0, v0
	v_fmac_f32_e32 v17, 0x32a5705f, v0
	s_delay_alu instid0(VALU_DEP_4) | instskip(SKIP_2) | instid1(VALU_DEP_3)
	v_fma_f32 v22, 0x3fb8aa3b, v1, -v16
	v_rndne_f32_e32 v33, v16
	v_sub_f32_e32 v2, v2, v21
	v_fmac_f32_e32 v22, 0x32a5705f, v1
	s_delay_alu instid0(VALU_DEP_3) | instskip(NEXT) | instid1(VALU_DEP_3)
	v_sub_f32_e32 v16, v16, v33
	v_add_f32_e32 v2, v2, v17
	v_cvt_i32_f32_e32 v17, v21
	v_cvt_i32_f32_e32 v21, v33
	s_delay_alu instid0(VALU_DEP_4) | instskip(NEXT) | instid1(VALU_DEP_4)
	v_add_f32_e32 v16, v16, v22
	v_exp_f32_e32 v2, v2
	v_pk_mul_f16 v22, v25, v29 op_sel:[0,1]
	s_delay_alu instid0(VALU_DEP_2) | instskip(SKIP_3) | instid1(VALU_DEP_2)
	v_exp_f32_e32 v16, v16
	s_waitcnt_depctr 0xfff
	v_ldexp_f32 v2, v2, v17
	v_ldexp_f32 v16, v16, v21
	v_cndmask_b32_e32 v2, 0, v2, vcc_lo
	v_cmp_ngt_f32_e32 vcc_lo, 0xc2ce8ed0, v1
	v_pk_mul_f16 v21, v25, v29 op_sel_hi:[1,0]
	v_pk_mul_f16 v25, v26, v29 op_sel_hi:[1,0]
	v_cndmask_b32_e32 v16, 0, v16, vcc_lo
	v_cmp_nlt_f32_e32 vcc_lo, 0x42b17218, v0
	v_cndmask_b32_e32 v0, 0x7f800000, v2, vcc_lo
	v_cmp_nlt_f32_e32 vcc_lo, 0x42b17218, v1
	s_delay_alu instid0(VALU_DEP_2) | instskip(SKIP_1) | instid1(VALU_DEP_2)
	v_cvt_f16_f32_e32 v2, v0
	v_cndmask_b32_e32 v1, 0x7f800000, v16, vcc_lo
	v_pk_mul_f16 v17, v2, v42 op_sel_hi:[0,1]
	s_delay_alu instid0(VALU_DEP_2) | instskip(SKIP_1) | instid1(VALU_DEP_3)
	v_cvt_f16_f32_e32 v16, v1
	v_pk_fma_f16 v2, v2, v43, v22 op_sel_hi:[0,1,1]
	v_pk_fma_f16 v17, v26, v29, v17 op_sel:[0,1,0]
	s_delay_alu instid0(VALU_DEP_3) | instskip(SKIP_1) | instid1(VALU_DEP_4)
	v_pk_fma_f16 v21, v16, v44, v21 op_sel_hi:[0,1,1]
	v_pk_fma_f16 v16, v16, v45, v25 op_sel_hi:[0,1,1]
	v_pk_fma_f16 v2, v27, v30, v2 op_sel:[0,1,0]
	s_delay_alu instid0(VALU_DEP_4) | instskip(NEXT) | instid1(VALU_DEP_4)
	v_pk_fma_f16 v17, v28, v30, v17 op_sel:[0,1,0]
	v_pk_fma_f16 v21, v27, v30, v21 op_sel_hi:[1,0,1]
	s_delay_alu instid0(VALU_DEP_4) | instskip(NEXT) | instid1(VALU_DEP_4)
	v_pk_fma_f16 v16, v28, v30, v16 op_sel_hi:[1,0,1]
	v_pk_fma_f16 v2, v58, v31, v2 op_sel:[0,1,0]
	s_delay_alu instid0(VALU_DEP_4) | instskip(NEXT) | instid1(VALU_DEP_4)
	v_pk_fma_f16 v17, v59, v31, v17 op_sel:[0,1,0]
	v_pk_fma_f16 v21, v58, v31, v21 op_sel_hi:[1,0,1]
	s_delay_alu instid0(VALU_DEP_4) | instskip(NEXT) | instid1(VALU_DEP_4)
	v_pk_fma_f16 v16, v59, v31, v16 op_sel_hi:[1,0,1]
	v_pk_fma_f16 v2, v60, v32, v2 op_sel:[0,1,0]
	s_delay_alu instid0(VALU_DEP_4) | instskip(NEXT) | instid1(VALU_DEP_4)
	v_pk_fma_f16 v17, v61, v32, v17 op_sel:[0,1,0]
	v_pk_fma_f16 v21, v60, v32, v21 op_sel_hi:[1,0,1]
	s_delay_alu instid0(VALU_DEP_4) | instskip(NEXT) | instid1(VALU_DEP_4)
	v_pk_fma_f16 v16, v61, v32, v16 op_sel_hi:[1,0,1]
	v_pk_fma_f16 v2, v62, v46, v2 op_sel:[0,1,0]
	s_delay_alu instid0(VALU_DEP_4) | instskip(NEXT) | instid1(VALU_DEP_4)
	v_pk_fma_f16 v17, v63, v46, v17 op_sel:[0,1,0]
	v_pk_fma_f16 v21, v62, v46, v21 op_sel_hi:[1,0,1]
	s_delay_alu instid0(VALU_DEP_4) | instskip(NEXT) | instid1(VALU_DEP_4)
	v_pk_fma_f16 v16, v63, v46, v16 op_sel_hi:[1,0,1]
	v_pk_fma_f16 v2, v64, v47, v2 op_sel:[0,1,0]
	s_delay_alu instid0(VALU_DEP_4) | instskip(NEXT) | instid1(VALU_DEP_4)
	v_pk_fma_f16 v17, v65, v47, v17 op_sel:[0,1,0]
	v_pk_fma_f16 v21, v64, v47, v21 op_sel_hi:[1,0,1]
	s_delay_alu instid0(VALU_DEP_4) | instskip(NEXT) | instid1(VALU_DEP_4)
	v_pk_fma_f16 v16, v65, v47, v16 op_sel_hi:[1,0,1]
	v_pk_fma_f16 v2, v66, v48, v2 op_sel:[0,1,0]
	s_delay_alu instid0(VALU_DEP_4) | instskip(NEXT) | instid1(VALU_DEP_4)
	v_pk_fma_f16 v17, v67, v48, v17 op_sel:[0,1,0]
	v_pk_fma_f16 v21, v66, v48, v21 op_sel_hi:[1,0,1]
	s_delay_alu instid0(VALU_DEP_4) | instskip(NEXT) | instid1(VALU_DEP_4)
	v_pk_fma_f16 v16, v67, v48, v16 op_sel_hi:[1,0,1]
	v_pk_fma_f16 v2, v68, v49, v2 op_sel:[0,1,0]
	s_delay_alu instid0(VALU_DEP_4) | instskip(NEXT) | instid1(VALU_DEP_4)
	v_pk_fma_f16 v17, v69, v49, v17 op_sel:[0,1,0]
	v_pk_fma_f16 v21, v68, v49, v21 op_sel_hi:[1,0,1]
	s_delay_alu instid0(VALU_DEP_4) | instskip(NEXT) | instid1(VALU_DEP_4)
	v_pk_fma_f16 v16, v69, v49, v16 op_sel_hi:[1,0,1]
	v_pk_fma_f16 v2, v70, v50, v2 op_sel:[0,1,0]
	s_delay_alu instid0(VALU_DEP_4) | instskip(NEXT) | instid1(VALU_DEP_4)
	v_pk_fma_f16 v17, v71, v50, v17 op_sel:[0,1,0]
	v_pk_fma_f16 v21, v70, v50, v21 op_sel_hi:[1,0,1]
	s_delay_alu instid0(VALU_DEP_4) | instskip(NEXT) | instid1(VALU_DEP_4)
	v_pk_fma_f16 v16, v71, v50, v16 op_sel_hi:[1,0,1]
	v_pk_fma_f16 v2, v72, v51, v2 op_sel:[0,1,0]
	s_delay_alu instid0(VALU_DEP_4) | instskip(NEXT) | instid1(VALU_DEP_4)
	v_pk_fma_f16 v17, v73, v51, v17 op_sel:[0,1,0]
	v_pk_fma_f16 v21, v72, v51, v21 op_sel_hi:[1,0,1]
	s_delay_alu instid0(VALU_DEP_4) | instskip(NEXT) | instid1(VALU_DEP_4)
	v_pk_fma_f16 v16, v73, v51, v16 op_sel_hi:[1,0,1]
	v_pk_fma_f16 v2, v74, v52, v2 op_sel:[0,1,0]
	s_delay_alu instid0(VALU_DEP_4) | instskip(NEXT) | instid1(VALU_DEP_4)
	v_pk_fma_f16 v17, v75, v52, v17 op_sel:[0,1,0]
	v_pk_fma_f16 v21, v74, v52, v21 op_sel_hi:[1,0,1]
	s_delay_alu instid0(VALU_DEP_4) | instskip(NEXT) | instid1(VALU_DEP_4)
	v_pk_fma_f16 v16, v75, v52, v16 op_sel_hi:[1,0,1]
	v_pk_fma_f16 v2, v76, v53, v2 op_sel:[0,1,0]
	s_delay_alu instid0(VALU_DEP_4) | instskip(NEXT) | instid1(VALU_DEP_4)
	v_pk_fma_f16 v17, v77, v53, v17 op_sel:[0,1,0]
	v_pk_fma_f16 v21, v76, v53, v21 op_sel_hi:[1,0,1]
	s_delay_alu instid0(VALU_DEP_4) | instskip(NEXT) | instid1(VALU_DEP_4)
	v_pk_fma_f16 v16, v77, v53, v16 op_sel_hi:[1,0,1]
	v_pk_fma_f16 v2, v78, v54, v2 op_sel:[0,1,0]
	s_delay_alu instid0(VALU_DEP_4) | instskip(NEXT) | instid1(VALU_DEP_4)
	v_pk_fma_f16 v17, v79, v54, v17 op_sel:[0,1,0]
	v_pk_fma_f16 v21, v78, v54, v21 op_sel_hi:[1,0,1]
	s_delay_alu instid0(VALU_DEP_4) | instskip(NEXT) | instid1(VALU_DEP_4)
	v_pk_fma_f16 v16, v79, v54, v16 op_sel_hi:[1,0,1]
	v_pk_fma_f16 v2, v80, v55, v2 op_sel:[0,1,0]
	s_delay_alu instid0(VALU_DEP_4) | instskip(NEXT) | instid1(VALU_DEP_4)
	v_pk_fma_f16 v17, v81, v55, v17 op_sel:[0,1,0]
	v_pk_fma_f16 v21, v80, v55, v21 op_sel_hi:[1,0,1]
	s_delay_alu instid0(VALU_DEP_4) | instskip(NEXT) | instid1(VALU_DEP_4)
	v_pk_fma_f16 v16, v81, v55, v16 op_sel_hi:[1,0,1]
	v_pk_fma_f16 v2, v82, v56, v2 op_sel:[0,1,0]
	s_delay_alu instid0(VALU_DEP_4) | instskip(NEXT) | instid1(VALU_DEP_4)
	v_pk_fma_f16 v17, v83, v56, v17 op_sel:[0,1,0]
	v_pk_fma_f16 v21, v82, v56, v21 op_sel_hi:[1,0,1]
	s_delay_alu instid0(VALU_DEP_4) | instskip(NEXT) | instid1(VALU_DEP_4)
	v_pk_fma_f16 v16, v83, v56, v16 op_sel_hi:[1,0,1]
	v_pk_fma_f16 v2, v84, v57, v2 op_sel:[0,1,0]
	s_delay_alu instid0(VALU_DEP_4) | instskip(NEXT) | instid1(VALU_DEP_4)
	v_pk_fma_f16 v17, v85, v57, v17 op_sel:[0,1,0]
	v_pk_fma_f16 v21, v84, v57, v21 op_sel_hi:[1,0,1]
	s_delay_alu instid0(VALU_DEP_4) | instskip(NEXT) | instid1(VALU_DEP_4)
	v_pk_fma_f16 v16, v85, v57, v16 op_sel_hi:[1,0,1]
	v_pk_fma_f16 v2, v86, v98, v2 op_sel:[0,1,0]
	s_delay_alu instid0(VALU_DEP_4) | instskip(NEXT) | instid1(VALU_DEP_4)
	v_pk_fma_f16 v17, v87, v98, v17 op_sel:[0,1,0]
	v_pk_fma_f16 v21, v86, v98, v21 op_sel_hi:[1,0,1]
	s_delay_alu instid0(VALU_DEP_4) | instskip(NEXT) | instid1(VALU_DEP_4)
	v_pk_fma_f16 v16, v87, v98, v16 op_sel_hi:[1,0,1]
	v_pk_fma_f16 v2, v88, v99, v2 op_sel:[0,1,0]
	s_delay_alu instid0(VALU_DEP_4) | instskip(NEXT) | instid1(VALU_DEP_4)
	v_pk_fma_f16 v17, v89, v99, v17 op_sel:[0,1,0]
	v_pk_fma_f16 v21, v88, v99, v21 op_sel_hi:[1,0,1]
	s_delay_alu instid0(VALU_DEP_4) | instskip(NEXT) | instid1(VALU_DEP_4)
	v_pk_fma_f16 v16, v89, v99, v16 op_sel_hi:[1,0,1]
	v_pk_fma_f16 v2, v90, v100, v2 op_sel:[0,1,0]
	s_delay_alu instid0(VALU_DEP_4) | instskip(NEXT) | instid1(VALU_DEP_4)
	v_pk_fma_f16 v17, v91, v100, v17 op_sel:[0,1,0]
	v_pk_fma_f16 v21, v90, v100, v21 op_sel_hi:[1,0,1]
	s_delay_alu instid0(VALU_DEP_4) | instskip(NEXT) | instid1(VALU_DEP_4)
	v_pk_fma_f16 v16, v91, v100, v16 op_sel_hi:[1,0,1]
	v_pk_fma_f16 v2, v92, v101, v2 op_sel:[0,1,0]
	s_delay_alu instid0(VALU_DEP_4) | instskip(NEXT) | instid1(VALU_DEP_4)
	v_pk_fma_f16 v17, v93, v101, v17 op_sel:[0,1,0]
	v_pk_fma_f16 v21, v92, v101, v21 op_sel_hi:[1,0,1]
	s_delay_alu instid0(VALU_DEP_4) | instskip(NEXT) | instid1(VALU_DEP_4)
	v_pk_fma_f16 v16, v93, v101, v16 op_sel_hi:[1,0,1]
	v_pk_fma_f16 v2, v94, v102, v2 op_sel:[0,1,0]
	s_delay_alu instid0(VALU_DEP_4) | instskip(NEXT) | instid1(VALU_DEP_4)
	v_pk_fma_f16 v17, v95, v102, v17 op_sel:[0,1,0]
	v_pk_fma_f16 v21, v94, v102, v21 op_sel_hi:[1,0,1]
	s_delay_alu instid0(VALU_DEP_4) | instskip(NEXT) | instid1(VALU_DEP_4)
	v_pk_fma_f16 v16, v95, v102, v16 op_sel_hi:[1,0,1]
	v_pk_fma_f16 v2, v96, v103, v2 op_sel:[0,1,0]
	s_delay_alu instid0(VALU_DEP_4) | instskip(NEXT) | instid1(VALU_DEP_4)
	v_pk_fma_f16 v17, v97, v103, v17 op_sel:[0,1,0]
	v_pk_fma_f16 v21, v96, v103, v21 op_sel_hi:[1,0,1]
	s_delay_alu instid0(VALU_DEP_4) | instskip(NEXT) | instid1(VALU_DEP_4)
	v_pk_fma_f16 v16, v97, v103, v16 op_sel_hi:[1,0,1]
	v_pk_fma_f16 v2, v106, v104, v2 op_sel:[0,1,0]
	s_delay_alu instid0(VALU_DEP_4) | instskip(NEXT) | instid1(VALU_DEP_4)
	v_pk_fma_f16 v17, v107, v104, v17 op_sel:[0,1,0]
	v_pk_fma_f16 v21, v106, v104, v21 op_sel_hi:[1,0,1]
	s_delay_alu instid0(VALU_DEP_4) | instskip(NEXT) | instid1(VALU_DEP_4)
	v_pk_fma_f16 v16, v107, v104, v16 op_sel_hi:[1,0,1]
	v_pk_fma_f16 v2, v108, v105, v2 op_sel:[0,1,0]
	s_delay_alu instid0(VALU_DEP_4) | instskip(NEXT) | instid1(VALU_DEP_4)
	v_pk_fma_f16 v17, v109, v105, v17 op_sel:[0,1,0]
	v_pk_fma_f16 v21, v108, v105, v21 op_sel_hi:[1,0,1]
	s_delay_alu instid0(VALU_DEP_4) | instskip(NEXT) | instid1(VALU_DEP_4)
	v_pk_fma_f16 v16, v109, v105, v16 op_sel_hi:[1,0,1]
	v_pk_fma_f16 v2, v110, v122, v2 op_sel:[0,1,0]
	s_delay_alu instid0(VALU_DEP_4) | instskip(NEXT) | instid1(VALU_DEP_4)
	v_pk_fma_f16 v17, v111, v122, v17 op_sel:[0,1,0]
	v_pk_fma_f16 v21, v110, v122, v21 op_sel_hi:[1,0,1]
	s_delay_alu instid0(VALU_DEP_4) | instskip(NEXT) | instid1(VALU_DEP_4)
	v_pk_fma_f16 v16, v111, v122, v16 op_sel_hi:[1,0,1]
	v_pk_fma_f16 v2, v112, v123, v2 op_sel:[0,1,0]
	s_delay_alu instid0(VALU_DEP_4) | instskip(NEXT) | instid1(VALU_DEP_4)
	v_pk_fma_f16 v17, v113, v123, v17 op_sel:[0,1,0]
	v_pk_fma_f16 v21, v112, v123, v21 op_sel_hi:[1,0,1]
	s_delay_alu instid0(VALU_DEP_4) | instskip(NEXT) | instid1(VALU_DEP_4)
	v_pk_fma_f16 v16, v113, v123, v16 op_sel_hi:[1,0,1]
	v_pk_fma_f16 v2, v114, v124, v2 op_sel:[0,1,0]
	s_delay_alu instid0(VALU_DEP_4) | instskip(NEXT) | instid1(VALU_DEP_4)
	v_pk_fma_f16 v17, v115, v124, v17 op_sel:[0,1,0]
	v_pk_fma_f16 v21, v114, v124, v21 op_sel_hi:[1,0,1]
	s_delay_alu instid0(VALU_DEP_4) | instskip(NEXT) | instid1(VALU_DEP_4)
	v_pk_fma_f16 v16, v115, v124, v16 op_sel_hi:[1,0,1]
	v_pk_fma_f16 v2, v116, v125, v2 op_sel:[0,1,0]
	s_delay_alu instid0(VALU_DEP_4) | instskip(NEXT) | instid1(VALU_DEP_4)
	v_pk_fma_f16 v17, v117, v125, v17 op_sel:[0,1,0]
	v_pk_fma_f16 v21, v116, v125, v21 op_sel_hi:[1,0,1]
	s_delay_alu instid0(VALU_DEP_4) | instskip(NEXT) | instid1(VALU_DEP_4)
	v_pk_fma_f16 v16, v117, v125, v16 op_sel_hi:[1,0,1]
	v_pk_fma_f16 v2, v118, v126, v2 op_sel:[0,1,0]
	s_delay_alu instid0(VALU_DEP_4) | instskip(NEXT) | instid1(VALU_DEP_4)
	v_pk_fma_f16 v17, v119, v126, v17 op_sel:[0,1,0]
	v_pk_fma_f16 v21, v118, v126, v21 op_sel_hi:[1,0,1]
	s_delay_alu instid0(VALU_DEP_4) | instskip(NEXT) | instid1(VALU_DEP_4)
	v_pk_fma_f16 v16, v119, v126, v16 op_sel_hi:[1,0,1]
	v_pk_fma_f16 v2, v120, v127, v2 op_sel:[0,1,0]
	s_delay_alu instid0(VALU_DEP_4) | instskip(NEXT) | instid1(VALU_DEP_4)
	v_pk_fma_f16 v17, v121, v127, v17 op_sel:[0,1,0]
	v_pk_fma_f16 v21, v120, v127, v21 op_sel_hi:[1,0,1]
	s_delay_alu instid0(VALU_DEP_4) | instskip(NEXT) | instid1(VALU_DEP_4)
	v_pk_fma_f16 v16, v121, v127, v16 op_sel_hi:[1,0,1]
	v_pk_fma_f16 v2, v130, v128, v2 op_sel:[0,1,0]
	s_delay_alu instid0(VALU_DEP_4) | instskip(NEXT) | instid1(VALU_DEP_4)
	v_pk_fma_f16 v17, v131, v128, v17 op_sel:[0,1,0]
	v_pk_fma_f16 v21, v130, v128, v21 op_sel_hi:[1,0,1]
	s_delay_alu instid0(VALU_DEP_4) | instskip(NEXT) | instid1(VALU_DEP_4)
	v_pk_fma_f16 v16, v131, v128, v16 op_sel_hi:[1,0,1]
	v_pk_fma_f16 v2, v132, v129, v2 op_sel:[0,1,0]
	s_delay_alu instid0(VALU_DEP_4) | instskip(NEXT) | instid1(VALU_DEP_4)
	v_pk_fma_f16 v17, v133, v129, v17 op_sel:[0,1,0]
	v_pk_fma_f16 v21, v132, v129, v21 op_sel_hi:[1,0,1]
	s_delay_alu instid0(VALU_DEP_4)
	v_pk_fma_f16 v16, v133, v129, v16 op_sel_hi:[1,0,1]
	s_waitcnt vmcnt(0) lgkmcnt(0)
	ds_store_b128 v148, v[134:137]
	flat_load_b128 v[134:137], v[138:139]
	s_waitcnt vmcnt(0) lgkmcnt(0)
	ds_store_b128 v149, v[134:137]
	s_waitcnt lgkmcnt(0)
	s_waitcnt_vscnt null, 0x0
	s_barrier
	buffer_gl0_inv
	ds_load_2addr_b64 v[25:28], v41 offset1:32
	ds_load_b128 v[29:32], v13 offset:11392
	ds_load_2addr_b64 v[42:45], v41 offset0:64 offset1:96
	ds_load_b128 v[46:49], v13 offset:11408
	ds_load_2addr_b64 v[50:53], v41 offset0:128 offset1:160
	ds_load_2addr_b64 v[54:57], v24 offset1:32
	s_waitcnt lgkmcnt(4)
	v_pk_fma_f16 v21, v25, v29, v21 op_sel_hi:[1,0,1]
	v_pk_fma_f16 v2, v25, v29, v2 op_sel:[0,1,0]
	v_pk_fma_f16 v16, v26, v29, v16 op_sel_hi:[1,0,1]
	v_pk_fma_f16 v17, v26, v29, v17 op_sel:[0,1,0]
	s_delay_alu instid0(VALU_DEP_4) | instskip(NEXT) | instid1(VALU_DEP_4)
	v_pk_fma_f16 v21, v27, v30, v21 op_sel_hi:[1,0,1]
	v_pk_fma_f16 v2, v27, v30, v2 op_sel:[0,1,0]
	s_delay_alu instid0(VALU_DEP_4) | instskip(NEXT) | instid1(VALU_DEP_4)
	v_pk_fma_f16 v16, v28, v30, v16 op_sel_hi:[1,0,1]
	v_pk_fma_f16 v17, v28, v30, v17 op_sel:[0,1,0]
	ds_load_2addr_b64 v[25:28], v41 offset0:192 offset1:224
	s_waitcnt lgkmcnt(4)
	v_pk_fma_f16 v21, v42, v31, v21 op_sel_hi:[1,0,1]
	v_pk_fma_f16 v2, v42, v31, v2 op_sel:[0,1,0]
	v_pk_fma_f16 v16, v43, v31, v16 op_sel_hi:[1,0,1]
	v_pk_fma_f16 v17, v43, v31, v17 op_sel:[0,1,0]
	s_delay_alu instid0(VALU_DEP_4) | instskip(NEXT) | instid1(VALU_DEP_4)
	v_pk_fma_f16 v21, v44, v32, v21 op_sel_hi:[1,0,1]
	v_pk_fma_f16 v2, v44, v32, v2 op_sel:[0,1,0]
	s_delay_alu instid0(VALU_DEP_4) | instskip(NEXT) | instid1(VALU_DEP_4)
	v_pk_fma_f16 v16, v45, v32, v16 op_sel_hi:[1,0,1]
	v_pk_fma_f16 v17, v45, v32, v17 op_sel:[0,1,0]
	ds_load_b128 v[29:32], v13 offset:11424
	s_waitcnt lgkmcnt(3)
	v_pk_fma_f16 v21, v50, v46, v21 op_sel_hi:[1,0,1]
	v_pk_fma_f16 v2, v50, v46, v2 op_sel:[0,1,0]
	v_pk_fma_f16 v16, v51, v46, v16 op_sel_hi:[1,0,1]
	v_pk_fma_f16 v17, v51, v46, v17 op_sel:[0,1,0]
	ds_load_2addr_b64 v[41:44], v24 offset0:64 offset1:96
	v_pk_fma_f16 v21, v52, v47, v21 op_sel_hi:[1,0,1]
	v_pk_fma_f16 v2, v52, v47, v2 op_sel:[0,1,0]
	v_pk_fma_f16 v16, v53, v47, v16 op_sel_hi:[1,0,1]
	v_pk_fma_f16 v17, v53, v47, v17 op_sel:[0,1,0]
	ds_load_b128 v[50:53], v13 offset:11440
	s_waitcnt lgkmcnt(3)
	v_pk_fma_f16 v21, v25, v48, v21 op_sel_hi:[1,0,1]
	v_pk_fma_f16 v2, v25, v48, v2 op_sel:[0,1,0]
	v_pk_fma_f16 v16, v26, v48, v16 op_sel_hi:[1,0,1]
	v_pk_fma_f16 v17, v26, v48, v17 op_sel:[0,1,0]
	ds_load_2addr_b64 v[45:48], v24 offset0:128 offset1:160
	v_pk_fma_f16 v21, v27, v49, v21 op_sel_hi:[1,0,1]
	v_pk_fma_f16 v2, v27, v49, v2 op_sel:[0,1,0]
	v_pk_fma_f16 v16, v28, v49, v16 op_sel_hi:[1,0,1]
	v_pk_fma_f16 v17, v28, v49, v17 op_sel:[0,1,0]
	ds_load_2addr_b64 v[24:27], v24 offset0:192 offset1:224
	s_waitcnt lgkmcnt(4)
	v_pk_fma_f16 v21, v54, v29, v21 op_sel_hi:[1,0,1]
	v_pk_fma_f16 v2, v54, v29, v2 op_sel:[0,1,0]
	v_pk_fma_f16 v16, v55, v29, v16 op_sel_hi:[1,0,1]
	v_pk_fma_f16 v17, v55, v29, v17 op_sel:[0,1,0]
	s_delay_alu instid0(VALU_DEP_4) | instskip(NEXT) | instid1(VALU_DEP_4)
	v_pk_fma_f16 v21, v56, v30, v21 op_sel_hi:[1,0,1]
	v_pk_fma_f16 v2, v56, v30, v2 op_sel:[0,1,0]
	s_delay_alu instid0(VALU_DEP_4) | instskip(NEXT) | instid1(VALU_DEP_4)
	v_pk_fma_f16 v16, v57, v30, v16 op_sel_hi:[1,0,1]
	v_pk_fma_f16 v17, v57, v30, v17 op_sel:[0,1,0]
	ds_load_2addr_b64 v[54:57], v23 offset0:64 offset1:96
	s_waitcnt lgkmcnt(4)
	v_pk_fma_f16 v21, v41, v31, v21 op_sel_hi:[1,0,1]
	v_pk_fma_f16 v2, v41, v31, v2 op_sel:[0,1,0]
	v_pk_fma_f16 v16, v42, v31, v16 op_sel_hi:[1,0,1]
	v_pk_fma_f16 v17, v42, v31, v17 op_sel:[0,1,0]
	ds_load_2addr_b64 v[28:31], v23 offset1:32
	v_pk_fma_f16 v21, v43, v32, v21 op_sel_hi:[1,0,1]
	v_pk_fma_f16 v2, v43, v32, v2 op_sel:[0,1,0]
	v_pk_fma_f16 v16, v44, v32, v16 op_sel_hi:[1,0,1]
	v_pk_fma_f16 v17, v44, v32, v17 op_sel:[0,1,0]
	ds_load_b128 v[41:44], v13 offset:11456
	s_waitcnt lgkmcnt(4)
	v_pk_fma_f16 v21, v45, v50, v21 op_sel_hi:[1,0,1]
	v_pk_fma_f16 v2, v45, v50, v2 op_sel:[0,1,0]
	v_pk_fma_f16 v16, v46, v50, v16 op_sel_hi:[1,0,1]
	v_pk_fma_f16 v17, v46, v50, v17 op_sel:[0,1,0]
	s_delay_alu instid0(VALU_DEP_4) | instskip(NEXT) | instid1(VALU_DEP_4)
	v_pk_fma_f16 v21, v47, v51, v21 op_sel_hi:[1,0,1]
	v_pk_fma_f16 v2, v47, v51, v2 op_sel:[0,1,0]
	s_delay_alu instid0(VALU_DEP_4) | instskip(NEXT) | instid1(VALU_DEP_4)
	v_pk_fma_f16 v16, v48, v51, v16 op_sel_hi:[1,0,1]
	v_pk_fma_f16 v17, v48, v51, v17 op_sel:[0,1,0]
	ds_load_2addr_b64 v[45:48], v23 offset0:128 offset1:160
	s_waitcnt lgkmcnt(4)
	v_pk_fma_f16 v21, v24, v52, v21 op_sel_hi:[1,0,1]
	v_pk_fma_f16 v2, v24, v52, v2 op_sel:[0,1,0]
	v_pk_fma_f16 v16, v25, v52, v16 op_sel_hi:[1,0,1]
	v_pk_fma_f16 v17, v25, v52, v17 op_sel:[0,1,0]
	ds_load_b128 v[49:52], v13 offset:11472
	v_pk_fma_f16 v21, v26, v53, v21 op_sel_hi:[1,0,1]
	v_pk_fma_f16 v2, v26, v53, v2 op_sel:[0,1,0]
	v_pk_fma_f16 v16, v27, v53, v16 op_sel_hi:[1,0,1]
	v_pk_fma_f16 v17, v27, v53, v17 op_sel:[0,1,0]
	s_waitcnt lgkmcnt(2)
	v_pk_fma_f16 v21, v28, v41, v21 op_sel_hi:[1,0,1]
	v_pk_fma_f16 v2, v28, v41, v2 op_sel:[0,1,0]
	v_pk_fma_f16 v16, v29, v41, v16 op_sel_hi:[1,0,1]
	v_pk_fma_f16 v17, v29, v41, v17 op_sel:[0,1,0]
	s_delay_alu instid0(VALU_DEP_4) | instskip(NEXT) | instid1(VALU_DEP_4)
	v_pk_fma_f16 v21, v30, v42, v21 op_sel_hi:[1,0,1]
	v_pk_fma_f16 v2, v30, v42, v2 op_sel:[0,1,0]
	s_delay_alu instid0(VALU_DEP_4) | instskip(NEXT) | instid1(VALU_DEP_4)
	v_pk_fma_f16 v16, v31, v42, v16 op_sel_hi:[1,0,1]
	v_pk_fma_f16 v17, v31, v42, v17 op_sel:[0,1,0]
	s_delay_alu instid0(VALU_DEP_4)
	v_pk_fma_f16 v25, v54, v43, v21 op_sel_hi:[1,0,1]
	ds_load_2addr_b64 v[21:24], v23 offset0:192 offset1:224
	v_pk_fma_f16 v2, v54, v43, v2 op_sel:[0,1,0]
	v_pk_fma_f16 v16, v55, v43, v16 op_sel_hi:[1,0,1]
	v_pk_fma_f16 v17, v55, v43, v17 op_sel:[0,1,0]
	v_pk_fma_f16 v29, v56, v44, v25 op_sel_hi:[1,0,1]
	ds_load_2addr_b64 v[25:28], v20 offset1:32
	v_pk_fma_f16 v2, v56, v44, v2 op_sel:[0,1,0]
	v_pk_fma_f16 v16, v57, v44, v16 op_sel_hi:[1,0,1]
	v_pk_fma_f16 v17, v57, v44, v17 op_sel:[0,1,0]
	s_waitcnt lgkmcnt(2)
	v_pk_fma_f16 v33, v45, v49, v29 op_sel_hi:[1,0,1]
	ds_load_b128 v[29:32], v13 offset:11488
	v_pk_fma_f16 v2, v45, v49, v2 op_sel:[0,1,0]
	v_pk_fma_f16 v16, v46, v49, v16 op_sel_hi:[1,0,1]
	v_pk_fma_f16 v17, v46, v49, v17 op_sel:[0,1,0]
	v_pk_fma_f16 v33, v47, v50, v33 op_sel_hi:[1,0,1]
	v_add_f32_e32 v45, v18, v19
	v_pk_fma_f16 v2, v47, v50, v2 op_sel:[0,1,0]
	v_pk_fma_f16 v41, v48, v50, v16 op_sel_hi:[1,0,1]
	v_pk_fma_f16 v42, v48, v50, v17 op_sel:[0,1,0]
	ds_load_2addr_b64 v[16:19], v20 offset0:64 offset1:96
	s_waitcnt lgkmcnt(3)
	v_pk_fma_f16 v33, v21, v51, v33 op_sel_hi:[1,0,1]
	v_pk_fma_f16 v2, v21, v51, v2 op_sel:[0,1,0]
	v_pk_fma_f16 v21, v22, v51, v41 op_sel_hi:[1,0,1]
	v_pk_fma_f16 v22, v22, v51, v42 op_sel:[0,1,0]
	ds_load_2addr_b64 v[41:44], v20 offset0:128 offset1:160
	v_pk_fma_f16 v33, v23, v52, v33 op_sel_hi:[1,0,1]
	v_pk_fma_f16 v2, v23, v52, v2 op_sel:[0,1,0]
	v_pk_fma_f16 v46, v24, v52, v21 op_sel_hi:[1,0,1]
	v_pk_fma_f16 v47, v24, v52, v22 op_sel:[0,1,0]
	ds_load_b128 v[21:24], v13 offset:11504
	s_waitcnt lgkmcnt(3)
	v_pk_fma_f16 v13, v25, v29, v33 op_sel_hi:[1,0,1]
	v_pk_fma_f16 v2, v25, v29, v2 op_sel:[0,1,0]
	v_pk_fma_f16 v25, v26, v29, v46 op_sel_hi:[1,0,1]
	v_pk_fma_f16 v26, v26, v29, v47 op_sel:[0,1,0]
	v_fmac_f32_e32 v45, v5, v1
	v_pk_fma_f16 v1, v27, v30, v13 op_sel_hi:[1,0,1]
	v_pk_fma_f16 v2, v27, v30, v2 op_sel:[0,1,0]
	v_pk_fma_f16 v5, v28, v30, v25 op_sel_hi:[1,0,1]
	v_pk_fma_f16 v13, v28, v30, v26 op_sel:[0,1,0]
	ds_load_2addr_b64 v[25:28], v20 offset0:192 offset1:224
	s_waitcnt lgkmcnt(3)
	v_pk_fma_f16 v1, v16, v31, v1 op_sel_hi:[1,0,1]
	v_pk_fma_f16 v2, v16, v31, v2 op_sel:[0,1,0]
	v_pk_fma_f16 v16, v17, v31, v5 op_sel_hi:[1,0,1]
	v_pk_fma_f16 v13, v17, v31, v13 op_sel:[0,1,0]
	v_mov_b32_e32 v5, v45
	v_pk_fma_f16 v1, v18, v32, v1 op_sel_hi:[1,0,1]
	v_pk_fma_f16 v2, v18, v32, v2 op_sel:[0,1,0]
	v_pk_fma_f16 v18, v19, v32, v16 op_sel_hi:[1,0,1]
	v_pk_fma_f16 v13, v19, v32, v13 op_sel:[0,1,0]
	v_dual_mov_b32 v17, v4 :: v_dual_mov_b32 v16, v3
	s_waitcnt lgkmcnt(1)
	v_pk_fma_f16 v1, v41, v21, v1 op_sel_hi:[1,0,1]
	v_pk_fma_f16 v2, v41, v21, v2 op_sel:[0,1,0]
	v_pk_fma_f16 v3, v42, v21, v18 op_sel_hi:[1,0,1]
	v_pk_fma_f16 v4, v42, v21, v13 op_sel:[0,1,0]
	v_add_f32_e32 v13, v14, v15
	v_pk_fma_f16 v1, v43, v22, v1 op_sel_hi:[1,0,1]
	v_pk_fma_f16 v2, v43, v22, v2 op_sel:[0,1,0]
	v_pk_fma_f16 v3, v44, v22, v3 op_sel_hi:[1,0,1]
	v_pk_fma_f16 v4, v44, v22, v4 op_sel:[0,1,0]
	v_fmac_f32_e32 v13, v6, v0
	s_waitcnt lgkmcnt(0)
	v_pk_fma_f16 v0, v25, v23, v1 op_sel_hi:[1,0,1]
	v_pk_fma_f16 v1, v25, v23, v2 op_sel:[0,1,0]
	v_pk_fma_f16 v2, v26, v23, v3 op_sel_hi:[1,0,1]
	v_pk_fma_f16 v3, v26, v23, v4 op_sel:[0,1,0]
	v_mov_b32_e32 v6, v13
	v_pk_fma_f16 v44, v27, v24, v0 op_sel_hi:[1,0,1]
	v_pk_fma_f16 v43, v27, v24, v1 op_sel:[0,1,0]
	v_pk_fma_f16 v45, v28, v24, v2 op_sel_hi:[1,0,1]
	v_pk_fma_f16 v42, v28, v24, v3 op_sel:[0,1,0]
	v_mov_b32_e32 v0, v40
	s_barrier
	buffer_gl0_inv
.LBB89_77:
	v_cmp_lt_i32_e32 vcc_lo, v8, v10
	s_cmp_eq_u64 s[24:25], 0
	s_cselect_b32 s2, -1, 0
	s_cmp_lg_u32 s14, 0
	v_cndmask_b32_e32 v1, v0, v8, vcc_lo
	v_cmp_lt_i32_e32 vcc_lo, v7, v10
	s_cselect_b32 s3, -1, 0
	s_delay_alu instid0(SALU_CYCLE_1) | instskip(NEXT) | instid1(VALU_DEP_2)
	s_or_b32 s2, s3, s2
	v_lshlrev_b32_e32 v1, 2, v1
	v_cndmask_b32_e32 v3, v0, v7, vcc_lo
	v_cmp_lt_i32_e32 vcc_lo, v9, v10
	ds_bpermute_b32 v2, v1, v5
	s_waitcnt lgkmcnt(0)
	v_dual_add_f32 v2, v5, v2 :: v_dual_lshlrev_b32 v3, 2, v3
	ds_bpermute_b32 v4, v3, v2
	s_waitcnt lgkmcnt(0)
	v_add_f32_e32 v2, v2, v4
	ds_bpermute_b32 v1, v1, v6
	v_cndmask_b32_e32 v5, v0, v9, vcc_lo
	v_cmp_lt_i32_e32 vcc_lo, v11, v10
	s_delay_alu instid0(VALU_DEP_2)
	v_lshlrev_b32_e32 v5, 2, v5
	s_waitcnt lgkmcnt(0)
	v_add_f32_e32 v1, v6, v1
	ds_bpermute_b32 v3, v3, v1
	s_waitcnt lgkmcnt(0)
	v_add_f32_e32 v1, v1, v3
	ds_bpermute_b32 v3, v5, v2
	ds_bpermute_b32 v4, v5, v1
	v_cndmask_b32_e32 v5, v0, v11, vcc_lo
	v_cmp_lt_i32_e32 vcc_lo, v12, v10
	s_delay_alu instid0(VALU_DEP_2) | instskip(SKIP_1) | instid1(VALU_DEP_1)
	v_dual_cndmask_b32 v0, v0, v12 :: v_dual_lshlrev_b32 v5, 2, v5
	s_and_b32 vcc_lo, exec_lo, s2
	v_lshlrev_b32_e32 v0, 2, v0
	s_waitcnt lgkmcnt(0)
	v_dual_add_f32 v2, v2, v3 :: v_dual_add_f32 v1, v1, v4
	ds_bpermute_b32 v3, v5, v2
	ds_bpermute_b32 v4, v5, v1
	s_waitcnt lgkmcnt(0)
	v_dual_add_f32 v2, v2, v3 :: v_dual_add_f32 v1, v1, v4
	ds_bpermute_b32 v3, v0, v2
	ds_bpermute_b32 v4, v0, v1
	s_waitcnt lgkmcnt(0)
	v_dual_add_f32 v0, v2, v3 :: v_dual_add_f32 v1, v1, v4
	s_cbranch_vccnz .LBB89_79
; %bb.78:
	s_lshl_b64 s[2:3], s[34:35], 2
	v_dual_mov_b32 v2, 0 :: v_dual_max_f32 v3, v16, v16
	s_add_u32 s2, s24, s2
	s_addc_u32 s3, s25, s3
	v_max_f32_e32 v6, v17, v17
	global_load_b32 v2, v2, s[2:3]
	s_waitcnt vmcnt(0)
	v_max_f32_e32 v5, v2, v2
	s_delay_alu instid0(VALU_DEP_1) | instskip(SKIP_1) | instid1(VALU_DEP_2)
	v_max_f32_e32 v4, v3, v5
	v_max_f32_e32 v5, v6, v5
	v_sub_f32_e32 v6, v2, v4
	s_delay_alu instid0(VALU_DEP_1) | instskip(SKIP_1) | instid1(VALU_DEP_2)
	v_dual_sub_f32 v8, v2, v5 :: v_dual_mul_f32 v9, 0x3fb8aa3b, v6
	v_sub_f32_e32 v3, v16, v4
	v_mul_f32_e32 v11, 0x3fb8aa3b, v8
	s_delay_alu instid0(VALU_DEP_3) | instskip(NEXT) | instid1(VALU_DEP_3)
	v_rndne_f32_e32 v15, v9
	v_dual_mul_f32 v2, 0x3fb8aa3b, v3 :: v_dual_sub_f32 v7, v17, v5
	v_fma_f32 v14, 0x3fb8aa3b, v6, -v9
	v_cmp_ngt_f32_e32 vcc_lo, 0xc2ce8ed0, v3
	v_rndne_f32_e32 v19, v11
	s_delay_alu instid0(VALU_DEP_4)
	v_fma_f32 v12, 0x3fb8aa3b, v3, -v2
	v_mul_f32_e32 v10, 0x3fb8aa3b, v7
	v_rndne_f32_e32 v13, v2
	v_fma_f32 v18, 0x3fb8aa3b, v8, -v11
	v_dual_fmac_f32 v14, 0x32a5705f, v6 :: v_dual_sub_f32 v11, v11, v19
	v_sub_f32_e32 v9, v9, v15
	v_fmac_f32_e32 v12, 0x32a5705f, v3
	v_sub_f32_e32 v2, v2, v13
	v_fma_f32 v16, 0x3fb8aa3b, v7, -v10
	v_rndne_f32_e32 v17, v10
	s_delay_alu instid0(VALU_DEP_3) | instskip(SKIP_2) | instid1(VALU_DEP_3)
	v_dual_add_f32 v9, v9, v14 :: v_dual_add_f32 v2, v2, v12
	v_cvt_i32_f32_e32 v12, v13
	v_cvt_i32_f32_e32 v13, v15
	v_exp_f32_e32 v9, v9
	v_cvt_i32_f32_e32 v15, v19
	v_exp_f32_e32 v2, v2
	v_cvt_i32_f32_e32 v14, v17
	s_waitcnt_depctr 0xfff
	v_ldexp_f32 v9, v9, v13
	v_ldexp_f32 v2, v2, v12
	s_delay_alu instid0(VALU_DEP_1) | instskip(SKIP_1) | instid1(VALU_DEP_4)
	v_cndmask_b32_e32 v2, 0, v2, vcc_lo
	v_cmp_ngt_f32_e32 vcc_lo, 0xc2ce8ed0, v6
	v_dual_fmac_f32 v18, 0x32a5705f, v8 :: v_dual_cndmask_b32 v9, 0, v9
	s_delay_alu instid0(VALU_DEP_1) | instskip(SKIP_1) | instid1(VALU_DEP_2)
	v_dual_fmac_f32 v16, 0x32a5705f, v7 :: v_dual_add_f32 v11, v11, v18
	v_cmp_ngt_f32_e32 vcc_lo, 0xc2ce8ed0, v7
	v_exp_f32_e32 v11, v11
	s_waitcnt_depctr 0xfff
	v_ldexp_f32 v11, v11, v15
	v_sub_f32_e32 v10, v10, v17
	s_delay_alu instid0(VALU_DEP_1) | instskip(SKIP_1) | instid1(VALU_DEP_2)
	v_dual_add_f32 v10, v10, v16 :: v_dual_mov_b32 v17, v5
	v_mov_b32_e32 v16, v4
	v_exp_f32_e32 v10, v10
	s_waitcnt_depctr 0xfff
	v_ldexp_f32 v10, v10, v14
	s_delay_alu instid0(VALU_DEP_1)
	v_cndmask_b32_e32 v10, 0, v10, vcc_lo
	v_cmp_ngt_f32_e32 vcc_lo, 0xc2ce8ed0, v8
	v_cndmask_b32_e32 v11, 0, v11, vcc_lo
	v_cmp_nlt_f32_e32 vcc_lo, 0x42b17218, v3
	v_cndmask_b32_e32 v12, 0x7f800000, v2, vcc_lo
	v_cmp_nlt_f32_e32 vcc_lo, 0x42b17218, v6
	;; [unrolled: 2-line block ×3, first 2 shown]
	s_delay_alu instid0(VALU_DEP_4) | instskip(NEXT) | instid1(VALU_DEP_3)
	v_cvt_f16_f32_e32 v7, v12
	v_fmac_f32_e32 v2, v0, v12
	v_cndmask_b32_e32 v6, 0x7f800000, v10, vcc_lo
	v_cmp_nlt_f32_e32 vcc_lo, 0x42b17218, v8
	s_delay_alu instid0(VALU_DEP_4) | instskip(SKIP_1) | instid1(VALU_DEP_4)
	v_pk_mul_f16 v44, v7, v44 op_sel_hi:[0,1]
	v_pk_mul_f16 v45, v7, v45 op_sel_hi:[0,1]
	v_cvt_f16_f32_e32 v8, v6
	v_cndmask_b32_e32 v3, 0x7f800000, v11, vcc_lo
	s_delay_alu instid0(VALU_DEP_2) | instskip(NEXT) | instid1(VALU_DEP_2)
	v_pk_mul_f16 v43, v8, v43 op_sel_hi:[0,1]
	v_fmac_f32_e32 v3, v1, v6
	v_mov_b32_e32 v0, v2
	v_pk_mul_f16 v42, v8, v42 op_sel_hi:[0,1]
	s_delay_alu instid0(VALU_DEP_3)
	v_mov_b32_e32 v1, v3
	s_mov_b32 s2, exec_lo
	v_cmpx_gt_i32_e64 s10, v39
	s_cbranch_execnz .LBB89_80
	s_branch .LBB89_89
.LBB89_79:
	s_delay_alu instid0(VALU_DEP_1)
	v_dual_mov_b32 v2, v0 :: v_dual_mov_b32 v3, v1
	s_mov_b32 s2, exec_lo
	v_cmpx_gt_i32_e64 s10, v39
	s_cbranch_execz .LBB89_89
.LBB89_80:
	s_load_b32 s1, s[0:1], 0xd4
	v_mov_b32_e32 v6, 1.0
	s_waitcnt lgkmcnt(0)
	s_cmp_lg_u32 s1, 1
	s_cselect_b32 s4, -1, 0
	s_cmp_eq_u32 s1, 1
	s_cselect_b32 s2, -1, 0
	s_and_b32 vcc_lo, exec_lo, s4
	s_cbranch_vccnz .LBB89_82
; %bb.81:
	v_div_scale_f32 v4, null, v2, v2, 1.0
	s_delay_alu instid0(VALU_DEP_1) | instskip(SKIP_2) | instid1(VALU_DEP_1)
	v_rcp_f32_e32 v5, v4
	s_waitcnt_depctr 0xfff
	v_fma_f32 v6, -v4, v5, 1.0
	v_fmac_f32_e32 v5, v6, v5
	v_div_scale_f32 v6, vcc_lo, 1.0, v2, 1.0
	s_delay_alu instid0(VALU_DEP_1) | instskip(NEXT) | instid1(VALU_DEP_1)
	v_mul_f32_e32 v7, v6, v5
	v_fma_f32 v8, -v4, v7, v6
	s_delay_alu instid0(VALU_DEP_1) | instskip(NEXT) | instid1(VALU_DEP_1)
	v_fmac_f32_e32 v7, v8, v5
	v_fma_f32 v4, -v4, v7, v6
	s_delay_alu instid0(VALU_DEP_1) | instskip(NEXT) | instid1(VALU_DEP_1)
	v_div_fmas_f32 v4, v4, v5, v7
	v_div_fixup_f32 v6, v4, v2, 1.0
.LBB89_82:
	s_mul_i32 s3, s33, s10
	v_cvt_f32_f16_e32 v9, v44
	s_add_i32 s3, s3, s15
	v_cvt_f32_f16_e32 v10, v45
	v_add_nc_u32_e32 v2, s3, v36
	v_cmp_eq_u32_e32 vcc_lo, 0, v38
	s_delay_alu instid0(VALU_DEP_2) | instskip(SKIP_2) | instid1(VALU_DEP_1)
	v_mad_u64_u32 v[7:8], null, v2, s11, s[34:35]
	v_mov_b32_e32 v8, 0
	v_lshrrev_b32_e32 v2, 16, v44
	v_cvt_f32_f16_e32 v2, v2
	s_delay_alu instid0(VALU_DEP_4) | instskip(SKIP_1) | instid1(VALU_DEP_1)
	v_mad_u64_u32 v[4:5], null, s1, v7, s[14:15]
	v_lshrrev_b32_e32 v5, 16, v45
	v_cvt_f32_f16_e32 v5, v5
	s_delay_alu instid0(VALU_DEP_3) | instskip(NEXT) | instid1(VALU_DEP_1)
	v_lshl_add_u32 v7, v4, 7, v37
	v_lshlrev_b64 v[11:12], 2, v[7:8]
	v_mul_f32_e32 v7, v6, v9
	v_mul_f32_e32 v9, v6, v10
	;; [unrolled: 1-line block ×4, first 2 shown]
	v_add_co_u32 v5, s0, s28, v11
	s_delay_alu instid0(VALU_DEP_1)
	v_add_co_ci_u32_e64 v6, s0, s29, v12, s0
	s_and_b32 s0, vcc_lo, s4
	global_store_b128 v[5:6], v[7:10], off
	s_and_saveexec_b32 s4, s0
	s_cbranch_execz .LBB89_84
; %bb.83:
	v_ashrrev_i32_e32 v5, 31, v4
	v_mov_b32_e32 v6, v16
	v_mov_b32_e32 v7, v0
	s_delay_alu instid0(VALU_DEP_3) | instskip(NEXT) | instid1(VALU_DEP_1)
	v_lshlrev_b64 v[4:5], 3, v[4:5]
	v_add_co_u32 v4, vcc_lo, s30, v4
	s_delay_alu instid0(VALU_DEP_2)
	v_add_co_ci_u32_e32 v5, vcc_lo, s31, v5, vcc_lo
	global_store_b64 v[4:5], v[6:7], off
.LBB89_84:
	s_or_b32 exec_lo, exec_lo, s4
	v_cmp_gt_i32_e32 vcc_lo, s10, v35
	s_and_b32 exec_lo, exec_lo, vcc_lo
	s_cbranch_execz .LBB89_89
; %bb.85:
	v_mov_b32_e32 v0, 1.0
	s_and_not1_b32 vcc_lo, exec_lo, s2
	s_cbranch_vccnz .LBB89_87
; %bb.86:
	v_div_scale_f32 v0, null, v3, v3, 1.0
	s_delay_alu instid0(VALU_DEP_1) | instskip(SKIP_2) | instid1(VALU_DEP_1)
	v_rcp_f32_e32 v2, v0
	s_waitcnt_depctr 0xfff
	v_fma_f32 v4, -v0, v2, 1.0
	v_fmac_f32_e32 v2, v4, v2
	v_div_scale_f32 v4, vcc_lo, 1.0, v3, 1.0
	s_delay_alu instid0(VALU_DEP_1) | instskip(NEXT) | instid1(VALU_DEP_1)
	v_mul_f32_e32 v5, v4, v2
	v_fma_f32 v6, -v0, v5, v4
	s_delay_alu instid0(VALU_DEP_1) | instskip(NEXT) | instid1(VALU_DEP_1)
	v_fmac_f32_e32 v5, v6, v2
	v_fma_f32 v0, -v0, v5, v4
	s_delay_alu instid0(VALU_DEP_1) | instskip(NEXT) | instid1(VALU_DEP_1)
	v_div_fmas_f32 v0, v0, v2, v5
	v_div_fixup_f32 v0, v0, v3, 1.0
.LBB89_87:
	v_cvt_f32_f16_e32 v9, v43
	v_add_nc_u32_e32 v2, s3, v34
	v_cvt_f32_f16_e32 v10, v42
	v_lshrrev_b32_e32 v6, 16, v42
	s_delay_alu instid0(VALU_DEP_3) | instskip(SKIP_1) | instid1(VALU_DEP_3)
	v_mad_u64_u32 v[4:5], null, v2, s11, s[34:35]
	v_lshrrev_b32_e32 v5, 16, v43
	v_cvt_f32_f16_e32 v6, v6
	s_delay_alu instid0(VALU_DEP_2) | instskip(NEXT) | instid1(VALU_DEP_4)
	v_cvt_f32_f16_e32 v11, v5
	v_mad_u64_u32 v[2:3], null, s1, v4, s[14:15]
	v_dual_mov_b32 v4, 0 :: v_dual_mul_f32 v5, v0, v10
	s_delay_alu instid0(VALU_DEP_4) | instskip(NEXT) | instid1(VALU_DEP_3)
	v_mul_f32_e32 v6, v0, v6
	v_lshl_add_u32 v3, v2, 7, v37
	s_delay_alu instid0(VALU_DEP_1) | instskip(SKIP_2) | instid1(VALU_DEP_3)
	v_lshlrev_b64 v[7:8], 2, v[3:4]
	v_mul_f32_e32 v3, v0, v9
	v_mul_f32_e32 v4, v0, v11
	v_add_co_u32 v7, vcc_lo, s28, v7
	s_delay_alu instid0(VALU_DEP_4)
	v_add_co_ci_u32_e32 v8, vcc_lo, s29, v8, vcc_lo
	global_store_b128 v[7:8], v[3:6], off
	s_and_b32 exec_lo, exec_lo, s0
	s_cbranch_execz .LBB89_89
; %bb.88:
	v_ashrrev_i32_e32 v3, 31, v2
	v_mov_b32_e32 v0, v17
	s_delay_alu instid0(VALU_DEP_2) | instskip(NEXT) | instid1(VALU_DEP_1)
	v_lshlrev_b64 v[2:3], 3, v[2:3]
	v_add_co_u32 v2, vcc_lo, s30, v2
	s_delay_alu instid0(VALU_DEP_2)
	v_add_co_ci_u32_e32 v3, vcc_lo, s31, v3, vcc_lo
	global_store_b64 v[2:3], v[0:1], off
	s_nop 0
	s_sendmsg sendmsg(MSG_DEALLOC_VGPRS)
	s_endpgm
.LBB89_89:
	s_nop 0
	s_sendmsg sendmsg(MSG_DEALLOC_VGPRS)
	s_endpgm
	.section	.rodata,"a",@progbits
	.p2align	6, 0x0
	.amdhsa_kernel _ZL15flash_attn_tileILi128ELi128ELi8ELi1ELb1EEvPKcS1_S1_S1_S1_PKiPfP15HIP_vector_typeIfLj2EEffffjfiS5_IjLj3EEiiiiiiiiiiiliiliiiiil
		.amdhsa_group_segment_fixed_size 12288
		.amdhsa_private_segment_fixed_size 32
		.amdhsa_kernarg_size 464
		.amdhsa_user_sgpr_count 13
		.amdhsa_user_sgpr_dispatch_ptr 0
		.amdhsa_user_sgpr_queue_ptr 0
		.amdhsa_user_sgpr_kernarg_segment_ptr 1
		.amdhsa_user_sgpr_dispatch_id 0
		.amdhsa_user_sgpr_private_segment_size 0
		.amdhsa_wavefront_size32 1
		.amdhsa_uses_dynamic_stack 0
		.amdhsa_enable_private_segment 1
		.amdhsa_system_sgpr_workgroup_id_x 1
		.amdhsa_system_sgpr_workgroup_id_y 1
		.amdhsa_system_sgpr_workgroup_id_z 1
		.amdhsa_system_sgpr_workgroup_info 0
		.amdhsa_system_vgpr_workitem_id 1
		.amdhsa_next_free_vgpr 183
		.amdhsa_next_free_sgpr 48
		.amdhsa_reserve_vcc 1
		.amdhsa_float_round_mode_32 0
		.amdhsa_float_round_mode_16_64 0
		.amdhsa_float_denorm_mode_32 3
		.amdhsa_float_denorm_mode_16_64 3
		.amdhsa_dx10_clamp 1
		.amdhsa_ieee_mode 1
		.amdhsa_fp16_overflow 0
		.amdhsa_workgroup_processor_mode 1
		.amdhsa_memory_ordered 1
		.amdhsa_forward_progress 0
		.amdhsa_shared_vgpr_count 0
		.amdhsa_exception_fp_ieee_invalid_op 0
		.amdhsa_exception_fp_denorm_src 0
		.amdhsa_exception_fp_ieee_div_zero 0
		.amdhsa_exception_fp_ieee_overflow 0
		.amdhsa_exception_fp_ieee_underflow 0
		.amdhsa_exception_fp_ieee_inexact 0
		.amdhsa_exception_int_div_zero 0
	.end_amdhsa_kernel
	.section	.text._ZL15flash_attn_tileILi128ELi128ELi8ELi1ELb1EEvPKcS1_S1_S1_S1_PKiPfP15HIP_vector_typeIfLj2EEffffjfiS5_IjLj3EEiiiiiiiiiiiliiliiiiil,"axG",@progbits,_ZL15flash_attn_tileILi128ELi128ELi8ELi1ELb1EEvPKcS1_S1_S1_S1_PKiPfP15HIP_vector_typeIfLj2EEffffjfiS5_IjLj3EEiiiiiiiiiiiliiliiiiil,comdat
.Lfunc_end89:
	.size	_ZL15flash_attn_tileILi128ELi128ELi8ELi1ELb1EEvPKcS1_S1_S1_S1_PKiPfP15HIP_vector_typeIfLj2EEffffjfiS5_IjLj3EEiiiiiiiiiiiliiliiiiil, .Lfunc_end89-_ZL15flash_attn_tileILi128ELi128ELi8ELi1ELb1EEvPKcS1_S1_S1_S1_PKiPfP15HIP_vector_typeIfLj2EEffffjfiS5_IjLj3EEiiiiiiiiiiiliiliiiiil
                                        ; -- End function
	.section	.AMDGPU.csdata,"",@progbits
; Kernel info:
; codeLenInByte = 29928
; NumSgprs: 50
; NumVgprs: 183
; ScratchSize: 32
; MemoryBound: 0
; FloatMode: 240
; IeeeMode: 1
; LDSByteSize: 12288 bytes/workgroup (compile time only)
; SGPRBlocks: 6
; VGPRBlocks: 22
; NumSGPRsForWavesPerEU: 50
; NumVGPRsForWavesPerEU: 183
; Occupancy: 8
; WaveLimiterHint : 1
; COMPUTE_PGM_RSRC2:SCRATCH_EN: 1
; COMPUTE_PGM_RSRC2:USER_SGPR: 13
; COMPUTE_PGM_RSRC2:TRAP_HANDLER: 0
; COMPUTE_PGM_RSRC2:TGID_X_EN: 1
; COMPUTE_PGM_RSRC2:TGID_Y_EN: 1
; COMPUTE_PGM_RSRC2:TGID_Z_EN: 1
; COMPUTE_PGM_RSRC2:TIDIG_COMP_CNT: 1
	.section	.text._ZL15flash_attn_tileILi128ELi128ELi4ELi1ELb1EEvPKcS1_S1_S1_S1_PKiPfP15HIP_vector_typeIfLj2EEffffjfiS5_IjLj3EEiiiiiiiiiiiliiliiiiil,"axG",@progbits,_ZL15flash_attn_tileILi128ELi128ELi4ELi1ELb1EEvPKcS1_S1_S1_S1_PKiPfP15HIP_vector_typeIfLj2EEffffjfiS5_IjLj3EEiiiiiiiiiiiliiliiiiil,comdat
	.globl	_ZL15flash_attn_tileILi128ELi128ELi4ELi1ELb1EEvPKcS1_S1_S1_S1_PKiPfP15HIP_vector_typeIfLj2EEffffjfiS5_IjLj3EEiiiiiiiiiiiliiliiiiil ; -- Begin function _ZL15flash_attn_tileILi128ELi128ELi4ELi1ELb1EEvPKcS1_S1_S1_S1_PKiPfP15HIP_vector_typeIfLj2EEffffjfiS5_IjLj3EEiiiiiiiiiiiliiliiiiil
	.p2align	8
	.type	_ZL15flash_attn_tileILi128ELi128ELi4ELi1ELb1EEvPKcS1_S1_S1_S1_PKiPfP15HIP_vector_typeIfLj2EEffffjfiS5_IjLj3EEiiiiiiiiiiiliiliiiiil,@function
_ZL15flash_attn_tileILi128ELi128ELi4ELi1ELb1EEvPKcS1_S1_S1_S1_PKiPfP15HIP_vector_typeIfLj2EEffffjfiS5_IjLj3EEiiiiiiiiiiiliiliiiiil: ; @_ZL15flash_attn_tileILi128ELi128ELi4ELi1ELb1EEvPKcS1_S1_S1_S1_PKiPfP15HIP_vector_typeIfLj2EEffffjfiS5_IjLj3EEiiiiiiiiiiiliiliiiiil
; %bb.0:
	s_clause 0x3
	s_load_b128 s[8:11], s[0:1], 0x5c
	s_load_b64 s[42:43], s[0:1], 0x80
	s_load_b512 s[16:31], s[0:1], 0x0
	s_load_b64 s[44:45], s[0:1], 0xb8
	s_mov_b64 s[40:41], 0
	s_waitcnt lgkmcnt(0)
	v_cvt_f32_u32_e32 v1, s11
	s_sub_i32 s3, 0, s11
	s_delay_alu instid0(VALU_DEP_1) | instskip(SKIP_2) | instid1(VALU_DEP_1)
	v_rcp_iflag_f32_e32 v1, v1
	s_waitcnt_depctr 0xfff
	v_mul_f32_e32 v1, 0x4f7ffffe, v1
	v_cvt_u32_f32_e32 v1, v1
	s_delay_alu instid0(VALU_DEP_1) | instskip(NEXT) | instid1(VALU_DEP_1)
	v_readfirstlane_b32 s2, v1
	s_mul_i32 s3, s3, s2
	s_delay_alu instid0(SALU_CYCLE_1) | instskip(NEXT) | instid1(SALU_CYCLE_1)
	s_mul_hi_u32 s3, s2, s3
	s_add_i32 s2, s2, s3
	s_delay_alu instid0(SALU_CYCLE_1) | instskip(NEXT) | instid1(SALU_CYCLE_1)
	s_mul_hi_u32 s2, s15, s2
	s_mul_i32 s3, s2, s11
	s_add_i32 s4, s2, 1
	s_sub_i32 s3, s15, s3
	s_delay_alu instid0(SALU_CYCLE_1)
	s_sub_i32 s5, s3, s11
	s_cmp_ge_u32 s3, s11
	s_cselect_b32 s2, s4, s2
	s_cselect_b32 s3, s5, s3
	s_add_i32 s4, s2, 1
	s_cmp_ge_u32 s3, s11
	s_cselect_b32 s12, s4, s2
	s_abs_i32 s2, s43
	s_abs_i32 s6, s11
	v_cvt_f32_u32_e32 v1, s2
	s_sub_i32 s4, 0, s2
	s_mul_i32 s5, s12, s11
	s_delay_alu instid0(SALU_CYCLE_1) | instskip(NEXT) | instid1(VALU_DEP_1)
	s_sub_i32 s34, s15, s5
	v_rcp_iflag_f32_e32 v1, v1
	s_waitcnt_depctr 0xfff
	v_mul_f32_e32 v1, 0x4f7ffffe, v1
	s_delay_alu instid0(VALU_DEP_1) | instskip(NEXT) | instid1(VALU_DEP_1)
	v_cvt_u32_f32_e32 v1, v1
	v_readfirstlane_b32 s3, v1
	s_delay_alu instid0(VALU_DEP_1) | instskip(NEXT) | instid1(SALU_CYCLE_1)
	s_mul_i32 s4, s4, s3
	s_mul_hi_u32 s4, s3, s4
	s_delay_alu instid0(SALU_CYCLE_1) | instskip(SKIP_4) | instid1(SALU_CYCLE_1)
	s_add_i32 s3, s3, s4
	s_xor_b32 s4, s11, s43
	s_mul_hi_u32 s3, s6, s3
	s_ashr_i32 s4, s4, 31
	s_mul_i32 s5, s3, s2
	s_sub_i32 s5, s6, s5
	s_add_i32 s6, s3, 1
	s_sub_i32 s7, s5, s2
	s_cmp_ge_u32 s5, s2
	s_cselect_b32 s3, s6, s3
	s_cselect_b32 s5, s7, s5
	s_add_i32 s6, s3, 1
	s_cmp_ge_u32 s5, s2
	s_cselect_b32 s2, s6, s3
	s_abs_i32 s33, s34
	s_xor_b32 s2, s2, s4
	s_delay_alu instid0(SALU_CYCLE_1) | instskip(NEXT) | instid1(SALU_CYCLE_1)
	s_sub_i32 s5, s2, s4
	s_abs_i32 s15, s5
	s_delay_alu instid0(SALU_CYCLE_1) | instskip(SKIP_1) | instid1(VALU_DEP_1)
	v_cvt_f32_u32_e32 v1, s15
	s_sub_i32 s3, 0, s15
	v_rcp_iflag_f32_e32 v1, v1
	s_waitcnt_depctr 0xfff
	v_mul_f32_e32 v1, 0x4f7ffffe, v1
	s_delay_alu instid0(VALU_DEP_1) | instskip(NEXT) | instid1(VALU_DEP_1)
	v_cvt_u32_f32_e32 v1, v1
	v_readfirstlane_b32 s2, v1
	s_delay_alu instid0(VALU_DEP_1) | instskip(NEXT) | instid1(SALU_CYCLE_1)
	s_mul_i32 s3, s3, s2
	s_mul_hi_u32 s3, s2, s3
	s_delay_alu instid0(SALU_CYCLE_1)
	s_add_i32 s2, s2, s3
	s_cmp_eq_u64 s[22:23], 0
	s_cbranch_scc1 .LBB90_2
; %bb.1:
	s_abs_i32 s3, s44
	s_abs_i32 s35, s12
	v_cvt_f32_u32_e32 v1, s3
	s_sub_i32 s6, 0, s3
	s_delay_alu instid0(VALU_DEP_1) | instskip(SKIP_2) | instid1(VALU_DEP_1)
	v_rcp_iflag_f32_e32 v1, v1
	s_waitcnt_depctr 0xfff
	v_mul_f32_e32 v1, 0x4f7ffffe, v1
	v_cvt_u32_f32_e32 v1, v1
	s_delay_alu instid0(VALU_DEP_1) | instskip(NEXT) | instid1(VALU_DEP_1)
	v_readfirstlane_b32 s4, v1
	s_mul_i32 s6, s6, s4
	s_delay_alu instid0(SALU_CYCLE_1) | instskip(NEXT) | instid1(SALU_CYCLE_1)
	s_mul_hi_u32 s6, s4, s6
	s_add_i32 s4, s4, s6
	s_load_b64 s[6:7], s[0:1], 0xc8
	s_mul_hi_u32 s4, s35, s4
	s_delay_alu instid0(SALU_CYCLE_1) | instskip(NEXT) | instid1(SALU_CYCLE_1)
	s_mul_i32 s4, s4, s3
	s_sub_i32 s4, s35, s4
	s_ashr_i32 s35, s12, 31
	s_sub_i32 s36, s4, s3
	s_cmp_ge_u32 s4, s3
	s_cselect_b32 s4, s36, s4
	s_delay_alu instid0(SALU_CYCLE_1) | instskip(SKIP_2) | instid1(SALU_CYCLE_1)
	s_sub_i32 s36, s4, s3
	s_cmp_ge_u32 s4, s3
	s_cselect_b32 s3, s36, s4
	s_xor_b32 s3, s3, s35
	s_delay_alu instid0(SALU_CYCLE_1)
	s_sub_i32 s3, s3, s35
	s_waitcnt lgkmcnt(0)
	s_mul_i32 s4, s3, s7
	s_mul_hi_u32 s7, s3, s6
	s_ashr_i32 s35, s3, 31
	s_add_i32 s4, s7, s4
	s_mul_i32 s35, s35, s6
	s_mul_i32 s3, s3, s6
	s_add_i32 s4, s4, s35
	s_add_u32 s40, s22, s3
	s_addc_u32 s41, s23, s4
.LBB90_2:
	s_clause 0x1
	s_load_b128 s[36:39], s[0:1], 0x40
	s_load_b64 s[22:23], s[0:1], 0x50
	v_mov_b32_e32 v29, 1.0
	s_waitcnt lgkmcnt(0)
	v_cmp_le_f32_e64 s3, s37, 0
	s_mul_hi_u32 s37, s33, s2
	s_delay_alu instid0(VALU_DEP_1)
	s_and_b32 vcc_lo, exec_lo, s3
	s_cbranch_vccnz .LBB90_4
; %bb.3:
	s_sub_i32 s2, s34, s22
	s_add_i32 s3, s34, 1
	s_lshl_b32 s2, s2, 1
	v_mov_b32_e32 v1, s38
	s_or_b32 s2, s2, 1
	s_cmp_lt_u32 s34, s22
	s_cselect_b32 vcc_lo, -1, 0
	s_delay_alu instid0(VALU_DEP_1)
	v_cndmask_b32_e32 v3, s39, v1, vcc_lo
	s_and_b32 s4, vcc_lo, exec_lo
	s_cselect_b32 s2, s3, s2
	s_mov_b32 s3, 0x3e76c4e1
	v_cvt_f32_i32_e32 v1, s2
	v_cmp_neq_f32_e32 vcc_lo, 1.0, v3
	s_delay_alu instid0(VALU_DEP_2) | instskip(NEXT) | instid1(VALU_DEP_1)
	v_cndmask_b32_e32 v4, 1.0, v1, vcc_lo
	v_cmp_eq_f32_e32 vcc_lo, 0, v4
	v_cndmask_b32_e64 v5, |v3|, 1.0, vcc_lo
	s_delay_alu instid0(VALU_DEP_1) | instskip(NEXT) | instid1(VALU_DEP_1)
	v_frexp_mant_f32_e32 v1, v5
	v_cmp_gt_f32_e64 s2, 0x3f2aaaab, v1
	s_delay_alu instid0(VALU_DEP_1) | instskip(NEXT) | instid1(VALU_DEP_1)
	v_cndmask_b32_e64 v2, 1.0, 2.0, s2
	v_mul_f32_e32 v1, v1, v2
	s_delay_alu instid0(VALU_DEP_1) | instskip(SKIP_1) | instid1(VALU_DEP_2)
	v_add_f32_e32 v2, 1.0, v1
	v_add_f32_e32 v7, -1.0, v1
	v_rcp_f32_e32 v6, v2
	s_waitcnt_depctr 0xfff
	v_mul_f32_e32 v8, v7, v6
	s_delay_alu instid0(VALU_DEP_1) | instskip(NEXT) | instid1(VALU_DEP_1)
	v_dual_add_f32 v9, -1.0, v2 :: v_dual_mul_f32 v10, v2, v8
	v_sub_f32_e32 v1, v1, v9
	v_cndmask_b32_e64 v3, v3, 1.0, vcc_lo
	s_delay_alu instid0(VALU_DEP_3) | instskip(NEXT) | instid1(VALU_DEP_2)
	v_fma_f32 v2, v8, v2, -v10
	v_cmp_eq_f32_e64 s4, 0, v3
	s_delay_alu instid0(VALU_DEP_2) | instskip(NEXT) | instid1(VALU_DEP_1)
	v_fmac_f32_e32 v2, v8, v1
	v_add_f32_e32 v1, v10, v2
	s_delay_alu instid0(VALU_DEP_1) | instskip(NEXT) | instid1(VALU_DEP_1)
	v_dual_sub_f32 v10, v1, v10 :: v_dual_sub_f32 v9, v7, v1
	v_dual_sub_f32 v2, v10, v2 :: v_dual_sub_f32 v7, v7, v9
	s_delay_alu instid0(VALU_DEP_1) | instskip(NEXT) | instid1(VALU_DEP_1)
	v_sub_f32_e32 v1, v7, v1
	v_add_f32_e32 v1, v2, v1
	s_delay_alu instid0(VALU_DEP_1) | instskip(NEXT) | instid1(VALU_DEP_1)
	v_add_f32_e32 v1, v9, v1
	v_mul_f32_e32 v1, v6, v1
	s_delay_alu instid0(VALU_DEP_1) | instskip(NEXT) | instid1(VALU_DEP_1)
	v_add_f32_e32 v6, v8, v1
	v_sub_f32_e32 v2, v6, v8
	v_mul_f32_e32 v7, v6, v6
	s_delay_alu instid0(VALU_DEP_2) | instskip(NEXT) | instid1(VALU_DEP_2)
	v_sub_f32_e32 v8, v1, v2
	v_fma_f32 v9, v6, v6, -v7
	s_delay_alu instid0(VALU_DEP_2) | instskip(NEXT) | instid1(VALU_DEP_1)
	v_add_f32_e32 v1, v8, v8
	v_fmac_f32_e32 v9, v6, v1
	v_cvt_f64_f32_e32 v[1:2], v5
	s_delay_alu instid0(VALU_DEP_2) | instskip(NEXT) | instid1(VALU_DEP_1)
	v_add_f32_e32 v10, v7, v9
	v_fmaak_f32 v11, s3, v10, 0x3e91f4c4
	v_sub_f32_e32 v7, v10, v7
	v_mul_f32_e32 v14, v6, v10
	s_delay_alu instid0(VALU_DEP_3) | instskip(NEXT) | instid1(VALU_DEP_3)
	v_fmaak_f32 v11, v10, v11, 0x3ecccdef
	v_sub_f32_e32 v7, v9, v7
	s_delay_alu instid0(VALU_DEP_2) | instskip(NEXT) | instid1(VALU_DEP_1)
	v_mul_f32_e32 v12, v10, v11
	v_fma_f32 v9, v10, v11, -v12
	s_delay_alu instid0(VALU_DEP_1) | instskip(NEXT) | instid1(VALU_DEP_1)
	v_fmac_f32_e32 v9, v7, v11
	v_add_f32_e32 v11, v12, v9
	v_frexp_exp_i32_f64_e32 v1, v[1:2]
	s_delay_alu instid0(VALU_DEP_2) | instskip(NEXT) | instid1(VALU_DEP_1)
	v_sub_f32_e32 v12, v11, v12
	v_sub_f32_e32 v2, v9, v12
	v_fma_f32 v12, v10, v6, -v14
	s_delay_alu instid0(VALU_DEP_2) | instskip(NEXT) | instid1(VALU_DEP_2)
	v_add_f32_e32 v2, 0x31739010, v2
	v_dual_add_f32 v13, 0x3f2aaaaa, v11 :: v_dual_fmac_f32 v12, v10, v8
	v_ldexp_f32 v8, v8, 1
	s_delay_alu instid0(VALU_DEP_2) | instskip(NEXT) | instid1(VALU_DEP_1)
	v_dual_add_f32 v9, 0xbf2aaaaa, v13 :: v_dual_fmac_f32 v12, v7, v6
	v_sub_f32_e32 v9, v11, v9
	s_delay_alu instid0(VALU_DEP_1) | instskip(NEXT) | instid1(VALU_DEP_3)
	v_add_f32_e32 v2, v2, v9
	v_add_f32_e32 v9, v14, v12
	s_delay_alu instid0(VALU_DEP_2) | instskip(NEXT) | instid1(VALU_DEP_1)
	v_add_f32_e32 v7, v13, v2
	v_sub_f32_e32 v10, v13, v7
	s_delay_alu instid0(VALU_DEP_3) | instskip(SKIP_2) | instid1(VALU_DEP_4)
	v_mul_f32_e32 v11, v9, v7
	v_sub_f32_e32 v13, v9, v14
	v_subrev_co_ci_u32_e64 v1, s2, 0, v1, s2
	v_add_f32_e32 v2, v2, v10
	s_delay_alu instid0(VALU_DEP_4) | instskip(NEXT) | instid1(VALU_DEP_4)
	v_fma_f32 v10, v9, v7, -v11
	v_sub_f32_e32 v12, v12, v13
	s_delay_alu instid0(VALU_DEP_4) | instskip(NEXT) | instid1(VALU_DEP_3)
	v_cvt_f32_i32_e32 v1, v1
	v_fmac_f32_e32 v10, v9, v2
	v_ldexp_f32 v2, v6, 1
	s_delay_alu instid0(VALU_DEP_2) | instskip(NEXT) | instid1(VALU_DEP_1)
	v_fmac_f32_e32 v10, v12, v7
	v_add_f32_e32 v6, v11, v10
	s_delay_alu instid0(VALU_DEP_1) | instskip(NEXT) | instid1(VALU_DEP_1)
	v_add_f32_e32 v7, v2, v6
	v_dual_sub_f32 v2, v7, v2 :: v_dual_sub_f32 v9, v6, v11
	s_delay_alu instid0(VALU_DEP_1) | instskip(NEXT) | instid1(VALU_DEP_2)
	v_sub_f32_e32 v2, v6, v2
	v_sub_f32_e32 v9, v10, v9
	s_delay_alu instid0(VALU_DEP_1) | instskip(NEXT) | instid1(VALU_DEP_1)
	v_add_f32_e32 v6, v8, v9
	v_dual_mul_f32 v11, 0x3f317218, v1 :: v_dual_add_f32 v2, v6, v2
	s_delay_alu instid0(VALU_DEP_1) | instskip(NEXT) | instid1(VALU_DEP_2)
	v_fma_f32 v10, 0x3f317218, v1, -v11
	v_add_f32_e32 v8, v7, v2
	s_delay_alu instid0(VALU_DEP_1) | instskip(NEXT) | instid1(VALU_DEP_1)
	v_sub_f32_e32 v7, v8, v7
	v_dual_fmamk_f32 v1, v1, 0xb102e308, v10 :: v_dual_sub_f32 v2, v2, v7
	s_delay_alu instid0(VALU_DEP_1) | instskip(NEXT) | instid1(VALU_DEP_1)
	v_add_f32_e32 v6, v11, v1
	v_add_f32_e32 v9, v6, v8
	s_delay_alu instid0(VALU_DEP_1) | instskip(NEXT) | instid1(VALU_DEP_1)
	v_dual_sub_f32 v11, v6, v11 :: v_dual_sub_f32 v10, v9, v6
	v_sub_f32_e32 v12, v9, v10
	s_delay_alu instid0(VALU_DEP_2) | instskip(NEXT) | instid1(VALU_DEP_2)
	v_sub_f32_e32 v1, v1, v11
	v_dual_sub_f32 v7, v8, v10 :: v_dual_sub_f32 v6, v6, v12
	s_delay_alu instid0(VALU_DEP_2) | instskip(NEXT) | instid1(VALU_DEP_2)
	v_add_f32_e32 v8, v1, v2
	v_add_f32_e32 v6, v7, v6
	s_delay_alu instid0(VALU_DEP_1) | instskip(NEXT) | instid1(VALU_DEP_1)
	v_add_f32_e32 v6, v8, v6
	v_dual_sub_f32 v7, v8, v1 :: v_dual_add_f32 v10, v9, v6
	s_delay_alu instid0(VALU_DEP_1) | instskip(SKIP_1) | instid1(VALU_DEP_3)
	v_sub_f32_e32 v8, v8, v7
	v_sub_f32_e32 v2, v2, v7
	v_sub_f32_e32 v7, v10, v9
	s_delay_alu instid0(VALU_DEP_3) | instskip(NEXT) | instid1(VALU_DEP_1)
	v_sub_f32_e32 v1, v1, v8
	v_add_f32_e32 v1, v2, v1
	s_delay_alu instid0(VALU_DEP_3) | instskip(NEXT) | instid1(VALU_DEP_1)
	v_sub_f32_e32 v2, v6, v7
	v_add_f32_e32 v1, v1, v2
	s_delay_alu instid0(VALU_DEP_1) | instskip(NEXT) | instid1(VALU_DEP_1)
	v_add_f32_e32 v2, v10, v1
	v_mul_f32_e32 v7, v4, v2
	v_sub_f32_e32 v6, v2, v10
	s_delay_alu instid0(VALU_DEP_2) | instskip(NEXT) | instid1(VALU_DEP_2)
	v_fma_f32 v2, v4, v2, -v7
	v_sub_f32_e32 v1, v1, v6
	v_cmp_class_f32_e64 s2, v7, 0x204
	s_delay_alu instid0(VALU_DEP_2) | instskip(NEXT) | instid1(VALU_DEP_1)
	v_fmac_f32_e32 v2, v4, v1
	v_add_f32_e32 v1, v7, v2
	s_delay_alu instid0(VALU_DEP_1) | instskip(NEXT) | instid1(VALU_DEP_1)
	v_cndmask_b32_e64 v6, v1, v7, s2
	v_cmp_eq_f32_e64 s2, 0x42b17218, v6
	s_delay_alu instid0(VALU_DEP_1) | instskip(SKIP_1) | instid1(VALU_DEP_2)
	v_cndmask_b32_e64 v8, 0, 0x37000000, s2
	v_cmp_neq_f32_e64 s2, 0x7f800000, |v6|
	v_sub_f32_e32 v9, v6, v8
	v_trunc_f32_e32 v6, v4
	s_delay_alu instid0(VALU_DEP_2) | instskip(NEXT) | instid1(VALU_DEP_1)
	v_mul_f32_e32 v10, 0x3fb8aa3b, v9
	v_fma_f32 v11, 0x3fb8aa3b, v9, -v10
	v_rndne_f32_e32 v12, v10
	s_delay_alu instid0(VALU_DEP_1) | instskip(NEXT) | instid1(VALU_DEP_1)
	v_dual_fmamk_f32 v11, v9, 0x32a5705f, v11 :: v_dual_sub_f32 v10, v10, v12
	v_add_f32_e32 v10, v10, v11
	v_sub_f32_e32 v1, v1, v7
	v_cvt_i32_f32_e32 v7, v12
	s_delay_alu instid0(VALU_DEP_3) | instskip(NEXT) | instid1(VALU_DEP_2)
	v_exp_f32_e32 v10, v10
	v_sub_f32_e32 v1, v2, v1
	s_delay_alu instid0(VALU_DEP_1)
	v_cndmask_b32_e64 v1, 0, v1, s2
	v_cmp_ngt_f32_e64 s2, 0xc2ce8ed0, v9
	s_waitcnt_depctr 0xfff
	v_ldexp_f32 v2, v10, v7
	v_mul_f32_e32 v7, 0.5, v4
	v_add_f32_e32 v1, v8, v1
	s_delay_alu instid0(VALU_DEP_3) | instskip(NEXT) | instid1(VALU_DEP_3)
	v_cndmask_b32_e64 v2, 0, v2, s2
	v_trunc_f32_e32 v10, v7
	v_cmp_nlt_f32_e64 s2, 0x42b17218, v9
	s_delay_alu instid0(VALU_DEP_2) | instskip(NEXT) | instid1(VALU_DEP_2)
	v_cmp_neq_f32_e64 s3, v10, v7
	v_cndmask_b32_e64 v2, 0x7f800000, v2, s2
	v_cmp_eq_f32_e64 s2, v6, v4
	s_delay_alu instid0(VALU_DEP_2) | instskip(NEXT) | instid1(VALU_DEP_2)
	v_fma_f32 v1, v2, v1, v2
	s_and_b32 vcc_lo, s2, s3
	v_cmp_class_f32_e64 s3, v2, 0x204
	v_cndmask_b32_e32 v6, 1.0, v3, vcc_lo
	s_delay_alu instid0(VALU_DEP_2) | instskip(SKIP_1) | instid1(VALU_DEP_2)
	v_cndmask_b32_e64 v1, v1, v2, s3
	v_cmp_gt_f32_e64 s3, 0, v4
	v_bfi_b32 v1, 0x7fffffff, v1, v6
	v_cndmask_b32_e32 v6, 0, v3, vcc_lo
	s_delay_alu instid0(VALU_DEP_3)
	s_xor_b32 s3, s3, s4
	v_cmp_eq_f32_e32 vcc_lo, 0x7f800000, v5
	v_cndmask_b32_e64 v2, 0x7f800000, 0, s3
	v_cndmask_b32_e64 v4, 0x7fc00000, v1, s2
	v_cmp_gt_f32_e64 s2, 0, v3
	s_or_b32 vcc_lo, vcc_lo, s4
	s_delay_alu instid0(VALU_DEP_3) | instskip(NEXT) | instid1(VALU_DEP_2)
	v_bfi_b32 v2, 0x7fffffff, v2, v6
	v_cndmask_b32_e64 v1, v1, v4, s2
	s_delay_alu instid0(VALU_DEP_1) | instskip(SKIP_1) | instid1(VALU_DEP_2)
	v_cndmask_b32_e32 v1, v1, v2, vcc_lo
	v_cmp_o_f32_e32 vcc_lo, v3, v3
	v_cndmask_b32_e32 v29, 0x7fc00000, v1, vcc_lo
.LBB90_4:
	v_bfe_u32 v28, v0, 10, 10
	s_load_b128 s[48:51], s[0:1], 0x70
	s_ashr_i32 s35, s34, 31
	s_ashr_i32 s2, s5, 31
	v_mov_b32_e32 v20, 0
	v_lshl_add_u32 v4, s13, 2, v28
	s_delay_alu instid0(VALU_DEP_1) | instskip(NEXT) | instid1(VALU_DEP_1)
	v_mul_hi_u32 v1, s8, v4
	v_add_nc_u32_e32 v1, v4, v1
	s_waitcnt lgkmcnt(0)
	s_mul_i32 s3, s12, s50
	s_mul_i32 s4, s34, s49
	s_delay_alu instid0(VALU_DEP_1)
	v_lshrrev_b32_e32 v1, s9, v1
	s_ashr_i32 s5, s3, 31
	s_add_u32 s3, s16, s3
	s_addc_u32 s5, s17, s5
	s_ashr_i32 s6, s4, 31
	v_mul_lo_u32 v1, v1, s10
	s_add_u32 s3, s3, s4
	s_addc_u32 s4, s5, s6
	s_ashr_i32 s5, s48, 31
	s_delay_alu instid0(SALU_CYCLE_1) | instskip(SKIP_2) | instid1(VALU_DEP_2)
	v_alignbit_b32 v3, s5, s48, 2
	s_lshr_b32 s5, s5, 2
	s_cmp_eq_u64 s[26:27], 0
	v_sub_nc_u32_e32 v32, v4, v1
	s_delay_alu instid0(VALU_DEP_1) | instskip(NEXT) | instid1(VALU_DEP_1)
	v_mad_u64_u32 v[1:2], null, v3, v32, 0
	v_mad_u64_u32 v[5:6], null, s5, v32, v[2:3]
	v_and_b32_e32 v3, 0x3ff, v0
	s_delay_alu instid0(VALU_DEP_1) | instskip(NEXT) | instid1(VALU_DEP_1)
	v_dual_mov_b32 v2, v5 :: v_dual_lshlrev_b32 v27, 1, v3
	v_lshlrev_b64 v[0:1], 2, v[1:2]
	v_lshlrev_b32_e32 v2, 4, v3
	s_delay_alu instid0(VALU_DEP_2) | instskip(NEXT) | instid1(VALU_DEP_3)
	v_add_co_u32 v0, vcc_lo, s3, v0
	v_add_co_ci_u32_e32 v1, vcc_lo, s4, v1, vcc_lo
	s_delay_alu instid0(VALU_DEP_2) | instskip(NEXT) | instid1(VALU_DEP_2)
	v_add_co_u32 v0, vcc_lo, v0, v2
	v_add_co_ci_u32_e32 v1, vcc_lo, 0, v1, vcc_lo
	v_lshlrev_b32_e32 v2, 6, v28
	global_load_b128 v[5:8], v[0:1], off
	v_add_lshl_u32 v2, v2, v27, 2
	s_waitcnt vmcnt(0)
	v_fma_mixlo_f16 v1, v7, s36, 0
	v_fma_mixlo_f16 v0, v5, s36, 0
	s_delay_alu instid0(VALU_DEP_2) | instskip(NEXT) | instid1(VALU_DEP_2)
	v_fma_mixhi_f16 v1, v8, s36, 0
	v_fma_mixhi_f16 v0, v6, s36, 0
	ds_store_b64 v2, v[0:1] offset:9216
	s_waitcnt lgkmcnt(0)
	s_barrier
	buffer_gl0_inv
	s_cbranch_scc1 .LBB90_6
; %bb.5:
	s_load_b32 s3, s[0:1], 0xd0
	s_mov_b32 s5, 0
	s_waitcnt lgkmcnt(0)
	s_mul_i32 s3, s3, s12
	s_delay_alu instid0(SALU_CYCLE_1) | instskip(NEXT) | instid1(SALU_CYCLE_1)
	s_add_i32 s4, s3, s13
	s_lshl_b64 s[4:5], s[4:5], 2
	s_delay_alu instid0(SALU_CYCLE_1)
	s_add_u32 s4, s26, s4
	s_addc_u32 s5, s27, s5
	s_load_b32 s42, s[4:5], 0x0
.LBB90_6:
	s_clause 0x1
	s_load_b64 s[26:27], s[0:1], 0x8c
	s_load_b128 s[4:7], s[0:1], 0x98
	s_ashr_i32 s3, s12, 31
	s_load_b64 s[38:39], s[0:1], 0xa8
	s_ashr_i32 s16, s45, 1
	s_mul_i32 s8, s37, s15
	v_dual_mov_b32 v5, 0xfeffffff :: v_dual_lshlrev_b32 v22, 2, v3
	v_mov_b32_e32 v26, 0
	v_lshrrev_b32_e32 v34, 3, v3
	v_mul_u32_u24_e32 v33, 0x90, v3
	s_delay_alu instid0(VALU_DEP_4)
	v_and_b32_e32 v35, 28, v22
	v_lshrrev_b32_e32 v30, 4, v3
	v_and_b32_e32 v31, 60, v22
	v_lshlrev_b32_e32 v24, 3, v3
	v_mbcnt_lo_u32_b32 v23, -1, 0
	s_waitcnt lgkmcnt(0)
	s_ashr_i32 s17, s26, 2
	s_ashr_i32 s9, s6, 2
	s_mul_i32 s5, s12, s5
	s_mul_hi_u32 s6, s12, s4
	s_mul_i32 s13, s3, s4
	s_add_i32 s5, s6, s5
	s_mul_i32 s4, s12, s4
	s_add_i32 s5, s5, s13
	s_add_u32 s4, s18, s4
	s_addc_u32 s5, s19, s5
	s_sub_i32 s6, s33, s8
	s_xor_b32 s2, s35, s2
	s_add_i32 s8, s37, 1
	s_sub_i32 s13, s6, s15
	s_cmp_ge_u32 s6, s15
	s_mul_i32 s3, s3, s38
	s_cselect_b32 s8, s8, s37
	s_cselect_b32 s6, s13, s6
	s_add_i32 s13, s8, 1
	s_cmp_ge_u32 s6, s15
	s_mul_i32 s15, s12, s38
	s_cselect_b32 s6, s13, s8
	s_mul_i32 s8, s12, s39
	s_xor_b32 s6, s6, s2
	s_mul_hi_u32 s13, s12, s38
	s_sub_i32 s2, s6, s2
	s_delay_alu instid0(SALU_CYCLE_1)
	s_mul_i32 s6, s2, s27
	s_mul_i32 s2, s2, s7
	s_ashr_i32 s18, s6, 31
	s_add_u32 s4, s4, s6
	s_addc_u32 s5, s5, s18
	s_add_i32 s6, s13, s8
	s_delay_alu instid0(SALU_CYCLE_1)
	s_add_i32 s6, s6, s3
	s_add_u32 s3, s20, s15
	s_addc_u32 s6, s21, s6
	s_ashr_i32 s7, s2, 31
	s_add_u32 s13, s3, s2
	s_addc_u32 s15, s6, s7
	s_lshl_b32 s8, s14, 6
	s_sub_i32 s6, s42, 64
	s_delay_alu instid0(SALU_CYCLE_1)
	s_cmp_ge_i32 s8, s6
	s_cbranch_scc1 .LBB90_23
; %bb.7:
	v_lshl_add_u32 v2, v28, 2, v34
	v_lshl_add_u32 v8, v28, 1, v30
	s_lshl_b32 s2, s17, 4
	s_cmp_lg_u64 s[40:41], 0
	v_mad_u64_u32 v[0:1], null, v32, s16, v[3:4]
	v_mul_lo_u32 v5, s17, v2
	v_mul_lo_u32 v12, s9, v8
	s_cselect_b32 s7, -1, 0
	s_lshl_b32 s3, s9, 3
	v_dual_mov_b32 v25, 0 :: v_dual_lshlrev_b32 v6, 2, v35
	v_dual_mov_b32 v26, 0 :: v_dual_lshlrev_b32 v1, 2, v31
	s_delay_alu instid0(VALU_DEP_4) | instskip(NEXT) | instid1(VALU_DEP_4)
	v_dual_mov_b32 v50, 0 :: v_dual_add_nc_u32 v7, s2, v5
	v_dual_mov_b32 v51, 0xfeffffff :: v_dual_add_nc_u32 v14, s3, v12
	s_delay_alu instid0(VALU_DEP_4) | instskip(NEXT) | instid1(VALU_DEP_3)
	v_mad_u32_u24 v38, 0x90, v2, v6
	v_add_nc_u32_e32 v9, s2, v7
	v_lshl_or_b32 v39, v8, 8, v1
	s_delay_alu instid0(VALU_DEP_4)
	v_add_nc_u32_e32 v18, s3, v14
	v_ashrrev_i32_e32 v6, 31, v5
	v_ashrrev_i32_e32 v8, 31, v7
	v_add_nc_u32_e32 v16, s2, v9
	v_ashrrev_i32_e32 v10, 31, v9
	v_add_nc_u32_e32 v20, s3, v18
	v_ashrrev_i32_e32 v13, 31, v12
	v_ashrrev_i32_e32 v15, 31, v14
	v_ashrrev_i32_e32 v17, 31, v16
	v_ashrrev_i32_e32 v19, 31, v18
	v_ashrrev_i32_e32 v21, 31, v20
	v_lshl_add_u32 v37, v28, 7, 0x2800
	v_lshlrev_b64 v[1:2], 2, v[5:6]
	v_lshlrev_b64 v[6:7], 2, v[7:8]
	;; [unrolled: 1-line block ×8, first 2 shown]
	v_lshl_add_u32 v36, v28, 8, 0x2400
	v_add_nc_u32_e32 v40, 0x900, v38
	v_add_nc_u32_e32 v41, 0x1200, v38
	;; [unrolled: 1-line block ×3, first 2 shown]
	v_lshl_add_u32 v43, v3, 1, v37
	v_add_nc_u32_e32 v44, 0x800, v39
	v_add_nc_u32_e32 v45, 0x1000, v39
	;; [unrolled: 1-line block ×3, first 2 shown]
	s_add_u32 s2, s0, 0xd0
	v_lshlrev_b32_e32 v47, 2, v35
	v_lshlrev_b32_e32 v48, 2, v31
	v_mbcnt_lo_u32_b32 v49, -1, 0
	s_addc_u32 s3, s1, 0
	s_add_u32 s18, s40, 64
	s_addc_u32 s19, s41, 0
	s_mov_b32 s20, 0xbbbac73d
.LBB90_8:                               ; =>This Inner Loop Header: Depth=1
	s_mul_hi_i32 s27, s8, s17
	s_mul_i32 s26, s8, s17
	s_delay_alu instid0(SALU_CYCLE_1) | instskip(NEXT) | instid1(SALU_CYCLE_1)
	s_lshl_b64 s[26:27], s[26:27], 2
	s_add_u32 s21, s4, s26
	s_addc_u32 s22, s5, s27
	v_add_co_u32 v5, vcc_lo, s21, v1
	v_add_co_ci_u32_e32 v21, vcc_lo, s22, v2, vcc_lo
	v_add_co_u32 v52, vcc_lo, s21, v6
	v_add_co_ci_u32_e32 v53, vcc_lo, s22, v7, vcc_lo
	s_delay_alu instid0(VALU_DEP_4) | instskip(NEXT) | instid1(VALU_DEP_4)
	v_add_co_u32 v20, vcc_lo, v5, v47
	v_add_co_ci_u32_e32 v21, vcc_lo, 0, v21, vcc_lo
	s_delay_alu instid0(VALU_DEP_4) | instskip(NEXT) | instid1(VALU_DEP_4)
	v_add_co_u32 v68, vcc_lo, v52, v47
	v_add_co_ci_u32_e32 v69, vcc_lo, 0, v53, vcc_lo
	v_add_co_u32 v5, vcc_lo, s21, v8
	v_add_co_ci_u32_e32 v52, vcc_lo, s22, v9, vcc_lo
	;; [unrolled: 2-line block ×3, first 2 shown]
	s_delay_alu instid0(VALU_DEP_4) | instskip(NEXT) | instid1(VALU_DEP_4)
	v_add_co_u32 v70, vcc_lo, v5, v47
	v_add_co_ci_u32_e32 v71, vcc_lo, 0, v52, vcc_lo
	s_delay_alu instid0(VALU_DEP_4) | instskip(NEXT) | instid1(VALU_DEP_4)
	v_add_co_u32 v72, vcc_lo, v53, v47
	v_add_co_ci_u32_e32 v73, vcc_lo, 0, v54, vcc_lo
	s_clause 0x3
	global_load_b128 v[52:55], v[20:21], off
	global_load_b128 v[56:59], v[68:69], off
	;; [unrolled: 1-line block ×4, first 2 shown]
	v_mov_b32_e32 v5, 0
	s_waitcnt vmcnt(3)
	ds_store_b128 v38, v[52:55]
	s_waitcnt vmcnt(2)
	ds_store_b128 v40, v[56:59]
	;; [unrolled: 2-line block ×4, first 2 shown]
	v_mov_b32_e32 v52, 0
	s_waitcnt lgkmcnt(0)
	s_barrier
	buffer_gl0_inv
	ds_load_b128 v[53:56], v33
	ds_load_b128 v[57:60], v36
	ds_load_b128 v[61:64], v33 offset:4608
	s_waitcnt lgkmcnt(1)
	;;#ASMSTART
	v_dot2_f32_f16 v5, v53, v57, v5
	;;#ASMEND
	;;#ASMSTART
	v_dot2_f32_f16 v5, v54, v58, v5
	;;#ASMEND
	;;#ASMSTART
	v_dot2_f32_f16 v5, v55, v59, v5
	;;#ASMEND
	;;#ASMSTART
	v_dot2_f32_f16 v5, v56, v60, v5
	;;#ASMEND
	s_waitcnt lgkmcnt(0)
	;;#ASMSTART
	v_dot2_f32_f16 v52, v61, v57, v52
	;;#ASMEND
	;;#ASMSTART
	v_dot2_f32_f16 v52, v62, v58, v52
	;;#ASMEND
	;;#ASMSTART
	v_dot2_f32_f16 v52, v63, v59, v52
	;;#ASMEND
	;;#ASMSTART
	v_dot2_f32_f16 v52, v64, v60, v52
	;;#ASMEND
	ds_load_b128 v[53:56], v33 offset:16
	ds_load_b128 v[57:60], v36 offset:16
	ds_load_b128 v[61:64], v33 offset:4624
	s_waitcnt lgkmcnt(1)
	;;#ASMSTART
	v_dot2_f32_f16 v5, v53, v57, v5
	;;#ASMEND
	;;#ASMSTART
	v_dot2_f32_f16 v5, v54, v58, v5
	;;#ASMEND
	;;#ASMSTART
	v_dot2_f32_f16 v5, v55, v59, v5
	;;#ASMEND
	;;#ASMSTART
	v_dot2_f32_f16 v5, v56, v60, v5
	;;#ASMEND
	s_waitcnt lgkmcnt(0)
	;;#ASMSTART
	v_dot2_f32_f16 v52, v61, v57, v52
	;;#ASMEND
	;;#ASMSTART
	v_dot2_f32_f16 v52, v62, v58, v52
	;;#ASMEND
	;;#ASMSTART
	v_dot2_f32_f16 v52, v63, v59, v52
	;;#ASMEND
	;;#ASMSTART
	v_dot2_f32_f16 v52, v64, v60, v52
	;;#ASMEND
	ds_load_b128 v[53:56], v33 offset:32
	ds_load_b128 v[57:60], v36 offset:32
	;; [unrolled: 29-line block ×7, first 2 shown]
	ds_load_b128 v[61:64], v33 offset:4720
	s_waitcnt lgkmcnt(1)
	;;#ASMSTART
	v_dot2_f32_f16 v5, v53, v57, v5
	;;#ASMEND
	;;#ASMSTART
	v_dot2_f32_f16 v5, v54, v58, v5
	;;#ASMEND
	;; [unrolled: 3-line block ×4, first 2 shown]
	s_waitcnt lgkmcnt(0)
	;;#ASMSTART
	v_dot2_f32_f16 v52, v61, v57, v52
	;;#ASMEND
	;;#ASMSTART
	v_dot2_f32_f16 v52, v62, v58, v52
	;;#ASMEND
	;; [unrolled: 3-line block ×4, first 2 shown]
	s_barrier
	buffer_gl0_inv
	s_clause 0x3
	global_load_b128 v[53:56], v[20:21], off offset:128
	global_load_b128 v[57:60], v[68:69], off offset:128
	;; [unrolled: 1-line block ×4, first 2 shown]
	s_waitcnt vmcnt(3)
	ds_store_b128 v38, v[53:56]
	s_waitcnt vmcnt(2)
	ds_store_b128 v40, v[57:60]
	;; [unrolled: 2-line block ×4, first 2 shown]
	s_waitcnt lgkmcnt(0)
	s_barrier
	buffer_gl0_inv
	ds_load_b128 v[53:56], v33
	ds_load_b128 v[57:60], v36 offset:128
	ds_load_b128 v[61:64], v33 offset:4608
	s_waitcnt lgkmcnt(1)
	;;#ASMSTART
	v_dot2_f32_f16 v5, v53, v57, v5
	;;#ASMEND
	;;#ASMSTART
	v_dot2_f32_f16 v5, v54, v58, v5
	;;#ASMEND
	;;#ASMSTART
	v_dot2_f32_f16 v5, v55, v59, v5
	;;#ASMEND
	;;#ASMSTART
	v_dot2_f32_f16 v5, v56, v60, v5
	;;#ASMEND
	s_waitcnt lgkmcnt(0)
	;;#ASMSTART
	v_dot2_f32_f16 v52, v61, v57, v52
	;;#ASMEND
	;;#ASMSTART
	v_dot2_f32_f16 v52, v62, v58, v52
	;;#ASMEND
	;;#ASMSTART
	v_dot2_f32_f16 v52, v63, v59, v52
	;;#ASMEND
	;;#ASMSTART
	v_dot2_f32_f16 v52, v64, v60, v52
	;;#ASMEND
	ds_load_b128 v[53:56], v33 offset:16
	ds_load_b128 v[57:60], v36 offset:144
	ds_load_b128 v[61:64], v33 offset:4624
	s_waitcnt lgkmcnt(1)
	;;#ASMSTART
	v_dot2_f32_f16 v5, v53, v57, v5
	;;#ASMEND
	;;#ASMSTART
	v_dot2_f32_f16 v5, v54, v58, v5
	;;#ASMEND
	;;#ASMSTART
	v_dot2_f32_f16 v5, v55, v59, v5
	;;#ASMEND
	;;#ASMSTART
	v_dot2_f32_f16 v5, v56, v60, v5
	;;#ASMEND
	s_waitcnt lgkmcnt(0)
	;;#ASMSTART
	v_dot2_f32_f16 v52, v61, v57, v52
	;;#ASMEND
	;;#ASMSTART
	v_dot2_f32_f16 v52, v62, v58, v52
	;;#ASMEND
	;;#ASMSTART
	v_dot2_f32_f16 v52, v63, v59, v52
	;;#ASMEND
	;;#ASMSTART
	v_dot2_f32_f16 v52, v64, v60, v52
	;;#ASMEND
	ds_load_b128 v[53:56], v33 offset:32
	;; [unrolled: 29-line block ×7, first 2 shown]
	ds_load_b128 v[57:60], v36 offset:240
	ds_load_b128 v[61:64], v33 offset:4720
	s_waitcnt lgkmcnt(1)
	;;#ASMSTART
	v_dot2_f32_f16 v5, v53, v57, v5
	;;#ASMEND
	;;#ASMSTART
	v_dot2_f32_f16 v5, v54, v58, v5
	;;#ASMEND
	;; [unrolled: 3-line block ×4, first 2 shown]
	v_cmp_ngt_f32_e64 s21, 0x3f200000, |v5|
	s_waitcnt lgkmcnt(0)
	;;#ASMSTART
	v_dot2_f32_f16 v52, v61, v57, v52
	;;#ASMEND
	;;#ASMSTART
	v_dot2_f32_f16 v52, v62, v58, v52
	;;#ASMEND
	;; [unrolled: 3-line block ×4, first 2 shown]
                                        ; implicit-def: $vgpr54
	s_and_saveexec_b32 s22, s21
	s_delay_alu instid0(SALU_CYCLE_1)
	s_xor_b32 s21, exec_lo, s22
	s_cbranch_execz .LBB90_10
; %bb.9:                                ;   in Loop: Header=BB90_8 Depth=1
	v_add_f32_e64 v20, |v5|, |v5|
	s_delay_alu instid0(VALU_DEP_1) | instskip(SKIP_1) | instid1(VALU_DEP_2)
	v_mul_f32_e32 v21, 0x3fb8aa3b, v20
	v_cmp_ngt_f32_e32 vcc_lo, 0xc2ce8ed0, v20
	v_rndne_f32_e32 v53, v21
	v_fma_f32 v54, 0x3fb8aa3b, v20, -v21
	s_delay_alu instid0(VALU_DEP_1) | instskip(SKIP_1) | instid1(VALU_DEP_2)
	v_dual_sub_f32 v21, v21, v53 :: v_dual_fmac_f32 v54, 0x32a5705f, v20
	v_cvt_i32_f32_e32 v53, v53
	v_add_f32_e32 v21, v21, v54
	s_delay_alu instid0(VALU_DEP_1) | instskip(SKIP_2) | instid1(VALU_DEP_1)
	v_exp_f32_e32 v21, v21
	s_waitcnt_depctr 0xfff
	v_ldexp_f32 v21, v21, v53
	v_cndmask_b32_e32 v21, 0, v21, vcc_lo
	v_cmp_nlt_f32_e32 vcc_lo, 0x42b17218, v20
	s_delay_alu instid0(VALU_DEP_2) | instskip(NEXT) | instid1(VALU_DEP_1)
	v_cndmask_b32_e32 v20, 0x7f800000, v21, vcc_lo
	v_add_f32_e32 v20, 1.0, v20
	s_delay_alu instid0(VALU_DEP_1)
	v_rcp_f32_e32 v20, v20
	s_waitcnt_depctr 0xfff
	v_fma_f32 v54, v20, -2.0, 1.0
.LBB90_10:                              ;   in Loop: Header=BB90_8 Depth=1
	s_and_not1_saveexec_b32 s21, s21
; %bb.11:                               ;   in Loop: Header=BB90_8 Depth=1
	v_mul_f32_e32 v20, v5, v5
	s_delay_alu instid0(VALU_DEP_1) | instskip(NEXT) | instid1(VALU_DEP_1)
	v_fmaak_f32 v21, s20, v20, 0x3ca908c9
	v_fmaak_f32 v21, v20, v21, 0xbd5c1c4e
	s_delay_alu instid0(VALU_DEP_1) | instskip(NEXT) | instid1(VALU_DEP_1)
	v_fmaak_f32 v21, v20, v21, 0x3e088382
	v_fmaak_f32 v21, v20, v21, 0xbeaaaa99
	s_delay_alu instid0(VALU_DEP_1) | instskip(NEXT) | instid1(VALU_DEP_1)
	v_mul_f32_e64 v21, |v5|, v21
	v_fma_f32 v54, v20, v21, |v5|
; %bb.12:                               ;   in Loop: Header=BB90_8 Depth=1
	s_or_b32 exec_lo, exec_lo, s21
	v_add_nc_u32_e32 v20, s8, v0
	s_and_not1_b32 vcc_lo, exec_lo, s7
	s_delay_alu instid0(VALU_DEP_1)
	v_ashrrev_i32_e32 v21, 31, v20
	s_cbranch_vccnz .LBB90_22
; %bb.13:                               ;   in Loop: Header=BB90_8 Depth=1
	s_delay_alu instid0(VALU_DEP_1) | instskip(NEXT) | instid1(VALU_DEP_1)
	v_lshlrev_b64 v[55:56], 1, v[20:21]
	v_add_co_u32 v55, vcc_lo, s40, v55
	s_delay_alu instid0(VALU_DEP_2) | instskip(SKIP_3) | instid1(VALU_DEP_1)
	v_add_co_ci_u32_e32 v56, vcc_lo, s41, v56, vcc_lo
	flat_load_u16 v53, v[55:56]
	s_waitcnt vmcnt(0) lgkmcnt(0)
	v_cvt_f32_f16_e32 v53, v53
	v_mul_f32_e32 v53, v29, v53
	v_cmp_ngt_f32_e64 s21, 0x3f200000, |v52|
                                        ; implicit-def: $vgpr55
	s_delay_alu instid0(VALU_DEP_1) | instskip(NEXT) | instid1(SALU_CYCLE_1)
	s_and_saveexec_b32 s22, s21
	s_xor_b32 s21, exec_lo, s22
	s_cbranch_execz .LBB90_15
.LBB90_14:                              ;   in Loop: Header=BB90_8 Depth=1
	v_add_f32_e64 v55, |v52|, |v52|
	s_delay_alu instid0(VALU_DEP_1) | instskip(SKIP_1) | instid1(VALU_DEP_2)
	v_mul_f32_e32 v56, 0x3fb8aa3b, v55
	v_cmp_ngt_f32_e32 vcc_lo, 0xc2ce8ed0, v55
	v_rndne_f32_e32 v57, v56
	v_fma_f32 v58, 0x3fb8aa3b, v55, -v56
	s_delay_alu instid0(VALU_DEP_2) | instskip(NEXT) | instid1(VALU_DEP_2)
	v_sub_f32_e32 v56, v56, v57
	v_fmac_f32_e32 v58, 0x32a5705f, v55
	v_cvt_i32_f32_e32 v57, v57
	s_delay_alu instid0(VALU_DEP_2) | instskip(NEXT) | instid1(VALU_DEP_1)
	v_add_f32_e32 v56, v56, v58
	v_exp_f32_e32 v56, v56
	s_waitcnt_depctr 0xfff
	v_ldexp_f32 v56, v56, v57
	s_delay_alu instid0(VALU_DEP_1) | instskip(SKIP_1) | instid1(VALU_DEP_2)
	v_cndmask_b32_e32 v56, 0, v56, vcc_lo
	v_cmp_nlt_f32_e32 vcc_lo, 0x42b17218, v55
	v_cndmask_b32_e32 v55, 0x7f800000, v56, vcc_lo
	s_delay_alu instid0(VALU_DEP_1) | instskip(NEXT) | instid1(VALU_DEP_1)
	v_add_f32_e32 v55, 1.0, v55
	v_rcp_f32_e32 v55, v55
	s_waitcnt_depctr 0xfff
	v_fma_f32 v55, v55, -2.0, 1.0
.LBB90_15:                              ;   in Loop: Header=BB90_8 Depth=1
	s_and_not1_saveexec_b32 s21, s21
	s_cbranch_execz .LBB90_18
; %bb.16:                               ;   in Loop: Header=BB90_8 Depth=1
	v_mul_f32_e32 v55, v52, v52
	s_delay_alu instid0(VALU_DEP_1) | instskip(NEXT) | instid1(VALU_DEP_1)
	v_fmaak_f32 v56, s20, v55, 0x3ca908c9
	v_fmaak_f32 v56, v55, v56, 0xbd5c1c4e
	s_delay_alu instid0(VALU_DEP_1) | instskip(NEXT) | instid1(VALU_DEP_1)
	v_fmaak_f32 v56, v55, v56, 0x3e088382
	v_fmaak_f32 v56, v55, v56, 0xbeaaaa99
	s_delay_alu instid0(VALU_DEP_1) | instskip(NEXT) | instid1(VALU_DEP_1)
	v_mul_f32_e64 v56, |v52|, v56
	v_fma_f32 v55, v55, v56, |v52|
	s_or_b32 exec_lo, exec_lo, s21
	s_delay_alu instid0(SALU_CYCLE_1)
	s_and_not1_b32 vcc_lo, exec_lo, s7
	s_cbranch_vccz .LBB90_19
.LBB90_17:                              ;   in Loop: Header=BB90_8 Depth=1
	v_mov_b32_e32 v20, 0
	s_branch .LBB90_20
.LBB90_18:                              ;   in Loop: Header=BB90_8 Depth=1
	s_or_b32 exec_lo, exec_lo, s21
	s_delay_alu instid0(SALU_CYCLE_1)
	s_and_not1_b32 vcc_lo, exec_lo, s7
	s_cbranch_vccnz .LBB90_17
.LBB90_19:                              ;   in Loop: Header=BB90_8 Depth=1
	v_lshlrev_b64 v[20:21], 1, v[20:21]
	s_delay_alu instid0(VALU_DEP_1) | instskip(NEXT) | instid1(VALU_DEP_2)
	v_add_co_u32 v20, vcc_lo, s18, v20
	v_add_co_ci_u32_e32 v21, vcc_lo, s19, v21, vcc_lo
	flat_load_u16 v20, v[20:21]
	s_waitcnt vmcnt(0) lgkmcnt(0)
	v_cvt_f32_f16_e32 v20, v20
	s_delay_alu instid0(VALU_DEP_1)
	v_mul_f32_e32 v20, v29, v20
.LBB90_20:                              ;   in Loop: Header=BB90_8 Depth=1
	s_mul_hi_i32 s27, s8, s9
	s_mul_i32 s26, s8, s9
	s_delay_alu instid0(SALU_CYCLE_1)
	s_lshl_b64 s[26:27], s[26:27], 2
	s_barrier
	s_add_u32 s21, s13, s26
	s_addc_u32 s22, s15, s27
	v_add_co_u32 v21, vcc_lo, s21, v12
	v_add_co_ci_u32_e32 v57, vcc_lo, s22, v13, vcc_lo
	v_add_co_u32 v58, vcc_lo, s21, v14
	v_add_co_ci_u32_e32 v59, vcc_lo, s22, v15, vcc_lo
	s_delay_alu instid0(VALU_DEP_4) | instskip(NEXT) | instid1(VALU_DEP_4)
	v_add_co_u32 v56, vcc_lo, v21, v48
	v_add_co_ci_u32_e32 v57, vcc_lo, 0, v57, vcc_lo
	s_delay_alu instid0(VALU_DEP_4) | instskip(NEXT) | instid1(VALU_DEP_4)
	v_add_co_u32 v60, vcc_lo, v58, v48
	v_add_co_ci_u32_e32 v61, vcc_lo, 0, v59, vcc_lo
	v_add_co_u32 v21, vcc_lo, s21, v16
	v_add_co_ci_u32_e32 v58, vcc_lo, s22, v17, vcc_lo
	;; [unrolled: 2-line block ×3, first 2 shown]
	s_delay_alu instid0(VALU_DEP_4) | instskip(NEXT) | instid1(VALU_DEP_4)
	v_add_co_u32 v64, vcc_lo, v21, v48
	v_add_co_ci_u32_e32 v65, vcc_lo, 0, v58, vcc_lo
	s_delay_alu instid0(VALU_DEP_4) | instskip(NEXT) | instid1(VALU_DEP_4)
	v_add_co_u32 v68, vcc_lo, v59, v48
	v_add_co_ci_u32_e32 v69, vcc_lo, 0, v62, vcc_lo
	buffer_gl0_inv
	s_clause 0x3
	global_load_b128 v[56:59], v[56:57], off
	global_load_b128 v[60:63], v[60:61], off
	;; [unrolled: 1-line block ×4, first 2 shown]
	v_bfi_b32 v5, 0x7fffffff, v54, v5
	v_bfi_b32 v21, 0x7fffffff, v55, v52
	v_xor_b32_e32 v52, 16, v49
	s_or_b32 s21, s8, 32
	s_delay_alu instid0(SALU_CYCLE_1) | instskip(SKIP_1) | instid1(VALU_DEP_1)
	s_mul_hi_i32 s27, s21, s9
	s_mul_i32 s26, s21, s9
	v_cmp_gt_i32_e32 vcc_lo, 32, v52
	v_fmac_f32_e32 v20, s23, v21
	v_fmac_f32_e32 v53, s23, v5
	s_lshl_b64 s[26:27], s[26:27], 2
	v_cndmask_b32_e32 v5, v49, v52, vcc_lo
	s_delay_alu instid0(VALU_DEP_2) | instskip(SKIP_2) | instid1(VALU_DEP_2)
	v_dual_add_f32 v52, 0x40051340, v20 :: v_dual_add_f32 v21, 0x40051340, v53
	s_add_u32 s21, s13, s26
	s_addc_u32 s22, s15, s27
	v_lshlrev_b32_e32 v5, 2, v5
	s_delay_alu instid0(VALU_DEP_2)
	v_max3_f32 v21, v51, v21, v52
	v_xor_b32_e32 v52, 8, v49
	ds_bpermute_b32 v5, v5, v21
	v_cmp_gt_i32_e32 vcc_lo, 32, v52
	v_cndmask_b32_e32 v52, v49, v52, vcc_lo
	s_waitcnt lgkmcnt(0)
	s_delay_alu instid0(VALU_DEP_1) | instskip(NEXT) | instid1(VALU_DEP_1)
	v_dual_max_f32 v5, v5, v5 :: v_dual_lshlrev_b32 v52, 2, v52
	v_max_f32_e32 v5, v21, v5
	ds_bpermute_b32 v21, v52, v5
	v_xor_b32_e32 v52, 4, v49
	s_delay_alu instid0(VALU_DEP_1) | instskip(SKIP_2) | instid1(VALU_DEP_1)
	v_cmp_gt_i32_e32 vcc_lo, 32, v52
	v_cndmask_b32_e32 v52, v49, v52, vcc_lo
	s_waitcnt lgkmcnt(0)
	v_dual_max_f32 v21, v21, v21 :: v_dual_lshlrev_b32 v52, 2, v52
	s_delay_alu instid0(VALU_DEP_1) | instskip(SKIP_2) | instid1(VALU_DEP_1)
	v_max_f32_e32 v5, v5, v21
	ds_bpermute_b32 v21, v52, v5
	v_xor_b32_e32 v52, 2, v49
	v_cmp_gt_i32_e32 vcc_lo, 32, v52
	v_cndmask_b32_e32 v52, v49, v52, vcc_lo
	s_waitcnt lgkmcnt(0)
	s_delay_alu instid0(VALU_DEP_1) | instskip(NEXT) | instid1(VALU_DEP_1)
	v_dual_max_f32 v21, v21, v21 :: v_dual_lshlrev_b32 v52, 2, v52
	v_max_f32_e32 v5, v5, v21
	ds_bpermute_b32 v21, v52, v5
	v_xor_b32_e32 v52, 1, v49
	s_delay_alu instid0(VALU_DEP_1) | instskip(SKIP_4) | instid1(VALU_DEP_3)
	v_cmp_gt_i32_e32 vcc_lo, 32, v52
	v_cndmask_b32_e32 v52, v49, v52, vcc_lo
	v_add_co_u32 v77, vcc_lo, s21, v12
	v_add_co_ci_u32_e32 v78, vcc_lo, s22, v13, vcc_lo
	s_waitcnt lgkmcnt(0)
	v_dual_max_f32 v21, v21, v21 :: v_dual_lshlrev_b32 v52, 2, v52
	s_delay_alu instid0(VALU_DEP_1) | instskip(SKIP_3) | instid1(VALU_DEP_1)
	v_max_f32_e32 v5, v5, v21
	ds_bpermute_b32 v21, v52, v5
	s_waitcnt lgkmcnt(0)
	v_dual_max_f32 v21, v21, v21 :: v_dual_add_nc_u32 v52, 0x800, v24
	v_max_f32_e32 v5, v5, v21
	s_delay_alu instid0(VALU_DEP_1) | instskip(SKIP_1) | instid1(VALU_DEP_1)
	v_dual_sub_f32 v54, v20, v5 :: v_dual_add_nc_u32 v21, 0x1000, v24
	v_dual_sub_f32 v53, v53, v5 :: v_dual_add_nc_u32 v20, 0x1800, v24
	v_dual_mul_f32 v72, 0x3fb8aa3b, v54 :: v_dual_mul_f32 v55, 0x3fb8aa3b, v53
	s_delay_alu instid0(VALU_DEP_1) | instskip(NEXT) | instid1(VALU_DEP_2)
	v_fma_f32 v75, 0x3fb8aa3b, v54, -v72
	v_fma_f32 v73, 0x3fb8aa3b, v53, -v55
	v_rndne_f32_e32 v74, v55
	v_rndne_f32_e32 v76, v72
	s_delay_alu instid0(VALU_DEP_4) | instskip(NEXT) | instid1(VALU_DEP_4)
	v_fmac_f32_e32 v75, 0x32a5705f, v54
	v_fmac_f32_e32 v73, 0x32a5705f, v53
	s_delay_alu instid0(VALU_DEP_3) | instskip(SKIP_2) | instid1(VALU_DEP_3)
	v_dual_sub_f32 v55, v55, v74 :: v_dual_sub_f32 v72, v72, v76
	v_cvt_i32_f32_e32 v74, v74
	v_cvt_i32_f32_e32 v76, v76
	v_add_f32_e32 v55, v55, v73
	v_add_co_u32 v73, vcc_lo, s21, v14
	v_add_f32_e32 v72, v72, v75
	v_add_co_ci_u32_e32 v75, vcc_lo, s22, v15, vcc_lo
	s_delay_alu instid0(VALU_DEP_4)
	v_exp_f32_e32 v55, v55
	v_add_co_u32 v79, vcc_lo, s21, v16
	v_add_co_ci_u32_e32 v80, vcc_lo, s22, v17, vcc_lo
	v_add_co_u32 v81, vcc_lo, s21, v18
	v_exp_f32_e32 v72, v72
	v_add_co_ci_u32_e32 v82, vcc_lo, s22, v19, vcc_lo
	v_add_co_u32 v133, vcc_lo, v77, v48
	v_add_co_ci_u32_e32 v134, vcc_lo, 0, v78, vcc_lo
	s_delay_alu instid0(TRANS32_DEP_2)
	v_ldexp_f32 v55, v55, v74
	v_cmp_ngt_f32_e32 vcc_lo, 0xc2ce8ed0, v53
	s_waitcnt_depctr 0xfff
	v_ldexp_f32 v72, v72, v76
	v_cndmask_b32_e32 v55, 0, v55, vcc_lo
	v_cmp_ngt_f32_e32 vcc_lo, 0xc2ce8ed0, v54
	s_delay_alu instid0(VALU_DEP_3)
	v_cndmask_b32_e32 v72, 0, v72, vcc_lo
	v_add_co_u32 v137, vcc_lo, v73, v48
	v_add_co_ci_u32_e32 v138, vcc_lo, 0, v75, vcc_lo
	v_cmp_nlt_f32_e32 vcc_lo, 0x42b17218, v53
	v_sub_f32_e32 v51, v51, v5
	v_cndmask_b32_e32 v149, 0x7f800000, v55, vcc_lo
	v_cmp_nlt_f32_e32 vcc_lo, 0x42b17218, v54
	s_delay_alu instid0(VALU_DEP_3) | instskip(NEXT) | instid1(VALU_DEP_3)
	v_mul_f32_e32 v151, 0x3fb8aa3b, v51
	v_cvt_f16_f32_e64 v53, v149
	v_cndmask_b32_e32 v150, 0x7f800000, v72, vcc_lo
	v_add_co_u32 v141, vcc_lo, v79, v48
	v_add_co_ci_u32_e32 v142, vcc_lo, 0, v80, vcc_lo
	s_delay_alu instid0(VALU_DEP_3)
	v_cvt_f16_f32_e64 v54, v150
	v_add_co_u32 v145, vcc_lo, v81, v48
	v_add_co_ci_u32_e32 v146, vcc_lo, 0, v82, vcc_lo
	v_fma_f32 v152, 0x3fb8aa3b, v51, -v151
	v_rndne_f32_e32 v153, v151
	v_cmp_ngt_f32_e32 vcc_lo, 0xc2ce8ed0, v51
	ds_store_b16 v43, v53
	ds_store_b16 v43, v54 offset:64
	s_waitcnt vmcnt(3)
	ds_store_b128 v39, v[56:59]
	s_waitcnt vmcnt(2)
	ds_store_b128 v44, v[60:63]
	;; [unrolled: 2-line block ×4, first 2 shown]
	s_waitcnt lgkmcnt(0)
	s_barrier
	buffer_gl0_inv
	ds_load_2addr_b64 v[53:56], v24 offset1:32
	ds_load_2addr_b64 v[57:60], v24 offset0:64 offset1:96
	ds_load_2addr_b64 v[61:64], v24 offset0:128 offset1:160
	ds_load_b128 v[65:68], v37
	ds_load_b128 v[69:72], v37 offset:16
	ds_load_b128 v[73:76], v37 offset:32
	;; [unrolled: 1-line block ×3, first 2 shown]
	ds_load_2addr_b64 v[81:84], v24 offset0:192 offset1:224
	ds_load_2addr_b64 v[85:88], v52 offset1:32
	ds_load_2addr_b64 v[89:92], v52 offset0:64 offset1:96
	ds_load_2addr_b64 v[93:96], v52 offset0:128 offset1:160
	ds_load_2addr_b64 v[97:100], v52 offset0:192 offset1:224
	ds_load_2addr_b64 v[101:104], v21 offset1:32
	ds_load_2addr_b64 v[105:108], v21 offset0:64 offset1:96
	ds_load_2addr_b64 v[109:112], v21 offset0:128 offset1:160
	;; [unrolled: 4-line block ×3, first 2 shown]
	ds_load_2addr_b64 v[129:132], v20 offset0:192 offset1:224
	s_waitcnt lgkmcnt(0)
	s_barrier
	buffer_gl0_inv
	s_clause 0x3
	global_load_b128 v[133:136], v[133:134], off
	global_load_b128 v[137:140], v[137:138], off
	;; [unrolled: 1-line block ×4, first 2 shown]
	v_dual_fmac_f32 v152, 0x32a5705f, v51 :: v_dual_sub_f32 v151, v151, v153
	v_pk_mul_f16 v53, v53, v65 op_sel_hi:[1,0]
	v_pk_mul_f16 v54, v54, v65 op_sel_hi:[1,0]
	s_waitcnt vmcnt(3)
	ds_store_b128 v39, v[133:136]
	s_waitcnt vmcnt(2)
	ds_store_b128 v44, v[137:140]
	;; [unrolled: 2-line block ×4, first 2 shown]
	v_add_f32_e32 v151, v151, v152
	v_cvt_i32_f32_e32 v152, v153
	s_waitcnt lgkmcnt(0)
	s_barrier
	buffer_gl0_inv
	v_exp_f32_e32 v151, v151
	s_waitcnt_depctr 0xfff
	v_ldexp_f32 v151, v151, v152
	s_delay_alu instid0(VALU_DEP_1) | instskip(SKIP_1) | instid1(VALU_DEP_2)
	v_cndmask_b32_e32 v151, 0, v151, vcc_lo
	v_cmp_nlt_f32_e32 vcc_lo, 0x42b17218, v51
	v_cndmask_b32_e32 v151, 0x7f800000, v151, vcc_lo
	s_delay_alu instid0(VALU_DEP_1) | instskip(NEXT) | instid1(VALU_DEP_1)
	v_cvt_f16_f32_e64 v51, v151
	v_pk_fma_f16 v25, v25, v51, v53 op_sel_hi:[1,0,1]
	v_pk_fma_f16 v26, v26, v51, v54 op_sel_hi:[1,0,1]
	s_delay_alu instid0(VALU_DEP_2) | instskip(NEXT) | instid1(VALU_DEP_2)
	v_pk_fma_f16 v25, v55, v65, v25 op_sel:[0,1,0]
	v_pk_fma_f16 v26, v56, v65, v26 op_sel:[0,1,0]
	s_delay_alu instid0(VALU_DEP_2) | instskip(NEXT) | instid1(VALU_DEP_2)
	v_pk_fma_f16 v25, v57, v66, v25 op_sel_hi:[1,0,1]
	v_pk_fma_f16 v26, v58, v66, v26 op_sel_hi:[1,0,1]
	s_delay_alu instid0(VALU_DEP_2) | instskip(NEXT) | instid1(VALU_DEP_2)
	v_pk_fma_f16 v25, v59, v66, v25 op_sel:[0,1,0]
	v_pk_fma_f16 v26, v60, v66, v26 op_sel:[0,1,0]
	ds_load_2addr_b64 v[53:56], v24 offset1:32
	ds_load_b128 v[57:60], v37 offset:64
	v_pk_fma_f16 v25, v61, v67, v25 op_sel_hi:[1,0,1]
	v_pk_fma_f16 v26, v62, v67, v26 op_sel_hi:[1,0,1]
	s_delay_alu instid0(VALU_DEP_2) | instskip(NEXT) | instid1(VALU_DEP_2)
	v_pk_fma_f16 v25, v63, v67, v25 op_sel:[0,1,0]
	v_pk_fma_f16 v26, v64, v67, v26 op_sel:[0,1,0]
	ds_load_2addr_b64 v[61:64], v24 offset0:64 offset1:96
	v_pk_fma_f16 v25, v81, v68, v25 op_sel_hi:[1,0,1]
	v_pk_fma_f16 v26, v82, v68, v26 op_sel_hi:[1,0,1]
	s_delay_alu instid0(VALU_DEP_2) | instskip(NEXT) | instid1(VALU_DEP_2)
	v_pk_fma_f16 v25, v83, v68, v25 op_sel:[0,1,0]
	v_pk_fma_f16 v26, v84, v68, v26 op_sel:[0,1,0]
	s_delay_alu instid0(VALU_DEP_2) | instskip(NEXT) | instid1(VALU_DEP_2)
	v_pk_fma_f16 v25, v85, v69, v25 op_sel_hi:[1,0,1]
	v_pk_fma_f16 v26, v86, v69, v26 op_sel_hi:[1,0,1]
	s_delay_alu instid0(VALU_DEP_2) | instskip(NEXT) | instid1(VALU_DEP_2)
	v_pk_fma_f16 v25, v87, v69, v25 op_sel:[0,1,0]
	v_pk_fma_f16 v26, v88, v69, v26 op_sel:[0,1,0]
	s_delay_alu instid0(VALU_DEP_2) | instskip(NEXT) | instid1(VALU_DEP_2)
	;; [unrolled: 6-line block ×4, first 2 shown]
	v_pk_fma_f16 v25, v97, v72, v25 op_sel_hi:[1,0,1]
	v_pk_fma_f16 v26, v98, v72, v26 op_sel_hi:[1,0,1]
	s_delay_alu instid0(VALU_DEP_2) | instskip(NEXT) | instid1(VALU_DEP_2)
	v_pk_fma_f16 v25, v99, v72, v25 op_sel:[0,1,0]
	v_pk_fma_f16 v26, v100, v72, v26 op_sel:[0,1,0]
	ds_load_2addr_b64 v[65:68], v24 offset0:128 offset1:160
	ds_load_b128 v[69:72], v37 offset:80
	v_pk_fma_f16 v25, v101, v73, v25 op_sel_hi:[1,0,1]
	v_pk_fma_f16 v26, v102, v73, v26 op_sel_hi:[1,0,1]
	s_delay_alu instid0(VALU_DEP_2) | instskip(NEXT) | instid1(VALU_DEP_2)
	v_pk_fma_f16 v25, v103, v73, v25 op_sel:[0,1,0]
	v_pk_fma_f16 v26, v104, v73, v26 op_sel:[0,1,0]
	s_delay_alu instid0(VALU_DEP_2) | instskip(NEXT) | instid1(VALU_DEP_2)
	v_pk_fma_f16 v25, v105, v74, v25 op_sel_hi:[1,0,1]
	v_pk_fma_f16 v26, v106, v74, v26 op_sel_hi:[1,0,1]
	s_delay_alu instid0(VALU_DEP_2) | instskip(NEXT) | instid1(VALU_DEP_2)
	v_pk_fma_f16 v25, v107, v74, v25 op_sel:[0,1,0]
	v_pk_fma_f16 v26, v108, v74, v26 op_sel:[0,1,0]
	s_delay_alu instid0(VALU_DEP_2) | instskip(NEXT) | instid1(VALU_DEP_2)
	;; [unrolled: 6-line block ×7, first 2 shown]
	v_pk_fma_f16 v25, v129, v80, v25 op_sel_hi:[1,0,1]
	v_pk_fma_f16 v26, v130, v80, v26 op_sel_hi:[1,0,1]
	s_delay_alu instid0(VALU_DEP_2) | instskip(NEXT) | instid1(VALU_DEP_2)
	v_pk_fma_f16 v25, v131, v80, v25 op_sel:[0,1,0]
	v_pk_fma_f16 v26, v132, v80, v26 op_sel:[0,1,0]
	s_waitcnt lgkmcnt(3)
	s_delay_alu instid0(VALU_DEP_2) | instskip(NEXT) | instid1(VALU_DEP_2)
	v_pk_fma_f16 v25, v53, v57, v25 op_sel_hi:[1,0,1]
	v_pk_fma_f16 v26, v54, v57, v26 op_sel_hi:[1,0,1]
	s_delay_alu instid0(VALU_DEP_2) | instskip(NEXT) | instid1(VALU_DEP_2)
	v_pk_fma_f16 v25, v55, v57, v25 op_sel:[0,1,0]
	v_pk_fma_f16 v26, v56, v57, v26 op_sel:[0,1,0]
	ds_load_2addr_b64 v[53:56], v24 offset0:192 offset1:224
	s_waitcnt lgkmcnt(3)
	v_pk_fma_f16 v25, v61, v58, v25 op_sel_hi:[1,0,1]
	v_pk_fma_f16 v26, v62, v58, v26 op_sel_hi:[1,0,1]
	s_delay_alu instid0(VALU_DEP_2) | instskip(NEXT) | instid1(VALU_DEP_2)
	v_pk_fma_f16 v25, v63, v58, v25 op_sel:[0,1,0]
	v_pk_fma_f16 v26, v64, v58, v26 op_sel:[0,1,0]
	ds_load_2addr_b64 v[61:64], v52 offset1:32
	s_waitcnt lgkmcnt(3)
	v_pk_fma_f16 v25, v65, v59, v25 op_sel_hi:[1,0,1]
	v_pk_fma_f16 v26, v66, v59, v26 op_sel_hi:[1,0,1]
	s_delay_alu instid0(VALU_DEP_2) | instskip(NEXT) | instid1(VALU_DEP_2)
	v_pk_fma_f16 v25, v67, v59, v25 op_sel:[0,1,0]
	v_pk_fma_f16 v26, v68, v59, v26 op_sel:[0,1,0]
	ds_load_2addr_b64 v[65:68], v52 offset0:64 offset1:96
	s_waitcnt lgkmcnt(2)
	v_pk_fma_f16 v25, v53, v60, v25 op_sel_hi:[1,0,1]
	v_pk_fma_f16 v26, v54, v60, v26 op_sel_hi:[1,0,1]
	s_delay_alu instid0(VALU_DEP_2) | instskip(NEXT) | instid1(VALU_DEP_2)
	v_pk_fma_f16 v25, v55, v60, v25 op_sel:[0,1,0]
	v_pk_fma_f16 v26, v56, v60, v26 op_sel:[0,1,0]
	ds_load_2addr_b64 v[53:56], v52 offset0:128 offset1:160
	ds_load_2addr_b64 v[57:60], v52 offset0:192 offset1:224
	s_waitcnt lgkmcnt(3)
	v_pk_fma_f16 v25, v61, v69, v25 op_sel_hi:[1,0,1]
	v_pk_fma_f16 v26, v62, v69, v26 op_sel_hi:[1,0,1]
	s_delay_alu instid0(VALU_DEP_2) | instskip(NEXT) | instid1(VALU_DEP_2)
	v_pk_fma_f16 v25, v63, v69, v25 op_sel:[0,1,0]
	v_pk_fma_f16 v26, v64, v69, v26 op_sel:[0,1,0]
	ds_load_2addr_b64 v[61:64], v21 offset1:32
	s_waitcnt lgkmcnt(3)
	v_pk_fma_f16 v25, v65, v70, v25 op_sel_hi:[1,0,1]
	v_pk_fma_f16 v26, v66, v70, v26 op_sel_hi:[1,0,1]
	s_delay_alu instid0(VALU_DEP_2) | instskip(NEXT) | instid1(VALU_DEP_2)
	v_pk_fma_f16 v25, v67, v70, v25 op_sel:[0,1,0]
	v_pk_fma_f16 v26, v68, v70, v26 op_sel:[0,1,0]
	ds_load_b128 v[65:68], v37 offset:96
	s_waitcnt lgkmcnt(3)
	v_pk_fma_f16 v25, v53, v71, v25 op_sel_hi:[1,0,1]
	v_pk_fma_f16 v26, v54, v71, v26 op_sel_hi:[1,0,1]
	ds_load_2addr_b64 v[51:54], v21 offset0:64 offset1:96
	v_pk_fma_f16 v25, v55, v71, v25 op_sel:[0,1,0]
	v_pk_fma_f16 v26, v56, v71, v26 op_sel:[0,1,0]
	s_waitcnt lgkmcnt(3)
	s_delay_alu instid0(VALU_DEP_2) | instskip(NEXT) | instid1(VALU_DEP_2)
	v_pk_fma_f16 v25, v57, v72, v25 op_sel_hi:[1,0,1]
	v_pk_fma_f16 v26, v58, v72, v26 op_sel_hi:[1,0,1]
	s_delay_alu instid0(VALU_DEP_2) | instskip(NEXT) | instid1(VALU_DEP_2)
	v_pk_fma_f16 v25, v59, v72, v25 op_sel:[0,1,0]
	v_pk_fma_f16 v26, v60, v72, v26 op_sel:[0,1,0]
	ds_load_2addr_b64 v[55:58], v21 offset0:128 offset1:160
	ds_load_b128 v[69:72], v37 offset:112
	s_waitcnt lgkmcnt(3)
	v_pk_fma_f16 v25, v61, v65, v25 op_sel_hi:[1,0,1]
	v_pk_fma_f16 v26, v62, v65, v26 op_sel_hi:[1,0,1]
	ds_load_2addr_b64 v[59:62], v21 offset0:192 offset1:224
	v_pk_fma_f16 v25, v63, v65, v25 op_sel:[0,1,0]
	v_pk_fma_f16 v26, v64, v65, v26 op_sel:[0,1,0]
	s_waitcnt lgkmcnt(3)
	s_delay_alu instid0(VALU_DEP_2) | instskip(NEXT) | instid1(VALU_DEP_2)
	v_pk_fma_f16 v21, v51, v66, v25 op_sel_hi:[1,0,1]
	v_pk_fma_f16 v25, v52, v66, v26 op_sel_hi:[1,0,1]
	s_delay_alu instid0(VALU_DEP_2) | instskip(NEXT) | instid1(VALU_DEP_2)
	v_pk_fma_f16 v21, v53, v66, v21 op_sel:[0,1,0]
	v_pk_fma_f16 v25, v54, v66, v25 op_sel:[0,1,0]
	ds_load_2addr_b64 v[51:54], v20 offset1:32
	s_waitcnt lgkmcnt(3)
	v_pk_fma_f16 v21, v55, v67, v21 op_sel_hi:[1,0,1]
	v_pk_fma_f16 v25, v56, v67, v25 op_sel_hi:[1,0,1]
	s_delay_alu instid0(VALU_DEP_2) | instskip(NEXT) | instid1(VALU_DEP_2)
	v_pk_fma_f16 v21, v57, v67, v21 op_sel:[0,1,0]
	v_pk_fma_f16 v25, v58, v67, v25 op_sel:[0,1,0]
	ds_load_2addr_b64 v[55:58], v20 offset0:64 offset1:96
	s_waitcnt lgkmcnt(2)
	v_pk_fma_f16 v21, v59, v68, v21 op_sel_hi:[1,0,1]
	v_pk_fma_f16 v25, v60, v68, v25 op_sel_hi:[1,0,1]
	s_delay_alu instid0(VALU_DEP_2) | instskip(NEXT) | instid1(VALU_DEP_2)
	v_pk_fma_f16 v21, v61, v68, v21 op_sel:[0,1,0]
	v_pk_fma_f16 v25, v62, v68, v25 op_sel:[0,1,0]
	ds_load_2addr_b64 v[59:62], v20 offset0:128 offset1:160
	;; [unrolled: 7-line block ×3, first 2 shown]
	s_waitcnt lgkmcnt(0)
	s_barrier
	v_pk_fma_f16 v20, v55, v70, v21 op_sel_hi:[1,0,1]
	v_pk_fma_f16 v21, v56, v70, v25 op_sel_hi:[1,0,1]
	buffer_gl0_inv
	s_load_b32 s21, s[2:3], 0x4
	v_pk_fma_f16 v20, v57, v70, v20 op_sel:[0,1,0]
	v_pk_fma_f16 v21, v58, v70, v21 op_sel:[0,1,0]
	s_delay_alu instid0(VALU_DEP_2) | instskip(NEXT) | instid1(VALU_DEP_2)
	v_pk_fma_f16 v20, v59, v71, v20 op_sel_hi:[1,0,1]
	v_pk_fma_f16 v21, v60, v71, v21 op_sel_hi:[1,0,1]
	s_delay_alu instid0(VALU_DEP_2) | instskip(SKIP_1) | instid1(VALU_DEP_3)
	v_pk_fma_f16 v25, v61, v71, v20 op_sel:[0,1,0]
	v_add_f32_e32 v20, v149, v150
	v_pk_fma_f16 v21, v62, v71, v21 op_sel:[0,1,0]
	s_delay_alu instid0(VALU_DEP_3) | instskip(NEXT) | instid1(VALU_DEP_3)
	v_pk_fma_f16 v25, v51, v72, v25 op_sel_hi:[1,0,1]
	v_fmac_f32_e32 v20, v50, v151
	s_delay_alu instid0(VALU_DEP_3)
	v_pk_fma_f16 v21, v52, v72, v21 op_sel_hi:[1,0,1]
	s_waitcnt lgkmcnt(0)
	s_lshl_b32 s21, s21, 6
	v_pk_fma_f16 v25, v53, v72, v25 op_sel:[0,1,0]
	s_add_i32 s8, s21, s8
	v_pk_fma_f16 v26, v54, v72, v21 op_sel:[0,1,0]
	s_cmp_lt_i32 s8, s6
	s_cbranch_scc0 .LBB90_24
; %bb.21:                               ;   in Loop: Header=BB90_8 Depth=1
	v_dual_mov_b32 v51, v5 :: v_dual_mov_b32 v50, v20
	s_branch .LBB90_8
.LBB90_22:                              ;   in Loop: Header=BB90_8 Depth=1
	v_mov_b32_e32 v53, 0
	v_cmp_ngt_f32_e64 s21, 0x3f200000, |v52|
                                        ; implicit-def: $vgpr55
	s_delay_alu instid0(VALU_DEP_1) | instskip(NEXT) | instid1(SALU_CYCLE_1)
	s_and_saveexec_b32 s22, s21
	s_xor_b32 s21, exec_lo, s22
	s_cbranch_execz .LBB90_15
	s_branch .LBB90_14
.LBB90_23:
	v_mov_b32_e32 v25, 0
.LBB90_24:
	s_cmp_gt_i32 s42, s8
	s_cbranch_scc1 .LBB90_26
; %bb.25:
	v_mbcnt_lo_u32_b32 v8, -1, 0
	v_mov_b32_e32 v9, 32
	s_delay_alu instid0(VALU_DEP_2)
	v_xor_b32_e32 v0, 16, v8
	v_xor_b32_e32 v1, 8, v8
	;; [unrolled: 1-line block ×5, first 2 shown]
	s_cbranch_execz .LBB90_27
	s_branch .LBB90_46
.LBB90_26:
                                        ; implicit-def: $vgpr8
                                        ; implicit-def: $vgpr9
                                        ; implicit-def: $vgpr0
                                        ; implicit-def: $vgpr1
                                        ; implicit-def: $vgpr2
                                        ; implicit-def: $vgpr6
                                        ; implicit-def: $vgpr7
.LBB90_27:
	v_lshl_add_u32 v15, v28, 2, v34
	s_mul_hi_i32 s3, s8, s17
	s_mul_i32 s2, s8, s17
	s_sub_i32 s18, s42, s8
	s_lshl_b64 s[2:3], s[2:3], 2
	v_mul_lo_u32 v6, s17, v15
	s_add_u32 s4, s4, s2
	v_dual_mov_b32 v9, 0 :: v_dual_lshlrev_b32 v16, 2, v35
	s_addc_u32 s5, s5, s3
	s_mov_b32 s20, 0
	s_mov_b64 s[6:7], src_private_base
	s_mov_b32 s21, s20
	s_delay_alu instid0(VALU_DEP_2) | instskip(SKIP_3) | instid1(VALU_DEP_2)
	v_ashrrev_i32_e32 v7, 31, v6
	s_mov_b32 s22, s20
	s_lshl_b32 s6, s17, 4
	v_add_nc_u32_e32 v17, 32, v15
	v_lshlrev_b64 v[0:1], 2, v[6:7]
	v_add_nc_u32_e32 v6, s6, v6
	s_delay_alu instid0(VALU_DEP_2) | instskip(NEXT) | instid1(VALU_DEP_3)
	v_add_co_u32 v0, vcc_lo, s4, v0
	v_add_co_ci_u32_e32 v1, vcc_lo, s5, v1, vcc_lo
	s_delay_alu instid0(VALU_DEP_2) | instskip(NEXT) | instid1(VALU_DEP_2)
	v_add_co_u32 v19, vcc_lo, v0, v16
	v_add_co_ci_u32_e32 v21, vcc_lo, 0, v1, vcc_lo
	v_cmp_gt_i32_e32 vcc_lo, s18, v15
	v_dual_mov_b32 v0, s20 :: v_dual_mov_b32 v1, s21
	v_mov_b32_e32 v2, s22
	v_add_nc_u32_e32 v10, 16, v15
	v_cndmask_b32_e32 v8, s7, v21, vcc_lo
	v_cndmask_b32_e32 v7, 0, v19, vcc_lo
	s_clause 0x1
	scratch_store_b32 off, v9, off
	scratch_store_b96 off, v[0:2], off offset:4
	flat_load_b128 v[11:14], v[7:8]
	v_ashrrev_i32_e32 v7, 31, v6
	s_clause 0x1
	scratch_store_b32 off, v9, off
	scratch_store_b96 off, v[0:2], off offset:4
	v_lshlrev_b64 v[7:8], 2, v[6:7]
	v_add_nc_u32_e32 v6, s6, v6
	s_delay_alu instid0(VALU_DEP_2) | instskip(NEXT) | instid1(VALU_DEP_1)
	v_add_co_u32 v7, s2, s4, v7
	v_add_co_ci_u32_e64 v8, s2, s5, v8, s2
	s_delay_alu instid0(VALU_DEP_2) | instskip(NEXT) | instid1(VALU_DEP_1)
	v_add_co_u32 v40, s2, v7, v16
	v_add_co_ci_u32_e64 v41, s2, 0, v8, s2
	v_cmp_gt_i32_e64 s2, s18, v10
	v_mad_u32_u24 v10, 0x90, v15, v16
	s_delay_alu instid0(VALU_DEP_2)
	v_cndmask_b32_e64 v8, s7, v41, s2
	v_cndmask_b32_e64 v7, 0, v40, s2
	s_waitcnt vmcnt(0) lgkmcnt(0)
	ds_store_b128 v10, v[11:14]
	flat_load_b128 v[11:14], v[7:8]
	v_ashrrev_i32_e32 v7, 31, v6
	s_clause 0x1
	scratch_store_b32 off, v9, off
	scratch_store_b96 off, v[0:2], off offset:4
	v_lshlrev_b64 v[7:8], 2, v[6:7]
	v_add_nc_u32_e32 v6, s6, v6
	s_delay_alu instid0(VALU_DEP_2) | instskip(NEXT) | instid1(VALU_DEP_1)
	v_add_co_u32 v7, s3, s4, v7
	v_add_co_ci_u32_e64 v8, s3, s5, v8, s3
	s_delay_alu instid0(VALU_DEP_2) | instskip(NEXT) | instid1(VALU_DEP_1)
	v_add_co_u32 v42, s3, v7, v16
	v_add_co_ci_u32_e64 v43, s3, 0, v8, s3
	v_cmp_gt_i32_e64 s3, s18, v17
	s_delay_alu instid0(VALU_DEP_1) | instskip(NEXT) | instid1(VALU_DEP_4)
	v_cndmask_b32_e64 v8, s7, v43, s3
	v_cndmask_b32_e64 v7, 0, v42, s3
	s_waitcnt vmcnt(0) lgkmcnt(0)
	ds_store_b128 v10, v[11:14] offset:2304
	flat_load_b128 v[11:14], v[7:8]
	v_ashrrev_i32_e32 v7, 31, v6
	v_add_nc_u32_e32 v8, 48, v15
	s_clause 0x1
	scratch_store_b32 off, v9, off
	scratch_store_b96 off, v[0:2], off offset:4
	v_lshlrev_b64 v[6:7], 2, v[6:7]
	s_delay_alu instid0(VALU_DEP_1) | instskip(NEXT) | instid1(VALU_DEP_1)
	v_add_co_u32 v6, s4, s4, v6
	v_add_co_ci_u32_e64 v7, s4, s5, v7, s4
	v_add_co_u32 v19, s5, 0x80, v19
	s_delay_alu instid0(VALU_DEP_3) | instskip(NEXT) | instid1(VALU_DEP_1)
	v_add_co_u32 v44, s4, v6, v16
	v_add_co_ci_u32_e64 v45, s4, 0, v7, s4
	v_cmp_gt_i32_e64 s4, s18, v8
	v_lshlrev_b32_e32 v8, 8, v28
	v_add_co_ci_u32_e64 v21, s5, 0, v21, s5
	v_cndmask_b32_e32 v38, 0, v19, vcc_lo
	s_delay_alu instid0(VALU_DEP_4) | instskip(SKIP_1) | instid1(VALU_DEP_4)
	v_cndmask_b32_e64 v7, s7, v45, s4
	v_cndmask_b32_e64 v6, 0, v44, s4
	v_cndmask_b32_e32 v39, s7, v21, vcc_lo
	s_waitcnt vmcnt(0) lgkmcnt(0)
	ds_store_b128 v10, v[11:14] offset:4608
	flat_load_b128 v[11:14], v[6:7]
	v_dual_mov_b32 v7, 0 :: v_dual_mov_b32 v6, 0
	s_waitcnt vmcnt(0) lgkmcnt(0)
	ds_store_b128 v10, v[11:14] offset:6912
	s_waitcnt lgkmcnt(0)
	s_waitcnt_vscnt null, 0x0
	s_barrier
	buffer_gl0_inv
	ds_load_b128 v[11:14], v33
	ds_load_b128 v[15:18], v8 offset:9216
	ds_load_b128 v[34:37], v33 offset:4608
	s_waitcnt lgkmcnt(1)
	;;#ASMSTART
	v_dot2_f32_f16 v7, v11, v15, v7
	;;#ASMEND
	;;#ASMSTART
	v_dot2_f32_f16 v7, v12, v16, v7
	;;#ASMEND
	;;#ASMSTART
	v_dot2_f32_f16 v7, v13, v17, v7
	;;#ASMEND
	;;#ASMSTART
	v_dot2_f32_f16 v7, v14, v18, v7
	;;#ASMEND
	s_waitcnt lgkmcnt(0)
	;;#ASMSTART
	v_dot2_f32_f16 v6, v34, v15, v6
	;;#ASMEND
	;;#ASMSTART
	v_dot2_f32_f16 v6, v35, v16, v6
	;;#ASMEND
	;;#ASMSTART
	v_dot2_f32_f16 v6, v36, v17, v6
	;;#ASMEND
	;;#ASMSTART
	v_dot2_f32_f16 v6, v37, v18, v6
	;;#ASMEND
	ds_load_b128 v[11:14], v33 offset:16
	ds_load_b128 v[15:18], v8 offset:9232
	ds_load_b128 v[34:37], v33 offset:4624
	s_waitcnt lgkmcnt(1)
	;;#ASMSTART
	v_dot2_f32_f16 v7, v11, v15, v7
	;;#ASMEND
	;;#ASMSTART
	v_dot2_f32_f16 v7, v12, v16, v7
	;;#ASMEND
	;;#ASMSTART
	v_dot2_f32_f16 v7, v13, v17, v7
	;;#ASMEND
	;;#ASMSTART
	v_dot2_f32_f16 v7, v14, v18, v7
	;;#ASMEND
	s_waitcnt lgkmcnt(0)
	;;#ASMSTART
	v_dot2_f32_f16 v6, v34, v15, v6
	;;#ASMEND
	;;#ASMSTART
	v_dot2_f32_f16 v6, v35, v16, v6
	;;#ASMEND
	;;#ASMSTART
	v_dot2_f32_f16 v6, v36, v17, v6
	;;#ASMEND
	;;#ASMSTART
	v_dot2_f32_f16 v6, v37, v18, v6
	;;#ASMEND
	ds_load_b128 v[11:14], v33 offset:32
	;; [unrolled: 29-line block ×7, first 2 shown]
	ds_load_b128 v[15:18], v8 offset:9328
	ds_load_b128 v[34:37], v33 offset:4720
	s_waitcnt lgkmcnt(1)
	;;#ASMSTART
	v_dot2_f32_f16 v7, v11, v15, v7
	;;#ASMEND
	;;#ASMSTART
	v_dot2_f32_f16 v7, v12, v16, v7
	;;#ASMEND
	;; [unrolled: 3-line block ×4, first 2 shown]
	s_waitcnt lgkmcnt(0)
	;;#ASMSTART
	v_dot2_f32_f16 v6, v34, v15, v6
	;;#ASMEND
	;;#ASMSTART
	v_dot2_f32_f16 v6, v35, v16, v6
	;;#ASMEND
	;; [unrolled: 3-line block ×4, first 2 shown]
	s_barrier
	buffer_gl0_inv
	s_clause 0x1
	scratch_store_b32 off, v9, off
	scratch_store_b96 off, v[0:2], off offset:4
	flat_load_b128 v[11:14], v[38:39]
	v_add_co_u32 v15, vcc_lo, 0x80, v40
	v_add_co_ci_u32_e32 v16, vcc_lo, 0, v41, vcc_lo
	s_clause 0x1
	scratch_store_b32 off, v9, off
	scratch_store_b96 off, v[0:2], off offset:4
	v_cndmask_b32_e64 v15, 0, v15, s2
	v_cndmask_b32_e64 v16, s7, v16, s2
	s_waitcnt vmcnt(0) lgkmcnt(0)
	ds_store_b128 v10, v[11:14]
	flat_load_b128 v[11:14], v[15:16]
	v_add_co_u32 v15, vcc_lo, 0x80, v42
	v_add_co_ci_u32_e32 v16, vcc_lo, 0, v43, vcc_lo
	s_clause 0x1
	scratch_store_b32 off, v9, off
	scratch_store_b96 off, v[0:2], off offset:4
	v_cndmask_b32_e64 v15, 0, v15, s3
	v_cndmask_b32_e64 v16, s7, v16, s3
	s_waitcnt vmcnt(0) lgkmcnt(0)
	ds_store_b128 v10, v[11:14] offset:2304
	flat_load_b128 v[11:14], v[15:16]
	v_add_co_u32 v15, vcc_lo, 0x80, v44
	v_add_co_ci_u32_e32 v16, vcc_lo, 0, v45, vcc_lo
	s_clause 0x1
	scratch_store_b32 off, v9, off
	scratch_store_b96 off, v[0:2], off offset:4
	v_cndmask_b32_e64 v15, 0, v15, s4
                                        ; implicit-def: $vgpr0
	v_cndmask_b32_e64 v16, s7, v16, s4
	s_waitcnt vmcnt(0) lgkmcnt(0)
	ds_store_b128 v10, v[11:14] offset:4608
	flat_load_b128 v[11:14], v[15:16]
	s_waitcnt vmcnt(0) lgkmcnt(0)
	ds_store_b128 v10, v[11:14] offset:6912
	s_waitcnt lgkmcnt(0)
	s_waitcnt_vscnt null, 0x0
	s_barrier
	buffer_gl0_inv
	ds_load_b128 v[9:12], v33
	ds_load_b128 v[13:16], v8 offset:9344
	ds_load_b128 v[34:37], v33 offset:4608
	s_waitcnt lgkmcnt(1)
	;;#ASMSTART
	v_dot2_f32_f16 v7, v9, v13, v7
	;;#ASMEND
	;;#ASMSTART
	v_dot2_f32_f16 v7, v10, v14, v7
	;;#ASMEND
	;;#ASMSTART
	v_dot2_f32_f16 v7, v11, v15, v7
	;;#ASMEND
	;;#ASMSTART
	v_dot2_f32_f16 v7, v12, v16, v7
	;;#ASMEND
	s_waitcnt lgkmcnt(0)
	;;#ASMSTART
	v_dot2_f32_f16 v6, v34, v13, v6
	;;#ASMEND
	;;#ASMSTART
	v_dot2_f32_f16 v6, v35, v14, v6
	;;#ASMEND
	;;#ASMSTART
	v_dot2_f32_f16 v6, v36, v15, v6
	;;#ASMEND
	;;#ASMSTART
	v_dot2_f32_f16 v6, v37, v16, v6
	;;#ASMEND
	ds_load_b128 v[9:12], v33 offset:16
	ds_load_b128 v[13:16], v8 offset:9360
	ds_load_b128 v[34:37], v33 offset:4624
	s_waitcnt lgkmcnt(1)
	;;#ASMSTART
	v_dot2_f32_f16 v7, v9, v13, v7
	;;#ASMEND
	;;#ASMSTART
	v_dot2_f32_f16 v7, v10, v14, v7
	;;#ASMEND
	;;#ASMSTART
	v_dot2_f32_f16 v7, v11, v15, v7
	;;#ASMEND
	;;#ASMSTART
	v_dot2_f32_f16 v7, v12, v16, v7
	;;#ASMEND
	s_waitcnt lgkmcnt(0)
	;;#ASMSTART
	v_dot2_f32_f16 v6, v34, v13, v6
	;;#ASMEND
	;;#ASMSTART
	v_dot2_f32_f16 v6, v35, v14, v6
	;;#ASMEND
	;;#ASMSTART
	v_dot2_f32_f16 v6, v36, v15, v6
	;;#ASMEND
	;;#ASMSTART
	v_dot2_f32_f16 v6, v37, v16, v6
	;;#ASMEND
	ds_load_b128 v[9:12], v33 offset:32
	;; [unrolled: 29-line block ×7, first 2 shown]
	ds_load_b128 v[13:16], v8 offset:9456
	ds_load_b128 v[33:36], v33 offset:4720
	s_waitcnt lgkmcnt(1)
	;;#ASMSTART
	v_dot2_f32_f16 v7, v9, v13, v7
	;;#ASMEND
	;;#ASMSTART
	v_dot2_f32_f16 v7, v10, v14, v7
	;;#ASMEND
	;; [unrolled: 3-line block ×4, first 2 shown]
	v_cmp_ngt_f32_e64 s2, 0x3f200000, |v7|
	s_waitcnt lgkmcnt(0)
	;;#ASMSTART
	v_dot2_f32_f16 v6, v33, v13, v6
	;;#ASMEND
	;;#ASMSTART
	v_dot2_f32_f16 v6, v34, v14, v6
	;;#ASMEND
	;; [unrolled: 3-line block ×4, first 2 shown]
	s_and_saveexec_b32 s3, s2
	s_delay_alu instid0(SALU_CYCLE_1)
	s_xor_b32 s2, exec_lo, s3
	s_cbranch_execz .LBB90_29
; %bb.28:
	v_add_f32_e64 v0, |v7|, |v7|
	s_delay_alu instid0(VALU_DEP_1) | instskip(SKIP_1) | instid1(VALU_DEP_2)
	v_mul_f32_e32 v1, 0x3fb8aa3b, v0
	v_cmp_ngt_f32_e32 vcc_lo, 0xc2ce8ed0, v0
	v_rndne_f32_e32 v2, v1
	v_fma_f32 v8, 0x3fb8aa3b, v0, -v1
	s_delay_alu instid0(VALU_DEP_1) | instskip(SKIP_1) | instid1(VALU_DEP_2)
	v_dual_sub_f32 v1, v1, v2 :: v_dual_fmamk_f32 v8, v0, 0x32a5705f, v8
	v_cvt_i32_f32_e32 v2, v2
	v_add_f32_e32 v1, v1, v8
	s_delay_alu instid0(VALU_DEP_1) | instskip(SKIP_2) | instid1(VALU_DEP_1)
	v_exp_f32_e32 v1, v1
	s_waitcnt_depctr 0xfff
	v_ldexp_f32 v1, v1, v2
	v_cndmask_b32_e32 v1, 0, v1, vcc_lo
	v_cmp_nlt_f32_e32 vcc_lo, 0x42b17218, v0
	s_delay_alu instid0(VALU_DEP_2) | instskip(NEXT) | instid1(VALU_DEP_1)
	v_cndmask_b32_e32 v0, 0x7f800000, v1, vcc_lo
	v_add_f32_e32 v0, 1.0, v0
	s_delay_alu instid0(VALU_DEP_1)
	v_rcp_f32_e32 v0, v0
	s_waitcnt_depctr 0xfff
	v_fma_f32 v0, v0, -2.0, 1.0
.LBB90_29:
	s_and_not1_saveexec_b32 s2, s2
; %bb.30:
	v_mul_f32_e32 v0, v7, v7
	s_mov_b32 s3, 0xbbbac73d
	s_delay_alu instid0(VALU_DEP_1) | instid1(SALU_CYCLE_1)
	v_fmaak_f32 v1, s3, v0, 0x3ca908c9
	s_delay_alu instid0(VALU_DEP_1) | instskip(NEXT) | instid1(VALU_DEP_1)
	v_fmaak_f32 v1, v0, v1, 0xbd5c1c4e
	v_fmaak_f32 v1, v0, v1, 0x3e088382
	s_delay_alu instid0(VALU_DEP_1) | instskip(NEXT) | instid1(VALU_DEP_1)
	v_fmaak_f32 v1, v0, v1, 0xbeaaaa99
	v_mul_f32_e64 v1, |v7|, v1
	s_delay_alu instid0(VALU_DEP_1)
	v_fma_f32 v0, v0, v1, |v7|
; %bb.31:
	s_or_b32 exec_lo, exec_lo, s2
	s_delay_alu instid0(VALU_DEP_1) | instskip(SKIP_3) | instid1(VALU_DEP_2)
	v_bfi_b32 v2, 0x7fffffff, v0, v7
	s_cmp_lg_u64 s[40:41], 0
	v_mad_u64_u32 v[0:1], null, v32, s16, s[8:9]
	s_cselect_b32 s3, -1, 0
	v_dual_mul_f32 v9, s23, v2 :: v_dual_mov_b32 v2, v5
	v_cndmask_b32_e64 v1, 0, 1, s3
	s_mov_b32 s2, exec_lo
	v_cmpx_gt_i32_e64 s18, v3
	s_cbranch_execz .LBB90_36
; %bb.32:
	s_and_not1_b32 vcc_lo, exec_lo, s3
	s_cbranch_vccnz .LBB90_34
; %bb.33:
	v_add_nc_u32_e32 v7, v0, v3
	s_delay_alu instid0(VALU_DEP_1) | instskip(NEXT) | instid1(VALU_DEP_1)
	v_ashrrev_i32_e32 v8, 31, v7
	v_lshlrev_b64 v[7:8], 1, v[7:8]
	s_delay_alu instid0(VALU_DEP_1) | instskip(NEXT) | instid1(VALU_DEP_2)
	v_add_co_u32 v7, vcc_lo, s40, v7
	v_add_co_ci_u32_e32 v8, vcc_lo, s41, v8, vcc_lo
	flat_load_u16 v2, v[7:8]
	s_waitcnt vmcnt(0) lgkmcnt(0)
	v_cvt_f32_f16_e32 v2, v2
	s_delay_alu instid0(VALU_DEP_1)
	v_mul_f32_e32 v2, v29, v2
	s_branch .LBB90_35
.LBB90_34:
	v_mov_b32_e32 v2, 0
.LBB90_35:
	s_delay_alu instid0(VALU_DEP_1) | instskip(SKIP_1) | instid1(VALU_DEP_2)
	v_add_f32_e32 v9, v9, v2
	v_max_f32_e32 v7, v5, v5
	v_add_f32_e32 v2, 0x40051340, v9
	s_delay_alu instid0(VALU_DEP_1)
	v_max_f32_e32 v2, v7, v2
.LBB90_36:
	s_or_b32 exec_lo, exec_lo, s2
	v_cmp_ngt_f32_e64 s2, 0x3f200000, |v6|
                                        ; implicit-def: $vgpr7
	s_delay_alu instid0(VALU_DEP_1) | instskip(NEXT) | instid1(SALU_CYCLE_1)
	s_and_saveexec_b32 s3, s2
	s_xor_b32 s2, exec_lo, s3
	s_cbranch_execz .LBB90_38
; %bb.37:
	v_add_f32_e64 v7, |v6|, |v6|
	s_delay_alu instid0(VALU_DEP_1) | instskip(SKIP_1) | instid1(VALU_DEP_2)
	v_mul_f32_e32 v8, 0x3fb8aa3b, v7
	v_cmp_ngt_f32_e32 vcc_lo, 0xc2ce8ed0, v7
	v_rndne_f32_e32 v10, v8
	v_fma_f32 v11, 0x3fb8aa3b, v7, -v8
	s_delay_alu instid0(VALU_DEP_1) | instskip(SKIP_1) | instid1(VALU_DEP_2)
	v_dual_sub_f32 v8, v8, v10 :: v_dual_fmamk_f32 v11, v7, 0x32a5705f, v11
	v_cvt_i32_f32_e32 v10, v10
	v_add_f32_e32 v8, v8, v11
	s_delay_alu instid0(VALU_DEP_1) | instskip(SKIP_2) | instid1(VALU_DEP_1)
	v_exp_f32_e32 v8, v8
	s_waitcnt_depctr 0xfff
	v_ldexp_f32 v8, v8, v10
	v_cndmask_b32_e32 v8, 0, v8, vcc_lo
	v_cmp_nlt_f32_e32 vcc_lo, 0x42b17218, v7
	s_delay_alu instid0(VALU_DEP_2) | instskip(NEXT) | instid1(VALU_DEP_1)
	v_cndmask_b32_e32 v7, 0x7f800000, v8, vcc_lo
	v_add_f32_e32 v7, 1.0, v7
	s_delay_alu instid0(VALU_DEP_1)
	v_rcp_f32_e32 v7, v7
	s_waitcnt_depctr 0xfff
	v_fma_f32 v7, v7, -2.0, 1.0
.LBB90_38:
	s_and_not1_saveexec_b32 s2, s2
; %bb.39:
	v_mul_f32_e32 v7, v6, v6
	s_mov_b32 s3, 0xbbbac73d
	s_delay_alu instid0(VALU_DEP_1) | instid1(SALU_CYCLE_1)
	v_fmaak_f32 v8, s3, v7, 0x3ca908c9
	s_delay_alu instid0(VALU_DEP_1) | instskip(NEXT) | instid1(VALU_DEP_1)
	v_fmaak_f32 v8, v7, v8, 0xbd5c1c4e
	v_fmaak_f32 v8, v7, v8, 0x3e088382
	s_delay_alu instid0(VALU_DEP_1) | instskip(NEXT) | instid1(VALU_DEP_1)
	v_fmaak_f32 v8, v7, v8, 0xbeaaaa99
	v_mul_f32_e64 v8, |v6|, v8
	s_delay_alu instid0(VALU_DEP_1)
	v_fma_f32 v7, v7, v8, |v6|
; %bb.40:
	s_or_b32 exec_lo, exec_lo, s2
	s_delay_alu instid0(VALU_DEP_1) | instskip(SKIP_2) | instid1(VALU_DEP_2)
	v_bfi_b32 v6, 0x7fffffff, v7, v6
	v_add_nc_u32_e32 v11, 32, v3
	s_mov_b32 s2, exec_lo
	v_mul_f32_e32 v10, s23, v6
	s_delay_alu instid0(VALU_DEP_2)
	v_cmpx_gt_i32_e64 s18, v11
	s_cbranch_execz .LBB90_45
; %bb.41:
	v_cmp_ne_u32_e32 vcc_lo, 1, v1
	s_cbranch_vccnz .LBB90_43
; %bb.42:
	v_ashrrev_i32_e32 v1, 31, v0
	v_add_co_u32 v0, vcc_lo, v0, v3
	s_delay_alu instid0(VALU_DEP_2) | instskip(NEXT) | instid1(VALU_DEP_1)
	v_add_co_ci_u32_e32 v1, vcc_lo, 0, v1, vcc_lo
	v_lshlrev_b64 v[0:1], 1, v[0:1]
	s_delay_alu instid0(VALU_DEP_1) | instskip(NEXT) | instid1(VALU_DEP_2)
	v_add_co_u32 v0, vcc_lo, s40, v0
	v_add_co_ci_u32_e32 v1, vcc_lo, s41, v1, vcc_lo
	flat_load_u16 v0, v[0:1] offset:64
	s_waitcnt vmcnt(0) lgkmcnt(0)
	v_cvt_f32_f16_e32 v0, v0
	s_delay_alu instid0(VALU_DEP_1)
	v_mul_f32_e32 v0, v29, v0
	s_branch .LBB90_44
.LBB90_43:
	v_mov_b32_e32 v0, 0
.LBB90_44:
	s_delay_alu instid0(VALU_DEP_1) | instskip(SKIP_1) | instid1(VALU_DEP_2)
	v_add_f32_e32 v10, v10, v0
	v_max_f32_e32 v1, v2, v2
	v_add_f32_e32 v0, 0x40051340, v10
	s_delay_alu instid0(VALU_DEP_1)
	v_max_f32_e32 v2, v1, v0
.LBB90_45:
	s_or_b32 exec_lo, exec_lo, s2
	v_xor_b32_e32 v0, 16, v23
	s_mov_b32 s4, 0
	s_mul_hi_i32 s7, s8, s9
	s_mul_i32 s6, s8, s9
	s_mov_b32 s5, s4
	v_cmp_gt_i32_e32 vcc_lo, 32, v0
	s_lshl_b64 s[16:17], s[6:7], 2
	s_mov_b32 s6, s4
	v_lshl_add_u32 v19, v28, 1, v30
	s_mov_b64 s[2:3], src_private_base
	v_cndmask_b32_e32 v1, v23, v0, vcc_lo
	s_lshl_b32 s2, s9, 3
	s_add_u32 s7, s13, s16
	s_barrier
	s_delay_alu instid0(VALU_DEP_1)
	v_lshlrev_b32_e32 v1, 2, v1
	buffer_gl0_inv
	v_add_nc_u32_e32 v119, 0x800, v24
	v_add_nc_u32_e32 v121, 0x1000, v24
	;; [unrolled: 1-line block ×3, first 2 shown]
	ds_bpermute_b32 v6, v1, v2
	v_xor_b32_e32 v1, 8, v23
	v_dual_max_f32 v2, v2, v2 :: v_dual_lshlrev_b32 v21, 2, v31
	v_mov_b32_e32 v105, s6
	v_mov_b32_e32 v103, s4
	s_delay_alu instid0(VALU_DEP_4) | instskip(SKIP_4) | instid1(VALU_DEP_4)
	v_cmp_gt_i32_e32 vcc_lo, 32, v1
	v_add_nc_u32_e32 v113, 8, v19
	v_lshl_or_b32 v114, v19, 8, v21
	v_add_nc_u32_e32 v115, 16, v19
	v_add_nc_u32_e32 v117, 24, v19
	v_lshl_or_b32 v116, v113, 8, v21
	s_delay_alu instid0(VALU_DEP_3) | instskip(NEXT) | instid1(VALU_DEP_3)
	v_lshl_or_b32 v118, v115, 8, v21
	v_lshl_or_b32 v120, v117, 8, v21
	s_waitcnt lgkmcnt(0)
	v_dual_max_f32 v6, v6, v6 :: v_dual_cndmask_b32 v7, v23, v1
	s_delay_alu instid0(VALU_DEP_1) | instskip(SKIP_1) | instid1(VALU_DEP_1)
	v_max_f32_e32 v6, v2, v6
	v_xor_b32_e32 v2, 4, v23
	v_cmp_gt_i32_e32 vcc_lo, 32, v2
	s_delay_alu instid0(VALU_DEP_4) | instskip(SKIP_3) | instid1(VALU_DEP_1)
	v_dual_cndmask_b32 v8, v23, v2 :: v_dual_lshlrev_b32 v7, 2, v7
	ds_bpermute_b32 v7, v7, v6
	s_waitcnt lgkmcnt(0)
	v_dual_max_f32 v7, v7, v7 :: v_dual_lshlrev_b32 v8, 2, v8
	v_max_f32_e32 v7, v6, v7
	v_xor_b32_e32 v6, 2, v23
	s_delay_alu instid0(VALU_DEP_1)
	v_cmp_gt_i32_e32 vcc_lo, 32, v6
	v_cndmask_b32_e32 v12, v23, v6, vcc_lo
	ds_bpermute_b32 v8, v8, v7
	v_lshlrev_b32_e32 v12, 2, v12
	s_waitcnt lgkmcnt(0)
	v_max_f32_e32 v8, v8, v8
	s_delay_alu instid0(VALU_DEP_1) | instskip(SKIP_1) | instid1(VALU_DEP_1)
	v_max_f32_e32 v8, v7, v8
	v_xor_b32_e32 v7, 1, v23
	v_cmp_gt_i32_e32 vcc_lo, 32, v7
	v_cndmask_b32_e32 v13, v23, v7, vcc_lo
	s_delay_alu instid0(VALU_DEP_1) | instskip(SKIP_3) | instid1(VALU_DEP_1)
	v_lshlrev_b32_e32 v13, 2, v13
	ds_bpermute_b32 v12, v12, v8
	s_waitcnt lgkmcnt(0)
	v_max_f32_e32 v12, v12, v12
	v_max_f32_e32 v8, v8, v12
	ds_bpermute_b32 v12, v13, v8
	s_waitcnt lgkmcnt(0)
	v_max_f32_e32 v12, v12, v12
	s_delay_alu instid0(VALU_DEP_1) | instskip(NEXT) | instid1(VALU_DEP_1)
	v_max_f32_e32 v8, v8, v12
	v_sub_f32_e32 v12, v9, v8
	v_sub_f32_e32 v10, v10, v8
	v_sub_f32_e32 v5, v5, v8
	s_delay_alu instid0(VALU_DEP_2) | instskip(SKIP_1) | instid1(VALU_DEP_2)
	v_dual_mul_f32 v13, 0x3fb8aa3b, v12 :: v_dual_mul_f32 v14, 0x3fb8aa3b, v10
	v_cmp_ngt_f32_e32 vcc_lo, 0xc2ce8ed0, v12
	v_fma_f32 v15, 0x3fb8aa3b, v12, -v13
	v_rndne_f32_e32 v17, v13
	s_delay_alu instid0(VALU_DEP_4) | instskip(SKIP_3) | instid1(VALU_DEP_4)
	v_fma_f32 v16, 0x3fb8aa3b, v10, -v14
	v_rndne_f32_e32 v18, v14
	v_lshlrev_b32_e32 v9, 7, v28
	v_fmac_f32_e32 v15, 0x32a5705f, v12
	v_dual_sub_f32 v13, v13, v17 :: v_dual_fmac_f32 v16, 0x32a5705f, v10
	s_delay_alu instid0(VALU_DEP_4) | instskip(SKIP_2) | instid1(VALU_DEP_4)
	v_sub_f32_e32 v14, v14, v18
	v_cvt_i32_f32_e32 v18, v18
	v_add3_u32 v27, 0x2800, v9, v27
	v_add_f32_e32 v13, v13, v15
	v_cvt_i32_f32_e32 v15, v17
	v_add_f32_e32 v14, v14, v16
	v_mul_lo_u32 v16, s9, v19
	v_mov_b32_e32 v104, s5
	v_exp_f32_e32 v13, v13
	s_addc_u32 s4, s15, s17
	v_exp_f32_e32 v14, v14
	s_delay_alu instid0(VALU_DEP_2) | instskip(SKIP_4) | instid1(VALU_DEP_3)
	v_ashrrev_i32_e32 v17, 31, v16
	s_waitcnt_depctr 0xfff
	v_ldexp_f32 v13, v13, v15
	v_ldexp_f32 v14, v14, v18
	v_lshlrev_b64 v[17:18], 2, v[16:17]
	v_cndmask_b32_e32 v13, 0, v13, vcc_lo
	v_cmp_ngt_f32_e32 vcc_lo, 0xc2ce8ed0, v10
	s_delay_alu instid0(VALU_DEP_4) | instskip(NEXT) | instid1(VALU_DEP_4)
	v_cndmask_b32_e32 v14, 0, v14, vcc_lo
	v_add_co_u32 v15, vcc_lo, s7, v17
	v_add_co_ci_u32_e32 v28, vcc_lo, s4, v18, vcc_lo
	v_cmp_nlt_f32_e32 vcc_lo, 0x42b17218, v12
	v_cndmask_b32_e32 v12, 0x7f800000, v13, vcc_lo
	v_cmp_nlt_f32_e32 vcc_lo, 0x42b17218, v10
	v_cndmask_b32_e32 v13, 0x7f800000, v14, vcc_lo
	v_add_co_u32 v14, vcc_lo, v15, v21
	v_add_co_ci_u32_e32 v15, vcc_lo, 0, v28, vcc_lo
	v_cmp_gt_u32_e32 vcc_lo, s18, v3
	v_cndmask_b32_e32 v10, 0, v12, vcc_lo
	v_cmp_gt_u32_e32 vcc_lo, s18, v11
	v_cndmask_b32_e32 v11, 0, v13, vcc_lo
	v_cmp_gt_i32_e32 vcc_lo, s18, v19
	v_mov_b32_e32 v112, 0
	s_delay_alu instid0(VALU_DEP_3)
	v_cvt_f16_f32_e32 v28, v11
	v_cndmask_b32_e32 v13, s3, v15, vcc_lo
	v_cvt_f16_f32_e32 v15, v10
	s_clause 0x1
	scratch_store_b32 off, v112, off
	scratch_store_b96 off, v[103:105], off offset:4
	ds_store_b16 v27, v15
	ds_store_b16 v27, v28 offset:64
	v_add_nc_u32_e32 v27, s2, v16
	s_delay_alu instid0(VALU_DEP_1) | instskip(NEXT) | instid1(VALU_DEP_1)
	v_ashrrev_i32_e32 v28, 31, v27
	v_lshlrev_b64 v[106:107], 2, v[27:28]
	v_dual_cndmask_b32 v12, 0, v14 :: v_dual_add_nc_u32 v27, s2, v27
	v_add_f32_e32 v10, v10, v11
	s_delay_alu instid0(VALU_DEP_3)
	v_add_co_u32 v16, vcc_lo, s7, v106
	flat_load_b128 v[12:15], v[12:13]
	v_add_co_ci_u32_e32 v28, vcc_lo, s4, v107, vcc_lo
	v_add_co_u32 v16, vcc_lo, v16, v21
	s_clause 0x1
	scratch_store_b32 off, v112, off
	scratch_store_b96 off, v[103:105], off offset:4
	v_add_co_ci_u32_e32 v28, vcc_lo, 0, v28, vcc_lo
	v_cmp_gt_i32_e32 vcc_lo, s18, v113
	s_delay_alu instid0(VALU_DEP_2)
	v_cndmask_b32_e32 v29, s3, v28, vcc_lo
	v_cndmask_b32_e32 v28, 0, v16, vcc_lo
	s_waitcnt vmcnt(0) lgkmcnt(0)
	ds_store_b128 v114, v[12:15]
	flat_load_b128 v[12:15], v[28:29]
	v_ashrrev_i32_e32 v28, 31, v27
	s_clause 0x1
	scratch_store_b32 off, v112, off
	scratch_store_b96 off, v[103:105], off offset:4
	v_lshlrev_b64 v[108:109], 2, v[27:28]
	v_add_nc_u32_e32 v27, s2, v27
	s_or_b32 s2, s8, 32
	s_delay_alu instid0(SALU_CYCLE_1) | instskip(NEXT) | instid1(VALU_DEP_2)
	s_mul_hi_i32 s5, s2, s9
	v_add_co_u32 v16, vcc_lo, s7, v108
	s_delay_alu instid0(VALU_DEP_3) | instskip(NEXT) | instid1(VALU_DEP_2)
	v_add_co_ci_u32_e32 v28, vcc_lo, s4, v109, vcc_lo
	v_add_co_u32 v16, vcc_lo, v16, v21
	s_delay_alu instid0(VALU_DEP_2) | instskip(SKIP_1) | instid1(VALU_DEP_2)
	v_add_co_ci_u32_e32 v28, vcc_lo, 0, v28, vcc_lo
	v_cmp_gt_i32_e32 vcc_lo, s18, v115
	v_cndmask_b32_e32 v29, s3, v28, vcc_lo
	s_delay_alu instid0(VALU_DEP_4)
	v_cndmask_b32_e32 v28, 0, v16, vcc_lo
	s_waitcnt vmcnt(0) lgkmcnt(0)
	ds_store_b128 v116, v[12:15]
	flat_load_b128 v[12:15], v[28:29]
	v_ashrrev_i32_e32 v28, 31, v27
	s_clause 0x1
	scratch_store_b32 off, v112, off
	scratch_store_b96 off, v[103:105], off offset:4
	v_lshlrev_b64 v[110:111], 2, v[27:28]
	s_delay_alu instid0(VALU_DEP_1) | instskip(NEXT) | instid1(VALU_DEP_2)
	v_add_co_u32 v16, vcc_lo, s7, v110
	v_add_co_ci_u32_e32 v27, vcc_lo, s4, v111, vcc_lo
	s_mul_i32 s4, s2, s9
	s_delay_alu instid0(VALU_DEP_2) | instskip(NEXT) | instid1(VALU_DEP_2)
	v_add_co_u32 v16, vcc_lo, v16, v21
	v_add_co_ci_u32_e32 v27, vcc_lo, 0, v27, vcc_lo
	v_cmp_gt_i32_e32 vcc_lo, s18, v117
	s_lshl_b64 s[4:5], s[4:5], 2
	s_delay_alu instid0(SALU_CYCLE_1)
	s_add_u32 s2, s13, s4
	s_addc_u32 s4, s15, s5
	v_cndmask_b32_e32 v28, s3, v27, vcc_lo
	v_cndmask_b32_e32 v27, 0, v16, vcc_lo
	v_add_co_u32 v16, vcc_lo, s2, v17
	v_add_co_ci_u32_e32 v17, vcc_lo, s4, v18, vcc_lo
	s_sub_i32 s5, s18, 32
	s_delay_alu instid0(VALU_DEP_2) | instskip(NEXT) | instid1(VALU_DEP_2)
	v_add_co_u32 v16, vcc_lo, v16, v21
	v_add_co_ci_u32_e32 v17, vcc_lo, 0, v17, vcc_lo
	v_cmp_gt_i32_e32 vcc_lo, s5, v19
	s_delay_alu instid0(VALU_DEP_2) | instskip(NEXT) | instid1(VALU_DEP_4)
	v_cndmask_b32_e32 v100, s3, v17, vcc_lo
	v_cndmask_b32_e32 v99, 0, v16, vcc_lo
	v_add_co_u32 v106, vcc_lo, s2, v106
	v_add_co_ci_u32_e32 v107, vcc_lo, s4, v107, vcc_lo
	s_delay_alu instid0(VALU_DEP_2) | instskip(NEXT) | instid1(VALU_DEP_2)
	v_add_co_u32 v106, vcc_lo, v106, v21
	v_add_co_ci_u32_e32 v107, vcc_lo, 0, v107, vcc_lo
	v_cmp_gt_i32_e32 vcc_lo, s5, v113
	s_delay_alu instid0(VALU_DEP_3) | instskip(NEXT) | instid1(VALU_DEP_3)
	v_cndmask_b32_e32 v106, 0, v106, vcc_lo
	v_cndmask_b32_e32 v107, s3, v107, vcc_lo
	s_waitcnt vmcnt(0) lgkmcnt(0)
	ds_store_b128 v118, v[12:15]
	flat_load_b128 v[12:15], v[27:28]
	s_waitcnt vmcnt(0) lgkmcnt(0)
	ds_store_b128 v120, v[12:15]
	s_waitcnt lgkmcnt(0)
	s_waitcnt_vscnt null, 0x0
	s_barrier
	buffer_gl0_inv
	ds_load_2addr_b64 v[12:15], v24 offset1:32
	ds_load_b128 v[16:19], v9 offset:10240
	ds_load_b128 v[27:30], v9 offset:10256
	;; [unrolled: 1-line block ×4, first 2 shown]
	ds_load_2addr_b64 v[39:42], v24 offset0:64 offset1:96
	ds_load_2addr_b64 v[43:46], v24 offset0:128 offset1:160
	ds_load_2addr_b64 v[47:50], v24 offset0:192 offset1:224
	ds_load_2addr_b64 v[51:54], v119 offset1:32
	ds_load_2addr_b64 v[55:58], v119 offset0:64 offset1:96
	ds_load_2addr_b64 v[59:62], v119 offset0:128 offset1:160
	ds_load_2addr_b64 v[63:66], v119 offset0:192 offset1:224
	ds_load_2addr_b64 v[67:70], v121 offset1:32
	;; [unrolled: 4-line block ×3, first 2 shown]
	ds_load_2addr_b64 v[87:90], v122 offset0:64 offset1:96
	ds_load_2addr_b64 v[91:94], v122 offset0:128 offset1:160
	;; [unrolled: 1-line block ×3, first 2 shown]
	s_waitcnt lgkmcnt(0)
	s_barrier
	buffer_gl0_inv
	s_clause 0x1
	scratch_store_b32 off, v112, off
	scratch_store_b96 off, v[103:105], off offset:4
	flat_load_b128 v[99:102], v[99:100]
	s_clause 0x1
	scratch_store_b32 off, v112, off
	scratch_store_b96 off, v[103:105], off offset:4
	v_pk_mul_f16 v12, v12, v16 op_sel_hi:[1,0]
	v_pk_mul_f16 v13, v13, v16 op_sel_hi:[1,0]
	s_waitcnt vmcnt(0) lgkmcnt(0)
	ds_store_b128 v114, v[99:102]
	flat_load_b128 v[99:102], v[106:107]
	v_add_co_u32 v106, vcc_lo, s2, v108
	v_add_co_ci_u32_e32 v107, vcc_lo, s4, v109, vcc_lo
	s_clause 0x1
	scratch_store_b32 off, v112, off
	scratch_store_b96 off, v[103:105], off offset:4
	v_add_co_u32 v106, vcc_lo, v106, v21
	v_add_co_ci_u32_e32 v107, vcc_lo, 0, v107, vcc_lo
	v_cmp_gt_i32_e32 vcc_lo, s5, v115
	s_delay_alu instid0(VALU_DEP_2) | instskip(NEXT) | instid1(VALU_DEP_4)
	v_cndmask_b32_e32 v107, s3, v107, vcc_lo
	v_cndmask_b32_e32 v106, 0, v106, vcc_lo
	s_waitcnt vmcnt(0) lgkmcnt(0)
	ds_store_b128 v116, v[99:102]
	flat_load_b128 v[99:102], v[106:107]
	v_add_co_u32 v106, vcc_lo, s2, v110
	v_add_co_ci_u32_e32 v107, vcc_lo, s4, v111, vcc_lo
	s_clause 0x1
	scratch_store_b32 off, v112, off
	scratch_store_b96 off, v[103:105], off offset:4
	v_add_co_u32 v21, vcc_lo, v106, v21
	v_add_co_ci_u32_e32 v106, vcc_lo, 0, v107, vcc_lo
	v_cmp_gt_i32_e32 vcc_lo, s5, v117
	s_delay_alu instid0(VALU_DEP_2) | instskip(NEXT) | instid1(VALU_DEP_4)
	v_cndmask_b32_e32 v107, s3, v106, vcc_lo
	v_cndmask_b32_e32 v106, 0, v21, vcc_lo
	v_mul_f32_e32 v21, 0x3fb8aa3b, v5
	v_cmp_ngt_f32_e32 vcc_lo, 0xc2ce8ed0, v5
	s_delay_alu instid0(VALU_DEP_2) | instskip(SKIP_1) | instid1(VALU_DEP_2)
	v_fma_f32 v103, 0x3fb8aa3b, v5, -v21
	v_rndne_f32_e32 v104, v21
	v_fmac_f32_e32 v103, 0x32a5705f, v5
	s_delay_alu instid0(VALU_DEP_2) | instskip(NEXT) | instid1(VALU_DEP_1)
	v_sub_f32_e32 v21, v21, v104
	v_add_f32_e32 v21, v21, v103
	v_cvt_i32_f32_e32 v103, v104
	s_delay_alu instid0(VALU_DEP_2) | instskip(SKIP_2) | instid1(VALU_DEP_1)
	v_exp_f32_e32 v21, v21
	s_waitcnt_depctr 0xfff
	v_ldexp_f32 v21, v21, v103
	v_cndmask_b32_e32 v21, 0, v21, vcc_lo
	v_cmp_nlt_f32_e32 vcc_lo, 0x42b17218, v5
	s_delay_alu instid0(VALU_DEP_2) | instskip(NEXT) | instid1(VALU_DEP_1)
	v_cndmask_b32_e32 v5, 0x7f800000, v21, vcc_lo
	v_cvt_f16_f32_e32 v21, v5
	v_fmac_f32_e32 v10, v20, v5
	v_dual_mov_b32 v5, v8 :: v_dual_mov_b32 v8, v23
	s_delay_alu instid0(VALU_DEP_3) | instskip(SKIP_1) | instid1(VALU_DEP_4)
	v_pk_fma_f16 v12, v25, v21, v12 op_sel_hi:[1,0,1]
	v_pk_fma_f16 v13, v26, v21, v13 op_sel_hi:[1,0,1]
	v_mov_b32_e32 v20, v10
	s_delay_alu instid0(VALU_DEP_3) | instskip(NEXT) | instid1(VALU_DEP_3)
	v_pk_fma_f16 v12, v14, v16, v12 op_sel:[0,1,0]
	v_pk_fma_f16 v13, v15, v16, v13 op_sel:[0,1,0]
	s_delay_alu instid0(VALU_DEP_2) | instskip(NEXT) | instid1(VALU_DEP_2)
	v_pk_fma_f16 v12, v39, v17, v12 op_sel_hi:[1,0,1]
	v_pk_fma_f16 v13, v40, v17, v13 op_sel_hi:[1,0,1]
	s_delay_alu instid0(VALU_DEP_2) | instskip(NEXT) | instid1(VALU_DEP_2)
	v_pk_fma_f16 v12, v41, v17, v12 op_sel:[0,1,0]
	v_pk_fma_f16 v13, v42, v17, v13 op_sel:[0,1,0]
	s_delay_alu instid0(VALU_DEP_2) | instskip(NEXT) | instid1(VALU_DEP_2)
	v_pk_fma_f16 v12, v43, v18, v12 op_sel_hi:[1,0,1]
	v_pk_fma_f16 v13, v44, v18, v13 op_sel_hi:[1,0,1]
	s_delay_alu instid0(VALU_DEP_2) | instskip(NEXT) | instid1(VALU_DEP_2)
	;; [unrolled: 6-line block ×15, first 2 shown]
	v_pk_fma_f16 v37, v97, v38, v29 op_sel:[0,1,0]
	v_pk_fma_f16 v21, v98, v38, v21 op_sel:[0,1,0]
	s_waitcnt vmcnt(0) lgkmcnt(0)
	ds_store_b128 v118, v[99:102]
	flat_load_b128 v[99:102], v[106:107]
	s_waitcnt vmcnt(0) lgkmcnt(0)
	ds_store_b128 v120, v[99:102]
	s_waitcnt lgkmcnt(0)
	s_waitcnt_vscnt null, 0x0
	s_barrier
	buffer_gl0_inv
	ds_load_2addr_b64 v[12:15], v24 offset1:32
	ds_load_b128 v[16:19], v9 offset:10304
	ds_load_2addr_b64 v[25:28], v24 offset0:64 offset1:96
	ds_load_b128 v[29:32], v9 offset:10320
	ds_load_2addr_b64 v[33:36], v24 offset0:128 offset1:160
	s_waitcnt lgkmcnt(3)
	v_pk_fma_f16 v12, v12, v16, v37 op_sel_hi:[1,0,1]
	v_pk_fma_f16 v13, v13, v16, v21 op_sel_hi:[1,0,1]
	s_delay_alu instid0(VALU_DEP_2) | instskip(NEXT) | instid1(VALU_DEP_2)
	v_pk_fma_f16 v21, v14, v16, v12 op_sel:[0,1,0]
	v_pk_fma_f16 v16, v15, v16, v13 op_sel:[0,1,0]
	ds_load_2addr_b64 v[12:15], v24 offset0:192 offset1:224
	s_waitcnt lgkmcnt(3)
	v_pk_fma_f16 v21, v25, v17, v21 op_sel_hi:[1,0,1]
	v_pk_fma_f16 v16, v26, v17, v16 op_sel_hi:[1,0,1]
	s_delay_alu instid0(VALU_DEP_2) | instskip(NEXT) | instid1(VALU_DEP_2)
	v_pk_fma_f16 v21, v27, v17, v21 op_sel:[0,1,0]
	v_pk_fma_f16 v16, v28, v17, v16 op_sel:[0,1,0]
	ds_load_2addr_b64 v[24:27], v119 offset1:32
	s_waitcnt lgkmcnt(2)
	v_pk_fma_f16 v17, v33, v18, v21 op_sel_hi:[1,0,1]
	v_pk_fma_f16 v16, v34, v18, v16 op_sel_hi:[1,0,1]
	s_delay_alu instid0(VALU_DEP_2) | instskip(NEXT) | instid1(VALU_DEP_2)
	v_pk_fma_f16 v17, v35, v18, v17 op_sel:[0,1,0]
	v_pk_fma_f16 v16, v36, v18, v16 op_sel:[0,1,0]
	ds_load_2addr_b64 v[33:36], v119 offset0:64 offset1:96
	s_waitcnt lgkmcnt(2)
	v_pk_fma_f16 v12, v12, v19, v17 op_sel_hi:[1,0,1]
	v_pk_fma_f16 v13, v13, v19, v16 op_sel_hi:[1,0,1]
	s_delay_alu instid0(VALU_DEP_2) | instskip(NEXT) | instid1(VALU_DEP_2)
	v_pk_fma_f16 v16, v14, v19, v12 op_sel:[0,1,0]
	v_pk_fma_f16 v17, v15, v19, v13 op_sel:[0,1,0]
	ds_load_2addr_b64 v[12:15], v119 offset0:128 offset1:160
	s_waitcnt lgkmcnt(2)
	v_pk_fma_f16 v16, v24, v29, v16 op_sel_hi:[1,0,1]
	v_pk_fma_f16 v17, v25, v29, v17 op_sel_hi:[1,0,1]
	s_delay_alu instid0(VALU_DEP_2) | instskip(NEXT) | instid1(VALU_DEP_2)
	v_pk_fma_f16 v16, v26, v29, v16 op_sel:[0,1,0]
	v_pk_fma_f16 v21, v27, v29, v17 op_sel:[0,1,0]
	s_waitcnt lgkmcnt(1)
	s_delay_alu instid0(VALU_DEP_2)
	v_pk_fma_f16 v24, v33, v30, v16 op_sel_hi:[1,0,1]
	ds_load_2addr_b64 v[16:19], v119 offset0:192 offset1:224
	v_pk_fma_f16 v21, v34, v30, v21 op_sel_hi:[1,0,1]
	v_pk_fma_f16 v28, v35, v30, v24 op_sel:[0,1,0]
	ds_load_2addr_b64 v[24:27], v121 offset1:32
	v_pk_fma_f16 v21, v36, v30, v21 op_sel:[0,1,0]
	ds_load_b128 v[33:36], v9 offset:10336
	s_waitcnt lgkmcnt(3)
	v_pk_fma_f16 v12, v12, v31, v28 op_sel_hi:[1,0,1]
	v_pk_fma_f16 v13, v13, v31, v21 op_sel_hi:[1,0,1]
	s_delay_alu instid0(VALU_DEP_2) | instskip(NEXT) | instid1(VALU_DEP_2)
	v_pk_fma_f16 v21, v14, v31, v12 op_sel:[0,1,0]
	v_pk_fma_f16 v28, v15, v31, v13 op_sel:[0,1,0]
	ds_load_2addr_b64 v[12:15], v121 offset0:64 offset1:96
	s_waitcnt lgkmcnt(3)
	v_pk_fma_f16 v16, v16, v32, v21 op_sel_hi:[1,0,1]
	v_pk_fma_f16 v17, v17, v32, v28 op_sel_hi:[1,0,1]
	s_delay_alu instid0(VALU_DEP_2) | instskip(NEXT) | instid1(VALU_DEP_2)
	v_pk_fma_f16 v21, v18, v32, v16 op_sel:[0,1,0]
	v_pk_fma_f16 v32, v19, v32, v17 op_sel:[0,1,0]
	ds_load_b128 v[16:19], v9 offset:10352
	ds_load_2addr_b64 v[28:31], v121 offset0:128 offset1:160
	s_waitcnt lgkmcnt(3)
	v_pk_fma_f16 v9, v24, v33, v21 op_sel_hi:[1,0,1]
	v_pk_fma_f16 v21, v25, v33, v32 op_sel_hi:[1,0,1]
	s_delay_alu instid0(VALU_DEP_2) | instskip(NEXT) | instid1(VALU_DEP_2)
	v_pk_fma_f16 v9, v26, v33, v9 op_sel:[0,1,0]
	v_pk_fma_f16 v21, v27, v33, v21 op_sel:[0,1,0]
	ds_load_2addr_b64 v[24:27], v121 offset0:192 offset1:224
	s_waitcnt lgkmcnt(3)
	v_pk_fma_f16 v9, v12, v34, v9 op_sel_hi:[1,0,1]
	v_pk_fma_f16 v12, v13, v34, v21 op_sel_hi:[1,0,1]
	s_delay_alu instid0(VALU_DEP_2) | instskip(NEXT) | instid1(VALU_DEP_2)
	v_pk_fma_f16 v9, v14, v34, v9 op_sel:[0,1,0]
	v_pk_fma_f16 v21, v15, v34, v12 op_sel:[0,1,0]
	ds_load_2addr_b64 v[12:15], v122 offset1:32
	s_waitcnt lgkmcnt(2)
	v_pk_fma_f16 v9, v28, v35, v9 op_sel_hi:[1,0,1]
	v_pk_fma_f16 v21, v29, v35, v21 op_sel_hi:[1,0,1]
	s_delay_alu instid0(VALU_DEP_2) | instskip(NEXT) | instid1(VALU_DEP_2)
	v_pk_fma_f16 v9, v30, v35, v9 op_sel:[0,1,0]
	v_pk_fma_f16 v21, v31, v35, v21 op_sel:[0,1,0]
	ds_load_2addr_b64 v[28:31], v122 offset0:64 offset1:96
	s_waitcnt lgkmcnt(2)
	v_pk_fma_f16 v9, v24, v36, v9 op_sel_hi:[1,0,1]
	v_pk_fma_f16 v21, v25, v36, v21 op_sel_hi:[1,0,1]
	s_delay_alu instid0(VALU_DEP_2) | instskip(NEXT) | instid1(VALU_DEP_2)
	v_pk_fma_f16 v9, v26, v36, v9 op_sel:[0,1,0]
	v_pk_fma_f16 v21, v27, v36, v21 op_sel:[0,1,0]
	ds_load_2addr_b64 v[24:27], v122 offset0:128 offset1:160
	;; [unrolled: 7-line block ×3, first 2 shown]
	s_waitcnt lgkmcnt(0)
	s_barrier
	v_pk_fma_f16 v9, v28, v17, v9 op_sel_hi:[1,0,1]
	v_pk_fma_f16 v16, v29, v17, v16 op_sel_hi:[1,0,1]
	buffer_gl0_inv
	v_pk_fma_f16 v9, v30, v17, v9 op_sel:[0,1,0]
	v_pk_fma_f16 v16, v31, v17, v16 op_sel:[0,1,0]
	s_delay_alu instid0(VALU_DEP_2) | instskip(NEXT) | instid1(VALU_DEP_2)
	v_pk_fma_f16 v9, v24, v18, v9 op_sel_hi:[1,0,1]
	v_pk_fma_f16 v16, v25, v18, v16 op_sel_hi:[1,0,1]
	s_delay_alu instid0(VALU_DEP_2) | instskip(NEXT) | instid1(VALU_DEP_2)
	v_pk_fma_f16 v9, v26, v18, v9 op_sel:[0,1,0]
	v_pk_fma_f16 v11, v27, v18, v16 op_sel:[0,1,0]
	s_delay_alu instid0(VALU_DEP_2) | instskip(NEXT) | instid1(VALU_DEP_2)
	v_pk_fma_f16 v12, v12, v19, v9 op_sel_hi:[1,0,1]
	v_pk_fma_f16 v11, v13, v19, v11 op_sel_hi:[1,0,1]
	v_mov_b32_e32 v9, 32
	s_delay_alu instid0(VALU_DEP_3) | instskip(NEXT) | instid1(VALU_DEP_3)
	v_pk_fma_f16 v25, v14, v19, v12 op_sel:[0,1,0]
	v_pk_fma_f16 v26, v15, v19, v11 op_sel:[0,1,0]
.LBB90_46:
	s_delay_alu instid0(VALU_DEP_3)
	v_cmp_lt_i32_e32 vcc_lo, v0, v9
	s_cmp_eq_u64 s[24:25], 0
	s_cselect_b32 s2, -1, 0
	s_cmp_lg_u32 s14, 0
	v_cndmask_b32_e32 v0, v8, v0, vcc_lo
	v_cmp_lt_i32_e32 vcc_lo, v1, v9
	s_cselect_b32 s3, -1, 0
	s_delay_alu instid0(SALU_CYCLE_1) | instskip(SKIP_4) | instid1(VALU_DEP_2)
	s_or_b32 s2, s3, s2
	v_cndmask_b32_e32 v1, v8, v1, vcc_lo
	v_cmp_lt_i32_e32 vcc_lo, v2, v9
	v_cndmask_b32_e32 v2, v8, v2, vcc_lo
	v_cmp_lt_i32_e32 vcc_lo, v6, v9
	v_lshlrev_b32_e32 v2, 2, v2
	v_lshlrev_b32_e32 v1, 2, v1
	;; [unrolled: 1-line block ×3, first 2 shown]
	ds_bpermute_b32 v0, v0, v20
	s_waitcnt lgkmcnt(0)
	v_add_f32_e32 v0, v20, v0
	ds_bpermute_b32 v1, v1, v0
	s_waitcnt lgkmcnt(0)
	v_add_f32_e32 v0, v0, v1
	ds_bpermute_b32 v1, v2, v0
	v_cndmask_b32_e32 v2, v8, v6, vcc_lo
	v_cmp_lt_i32_e32 vcc_lo, v7, v9
	s_delay_alu instid0(VALU_DEP_2)
	v_lshlrev_b32_e32 v2, 2, v2
	s_waitcnt lgkmcnt(0)
	v_add_f32_e32 v0, v0, v1
	ds_bpermute_b32 v1, v2, v0
	v_cndmask_b32_e32 v2, v8, v7, vcc_lo
	s_and_b32 vcc_lo, exec_lo, s2
	s_delay_alu instid0(VALU_DEP_1)
	v_lshlrev_b32_e32 v2, 2, v2
	s_waitcnt lgkmcnt(0)
	v_add_f32_e32 v0, v0, v1
	ds_bpermute_b32 v1, v2, v0
	s_waitcnt lgkmcnt(0)
	v_add_f32_e32 v6, v0, v1
	s_cbranch_vccnz .LBB90_48
; %bb.47:
	s_lshl_b64 s[2:3], s[34:35], 2
	v_dual_mov_b32 v0, 0 :: v_dual_max_f32 v1, v5, v5
	s_add_u32 s2, s24, s2
	s_addc_u32 s3, s25, s3
	global_load_b32 v0, v0, s[2:3]
	s_waitcnt vmcnt(0)
	v_max_f32_e32 v2, v0, v0
	s_delay_alu instid0(VALU_DEP_1) | instskip(NEXT) | instid1(VALU_DEP_1)
	v_max_f32_e32 v1, v1, v2
	v_sub_f32_e32 v0, v0, v1
	s_delay_alu instid0(VALU_DEP_1) | instskip(NEXT) | instid1(VALU_DEP_1)
	v_mul_f32_e32 v7, 0x3fb8aa3b, v0
	v_fma_f32 v10, 0x3fb8aa3b, v0, -v7
	v_rndne_f32_e32 v11, v7
	s_delay_alu instid0(VALU_DEP_2) | instskip(NEXT) | instid1(VALU_DEP_2)
	v_fmac_f32_e32 v10, 0x32a5705f, v0
	v_dual_sub_f32 v2, v5, v1 :: v_dual_sub_f32 v7, v7, v11
	s_delay_alu instid0(VALU_DEP_1) | instskip(SKIP_1) | instid1(VALU_DEP_2)
	v_mul_f32_e32 v5, 0x3fb8aa3b, v2
	v_cmp_ngt_f32_e32 vcc_lo, 0xc2ce8ed0, v2
	v_fma_f32 v8, 0x3fb8aa3b, v2, -v5
	v_rndne_f32_e32 v9, v5
	s_delay_alu instid0(VALU_DEP_1) | instskip(NEXT) | instid1(VALU_DEP_1)
	v_dual_fmac_f32 v8, 0x32a5705f, v2 :: v_dual_sub_f32 v5, v5, v9
	v_add_f32_e32 v5, v5, v8
	v_cvt_i32_f32_e32 v8, v9
	v_cvt_i32_f32_e32 v9, v11
	s_delay_alu instid0(VALU_DEP_3) | instskip(SKIP_2) | instid1(VALU_DEP_1)
	v_exp_f32_e32 v5, v5
	s_waitcnt_depctr 0xfff
	v_ldexp_f32 v5, v5, v8
	v_cndmask_b32_e32 v5, 0, v5, vcc_lo
	v_add_f32_e32 v7, v7, v10
	v_cmp_ngt_f32_e32 vcc_lo, 0xc2ce8ed0, v0
	s_delay_alu instid0(VALU_DEP_2) | instskip(SKIP_2) | instid1(VALU_DEP_1)
	v_exp_f32_e32 v7, v7
	s_waitcnt_depctr 0xfff
	v_ldexp_f32 v7, v7, v9
	v_cndmask_b32_e32 v7, 0, v7, vcc_lo
	v_cmp_nlt_f32_e32 vcc_lo, 0x42b17218, v2
	v_cndmask_b32_e32 v2, 0x7f800000, v5, vcc_lo
	v_cmp_nlt_f32_e32 vcc_lo, 0x42b17218, v0
	s_delay_alu instid0(VALU_DEP_2) | instskip(SKIP_1) | instid1(VALU_DEP_2)
	v_cvt_f16_f32_e32 v5, v2
	v_cndmask_b32_e32 v0, 0x7f800000, v7, vcc_lo
	v_pk_mul_f16 v25, v5, v25 op_sel_hi:[0,1]
	s_delay_alu instid0(VALU_DEP_2) | instskip(SKIP_1) | instid1(VALU_DEP_2)
	v_fmac_f32_e32 v0, v6, v2
	v_pk_mul_f16 v26, v5, v26 op_sel_hi:[0,1]
	v_dual_mov_b32 v5, v1 :: v_dual_mov_b32 v6, v0
.LBB90_48:
	s_mov_b32 s2, exec_lo
	v_cmpx_gt_i32_e64 s10, v4
	s_cbranch_execz .LBB90_51
; %bb.49:
	s_delay_alu instid0(VALU_DEP_2) | instskip(SKIP_2) | instid1(VALU_DEP_2)
	v_div_scale_f32 v2, null, v6, v6, 1.0
	v_div_scale_f32 v10, vcc_lo, 1.0, v6, 1.0
	s_load_b32 s0, s[0:1], 0xd4
	v_rcp_f32_e32 v9, v2
	s_waitcnt_depctr 0xfff
	v_fma_f32 v0, -v2, v9, 1.0
	s_delay_alu instid0(VALU_DEP_1)
	v_fmac_f32_e32 v9, v0, v9
	v_mad_u64_u32 v[0:1], null, s12, s10, v[4:5]
	v_cvt_f32_f16_e32 v4, v25
	s_waitcnt lgkmcnt(0)
	s_cmp_lg_u32 s0, 1
	v_mul_f32_e32 v11, v10, v9
	s_cselect_b32 s1, -1, 0
	s_delay_alu instid0(VALU_DEP_3) | instskip(NEXT) | instid1(VALU_DEP_2)
	v_mad_u64_u32 v[7:8], null, v0, s11, s[34:35]
	v_fma_f32 v1, -v2, v11, v10
	v_lshrrev_b32_e32 v8, 16, v26
	s_delay_alu instid0(VALU_DEP_1) | instskip(NEXT) | instid1(VALU_DEP_3)
	v_cvt_f32_f16_e32 v12, v8
	v_fmac_f32_e32 v11, v1, v9
	v_mad_u64_u32 v[0:1], null, s0, v7, s[14:15]
	v_lshrrev_b32_e32 v7, 16, v25
	s_delay_alu instid0(VALU_DEP_3) | instskip(NEXT) | instid1(VALU_DEP_1)
	v_fma_f32 v2, -v2, v11, v10
	v_div_fmas_f32 v1, v2, v9, v11
	v_mov_b32_e32 v2, 0
	s_delay_alu instid0(VALU_DEP_4) | instskip(SKIP_4) | instid1(VALU_DEP_2)
	v_cvt_f32_f16_e32 v11, v7
	v_cvt_f32_f16_e32 v9, v26
	v_cmp_eq_u32_e32 vcc_lo, 0, v3
	v_div_fixup_f32 v10, v1, v6, 1.0
	v_lshl_add_u32 v1, v0, 7, v22
	v_cndmask_b32_e64 v10, v10, 1.0, s1
	s_delay_alu instid0(VALU_DEP_2) | instskip(NEXT) | instid1(VALU_DEP_2)
	v_lshlrev_b64 v[7:8], 2, v[1:2]
	v_mul_f32_e32 v1, v10, v4
	v_mul_f32_e32 v4, v10, v12
	s_delay_alu instid0(VALU_DEP_3)
	v_add_co_u32 v7, s0, s28, v7
	v_mul_f32_e32 v2, v10, v11
	v_mul_f32_e32 v3, v10, v9
	v_add_co_ci_u32_e64 v8, s0, s29, v8, s0
	s_and_b32 s0, vcc_lo, s1
	global_store_b128 v[7:8], v[1:4], off
	s_and_b32 exec_lo, exec_lo, s0
	s_cbranch_execz .LBB90_51
; %bb.50:
	v_ashrrev_i32_e32 v1, 31, v0
	s_delay_alu instid0(VALU_DEP_1) | instskip(NEXT) | instid1(VALU_DEP_1)
	v_lshlrev_b64 v[0:1], 3, v[0:1]
	v_add_co_u32 v0, vcc_lo, s30, v0
	s_delay_alu instid0(VALU_DEP_2)
	v_add_co_ci_u32_e32 v1, vcc_lo, s31, v1, vcc_lo
	global_store_b64 v[0:1], v[5:6], off
.LBB90_51:
	s_nop 0
	s_sendmsg sendmsg(MSG_DEALLOC_VGPRS)
	s_endpgm
	.section	.rodata,"a",@progbits
	.p2align	6, 0x0
	.amdhsa_kernel _ZL15flash_attn_tileILi128ELi128ELi4ELi1ELb1EEvPKcS1_S1_S1_S1_PKiPfP15HIP_vector_typeIfLj2EEffffjfiS5_IjLj3EEiiiiiiiiiiiliiliiiiil
		.amdhsa_group_segment_fixed_size 10752
		.amdhsa_private_segment_fixed_size 32
		.amdhsa_kernarg_size 464
		.amdhsa_user_sgpr_count 13
		.amdhsa_user_sgpr_dispatch_ptr 0
		.amdhsa_user_sgpr_queue_ptr 0
		.amdhsa_user_sgpr_kernarg_segment_ptr 1
		.amdhsa_user_sgpr_dispatch_id 0
		.amdhsa_user_sgpr_private_segment_size 0
		.amdhsa_wavefront_size32 1
		.amdhsa_uses_dynamic_stack 0
		.amdhsa_enable_private_segment 1
		.amdhsa_system_sgpr_workgroup_id_x 1
		.amdhsa_system_sgpr_workgroup_id_y 1
		.amdhsa_system_sgpr_workgroup_id_z 1
		.amdhsa_system_sgpr_workgroup_info 0
		.amdhsa_system_vgpr_workitem_id 1
		.amdhsa_next_free_vgpr 154
		.amdhsa_next_free_sgpr 52
		.amdhsa_reserve_vcc 1
		.amdhsa_float_round_mode_32 0
		.amdhsa_float_round_mode_16_64 0
		.amdhsa_float_denorm_mode_32 3
		.amdhsa_float_denorm_mode_16_64 3
		.amdhsa_dx10_clamp 1
		.amdhsa_ieee_mode 1
		.amdhsa_fp16_overflow 0
		.amdhsa_workgroup_processor_mode 1
		.amdhsa_memory_ordered 1
		.amdhsa_forward_progress 0
		.amdhsa_shared_vgpr_count 0
		.amdhsa_exception_fp_ieee_invalid_op 0
		.amdhsa_exception_fp_denorm_src 0
		.amdhsa_exception_fp_ieee_div_zero 0
		.amdhsa_exception_fp_ieee_overflow 0
		.amdhsa_exception_fp_ieee_underflow 0
		.amdhsa_exception_fp_ieee_inexact 0
		.amdhsa_exception_int_div_zero 0
	.end_amdhsa_kernel
	.section	.text._ZL15flash_attn_tileILi128ELi128ELi4ELi1ELb1EEvPKcS1_S1_S1_S1_PKiPfP15HIP_vector_typeIfLj2EEffffjfiS5_IjLj3EEiiiiiiiiiiiliiliiiiil,"axG",@progbits,_ZL15flash_attn_tileILi128ELi128ELi4ELi1ELb1EEvPKcS1_S1_S1_S1_PKiPfP15HIP_vector_typeIfLj2EEffffjfiS5_IjLj3EEiiiiiiiiiiiliiliiiiil,comdat
.Lfunc_end90:
	.size	_ZL15flash_attn_tileILi128ELi128ELi4ELi1ELb1EEvPKcS1_S1_S1_S1_PKiPfP15HIP_vector_typeIfLj2EEffffjfiS5_IjLj3EEiiiiiiiiiiiliiliiiiil, .Lfunc_end90-_ZL15flash_attn_tileILi128ELi128ELi4ELi1ELb1EEvPKcS1_S1_S1_S1_PKiPfP15HIP_vector_typeIfLj2EEffffjfiS5_IjLj3EEiiiiiiiiiiiliiliiiiil
                                        ; -- End function
	.section	.AMDGPU.csdata,"",@progbits
; Kernel info:
; codeLenInByte = 18540
; NumSgprs: 54
; NumVgprs: 154
; ScratchSize: 32
; MemoryBound: 0
; FloatMode: 240
; IeeeMode: 1
; LDSByteSize: 10752 bytes/workgroup (compile time only)
; SGPRBlocks: 6
; VGPRBlocks: 19
; NumSGPRsForWavesPerEU: 54
; NumVGPRsForWavesPerEU: 154
; Occupancy: 9
; WaveLimiterHint : 1
; COMPUTE_PGM_RSRC2:SCRATCH_EN: 1
; COMPUTE_PGM_RSRC2:USER_SGPR: 13
; COMPUTE_PGM_RSRC2:TRAP_HANDLER: 0
; COMPUTE_PGM_RSRC2:TGID_X_EN: 1
; COMPUTE_PGM_RSRC2:TGID_Y_EN: 1
; COMPUTE_PGM_RSRC2:TGID_Z_EN: 1
; COMPUTE_PGM_RSRC2:TIDIG_COMP_CNT: 1
	.section	.text._ZL15flash_attn_tileILi128ELi128ELi2ELi1ELb1EEvPKcS1_S1_S1_S1_PKiPfP15HIP_vector_typeIfLj2EEffffjfiS5_IjLj3EEiiiiiiiiiiiliiliiiiil,"axG",@progbits,_ZL15flash_attn_tileILi128ELi128ELi2ELi1ELb1EEvPKcS1_S1_S1_S1_PKiPfP15HIP_vector_typeIfLj2EEffffjfiS5_IjLj3EEiiiiiiiiiiiliiliiiiil,comdat
	.globl	_ZL15flash_attn_tileILi128ELi128ELi2ELi1ELb1EEvPKcS1_S1_S1_S1_PKiPfP15HIP_vector_typeIfLj2EEffffjfiS5_IjLj3EEiiiiiiiiiiiliiliiiiil ; -- Begin function _ZL15flash_attn_tileILi128ELi128ELi2ELi1ELb1EEvPKcS1_S1_S1_S1_PKiPfP15HIP_vector_typeIfLj2EEffffjfiS5_IjLj3EEiiiiiiiiiiiliiliiiiil
	.p2align	8
	.type	_ZL15flash_attn_tileILi128ELi128ELi2ELi1ELb1EEvPKcS1_S1_S1_S1_PKiPfP15HIP_vector_typeIfLj2EEffffjfiS5_IjLj3EEiiiiiiiiiiiliiliiiiil,@function
_ZL15flash_attn_tileILi128ELi128ELi2ELi1ELb1EEvPKcS1_S1_S1_S1_PKiPfP15HIP_vector_typeIfLj2EEffffjfiS5_IjLj3EEiiiiiiiiiiiliiliiiiil: ; @_ZL15flash_attn_tileILi128ELi128ELi2ELi1ELb1EEvPKcS1_S1_S1_S1_PKiPfP15HIP_vector_typeIfLj2EEffffjfiS5_IjLj3EEiiiiiiiiiiiliiliiiiil
; %bb.0:
	s_clause 0x3
	s_load_b128 s[8:11], s[0:1], 0x5c
	s_load_b64 s[42:43], s[0:1], 0x80
	s_load_b512 s[16:31], s[0:1], 0x0
	s_load_b64 s[44:45], s[0:1], 0xb8
	s_mov_b64 s[40:41], 0
	s_waitcnt lgkmcnt(0)
	v_cvt_f32_u32_e32 v1, s11
	s_sub_i32 s3, 0, s11
	s_delay_alu instid0(VALU_DEP_1) | instskip(SKIP_2) | instid1(VALU_DEP_1)
	v_rcp_iflag_f32_e32 v1, v1
	s_waitcnt_depctr 0xfff
	v_mul_f32_e32 v1, 0x4f7ffffe, v1
	v_cvt_u32_f32_e32 v1, v1
	s_delay_alu instid0(VALU_DEP_1) | instskip(NEXT) | instid1(VALU_DEP_1)
	v_readfirstlane_b32 s2, v1
	s_mul_i32 s3, s3, s2
	s_delay_alu instid0(SALU_CYCLE_1) | instskip(NEXT) | instid1(SALU_CYCLE_1)
	s_mul_hi_u32 s3, s2, s3
	s_add_i32 s2, s2, s3
	s_delay_alu instid0(SALU_CYCLE_1) | instskip(NEXT) | instid1(SALU_CYCLE_1)
	s_mul_hi_u32 s2, s15, s2
	s_mul_i32 s3, s2, s11
	s_add_i32 s4, s2, 1
	s_sub_i32 s3, s15, s3
	s_delay_alu instid0(SALU_CYCLE_1)
	s_sub_i32 s5, s3, s11
	s_cmp_ge_u32 s3, s11
	s_cselect_b32 s2, s4, s2
	s_cselect_b32 s3, s5, s3
	s_add_i32 s4, s2, 1
	s_cmp_ge_u32 s3, s11
	s_cselect_b32 s12, s4, s2
	s_abs_i32 s2, s43
	s_abs_i32 s6, s11
	v_cvt_f32_u32_e32 v1, s2
	s_sub_i32 s4, 0, s2
	s_mul_i32 s5, s12, s11
	s_delay_alu instid0(SALU_CYCLE_1) | instskip(NEXT) | instid1(VALU_DEP_1)
	s_sub_i32 s34, s15, s5
	v_rcp_iflag_f32_e32 v1, v1
	s_waitcnt_depctr 0xfff
	v_mul_f32_e32 v1, 0x4f7ffffe, v1
	s_delay_alu instid0(VALU_DEP_1) | instskip(NEXT) | instid1(VALU_DEP_1)
	v_cvt_u32_f32_e32 v1, v1
	v_readfirstlane_b32 s3, v1
	s_delay_alu instid0(VALU_DEP_1) | instskip(NEXT) | instid1(SALU_CYCLE_1)
	s_mul_i32 s4, s4, s3
	s_mul_hi_u32 s4, s3, s4
	s_delay_alu instid0(SALU_CYCLE_1) | instskip(SKIP_4) | instid1(SALU_CYCLE_1)
	s_add_i32 s3, s3, s4
	s_xor_b32 s4, s11, s43
	s_mul_hi_u32 s3, s6, s3
	s_ashr_i32 s4, s4, 31
	s_mul_i32 s5, s3, s2
	s_sub_i32 s5, s6, s5
	s_add_i32 s6, s3, 1
	s_sub_i32 s7, s5, s2
	s_cmp_ge_u32 s5, s2
	s_cselect_b32 s3, s6, s3
	s_cselect_b32 s5, s7, s5
	s_add_i32 s6, s3, 1
	s_cmp_ge_u32 s5, s2
	s_cselect_b32 s2, s6, s3
	s_abs_i32 s33, s34
	s_xor_b32 s2, s2, s4
	s_delay_alu instid0(SALU_CYCLE_1) | instskip(NEXT) | instid1(SALU_CYCLE_1)
	s_sub_i32 s5, s2, s4
	s_abs_i32 s15, s5
	s_delay_alu instid0(SALU_CYCLE_1) | instskip(SKIP_1) | instid1(VALU_DEP_1)
	v_cvt_f32_u32_e32 v1, s15
	s_sub_i32 s3, 0, s15
	v_rcp_iflag_f32_e32 v1, v1
	s_waitcnt_depctr 0xfff
	v_mul_f32_e32 v1, 0x4f7ffffe, v1
	s_delay_alu instid0(VALU_DEP_1) | instskip(NEXT) | instid1(VALU_DEP_1)
	v_cvt_u32_f32_e32 v1, v1
	v_readfirstlane_b32 s2, v1
	s_delay_alu instid0(VALU_DEP_1) | instskip(NEXT) | instid1(SALU_CYCLE_1)
	s_mul_i32 s3, s3, s2
	s_mul_hi_u32 s3, s2, s3
	s_delay_alu instid0(SALU_CYCLE_1)
	s_add_i32 s2, s2, s3
	s_cmp_eq_u64 s[22:23], 0
	s_cbranch_scc1 .LBB91_2
; %bb.1:
	s_abs_i32 s3, s44
	s_abs_i32 s35, s12
	v_cvt_f32_u32_e32 v1, s3
	s_sub_i32 s6, 0, s3
	s_delay_alu instid0(VALU_DEP_1) | instskip(SKIP_2) | instid1(VALU_DEP_1)
	v_rcp_iflag_f32_e32 v1, v1
	s_waitcnt_depctr 0xfff
	v_mul_f32_e32 v1, 0x4f7ffffe, v1
	v_cvt_u32_f32_e32 v1, v1
	s_delay_alu instid0(VALU_DEP_1) | instskip(NEXT) | instid1(VALU_DEP_1)
	v_readfirstlane_b32 s4, v1
	s_mul_i32 s6, s6, s4
	s_delay_alu instid0(SALU_CYCLE_1) | instskip(NEXT) | instid1(SALU_CYCLE_1)
	s_mul_hi_u32 s6, s4, s6
	s_add_i32 s4, s4, s6
	s_load_b64 s[6:7], s[0:1], 0xc8
	s_mul_hi_u32 s4, s35, s4
	s_delay_alu instid0(SALU_CYCLE_1) | instskip(NEXT) | instid1(SALU_CYCLE_1)
	s_mul_i32 s4, s4, s3
	s_sub_i32 s4, s35, s4
	s_ashr_i32 s35, s12, 31
	s_sub_i32 s36, s4, s3
	s_cmp_ge_u32 s4, s3
	s_cselect_b32 s4, s36, s4
	s_delay_alu instid0(SALU_CYCLE_1) | instskip(SKIP_2) | instid1(SALU_CYCLE_1)
	s_sub_i32 s36, s4, s3
	s_cmp_ge_u32 s4, s3
	s_cselect_b32 s3, s36, s4
	s_xor_b32 s3, s3, s35
	s_delay_alu instid0(SALU_CYCLE_1)
	s_sub_i32 s3, s3, s35
	s_waitcnt lgkmcnt(0)
	s_mul_i32 s4, s3, s7
	s_mul_hi_u32 s7, s3, s6
	s_ashr_i32 s35, s3, 31
	s_add_i32 s4, s7, s4
	s_mul_i32 s35, s35, s6
	s_mul_i32 s3, s3, s6
	s_add_i32 s4, s4, s35
	s_add_u32 s40, s22, s3
	s_addc_u32 s41, s23, s4
.LBB91_2:
	s_clause 0x1
	s_load_b128 s[36:39], s[0:1], 0x40
	s_load_b64 s[22:23], s[0:1], 0x50
	v_mov_b32_e32 v29, 1.0
	s_waitcnt lgkmcnt(0)
	v_cmp_le_f32_e64 s3, s37, 0
	s_mul_hi_u32 s37, s33, s2
	s_delay_alu instid0(VALU_DEP_1)
	s_and_b32 vcc_lo, exec_lo, s3
	s_cbranch_vccnz .LBB91_4
; %bb.3:
	s_sub_i32 s2, s34, s22
	s_add_i32 s3, s34, 1
	s_lshl_b32 s2, s2, 1
	v_mov_b32_e32 v1, s38
	s_or_b32 s2, s2, 1
	s_cmp_lt_u32 s34, s22
	s_cselect_b32 vcc_lo, -1, 0
	s_delay_alu instid0(VALU_DEP_1)
	v_cndmask_b32_e32 v3, s39, v1, vcc_lo
	s_and_b32 s4, vcc_lo, exec_lo
	s_cselect_b32 s2, s3, s2
	s_mov_b32 s3, 0x3e76c4e1
	v_cvt_f32_i32_e32 v1, s2
	v_cmp_neq_f32_e32 vcc_lo, 1.0, v3
	s_delay_alu instid0(VALU_DEP_2) | instskip(NEXT) | instid1(VALU_DEP_1)
	v_cndmask_b32_e32 v4, 1.0, v1, vcc_lo
	v_cmp_eq_f32_e32 vcc_lo, 0, v4
	v_cndmask_b32_e64 v5, |v3|, 1.0, vcc_lo
	s_delay_alu instid0(VALU_DEP_1) | instskip(NEXT) | instid1(VALU_DEP_1)
	v_frexp_mant_f32_e32 v1, v5
	v_cmp_gt_f32_e64 s2, 0x3f2aaaab, v1
	s_delay_alu instid0(VALU_DEP_1) | instskip(NEXT) | instid1(VALU_DEP_1)
	v_cndmask_b32_e64 v2, 1.0, 2.0, s2
	v_mul_f32_e32 v1, v1, v2
	s_delay_alu instid0(VALU_DEP_1) | instskip(SKIP_1) | instid1(VALU_DEP_2)
	v_add_f32_e32 v2, 1.0, v1
	v_add_f32_e32 v7, -1.0, v1
	v_rcp_f32_e32 v6, v2
	s_waitcnt_depctr 0xfff
	v_mul_f32_e32 v8, v7, v6
	s_delay_alu instid0(VALU_DEP_1) | instskip(NEXT) | instid1(VALU_DEP_1)
	v_dual_add_f32 v9, -1.0, v2 :: v_dual_mul_f32 v10, v2, v8
	v_sub_f32_e32 v1, v1, v9
	v_cndmask_b32_e64 v3, v3, 1.0, vcc_lo
	s_delay_alu instid0(VALU_DEP_3) | instskip(NEXT) | instid1(VALU_DEP_2)
	v_fma_f32 v2, v8, v2, -v10
	v_cmp_eq_f32_e64 s4, 0, v3
	s_delay_alu instid0(VALU_DEP_2) | instskip(NEXT) | instid1(VALU_DEP_1)
	v_fmac_f32_e32 v2, v8, v1
	v_add_f32_e32 v1, v10, v2
	s_delay_alu instid0(VALU_DEP_1) | instskip(NEXT) | instid1(VALU_DEP_1)
	v_dual_sub_f32 v10, v1, v10 :: v_dual_sub_f32 v9, v7, v1
	v_dual_sub_f32 v2, v10, v2 :: v_dual_sub_f32 v7, v7, v9
	s_delay_alu instid0(VALU_DEP_1) | instskip(NEXT) | instid1(VALU_DEP_1)
	v_sub_f32_e32 v1, v7, v1
	v_add_f32_e32 v1, v2, v1
	s_delay_alu instid0(VALU_DEP_1) | instskip(NEXT) | instid1(VALU_DEP_1)
	v_add_f32_e32 v1, v9, v1
	v_mul_f32_e32 v1, v6, v1
	s_delay_alu instid0(VALU_DEP_1) | instskip(NEXT) | instid1(VALU_DEP_1)
	v_add_f32_e32 v6, v8, v1
	v_sub_f32_e32 v2, v6, v8
	v_mul_f32_e32 v7, v6, v6
	s_delay_alu instid0(VALU_DEP_2) | instskip(NEXT) | instid1(VALU_DEP_2)
	v_sub_f32_e32 v8, v1, v2
	v_fma_f32 v9, v6, v6, -v7
	s_delay_alu instid0(VALU_DEP_2) | instskip(NEXT) | instid1(VALU_DEP_1)
	v_add_f32_e32 v1, v8, v8
	v_fmac_f32_e32 v9, v6, v1
	v_cvt_f64_f32_e32 v[1:2], v5
	s_delay_alu instid0(VALU_DEP_2) | instskip(NEXT) | instid1(VALU_DEP_1)
	v_add_f32_e32 v10, v7, v9
	v_fmaak_f32 v11, s3, v10, 0x3e91f4c4
	v_sub_f32_e32 v7, v10, v7
	v_mul_f32_e32 v14, v6, v10
	s_delay_alu instid0(VALU_DEP_3) | instskip(NEXT) | instid1(VALU_DEP_3)
	v_fmaak_f32 v11, v10, v11, 0x3ecccdef
	v_sub_f32_e32 v7, v9, v7
	s_delay_alu instid0(VALU_DEP_2) | instskip(NEXT) | instid1(VALU_DEP_1)
	v_mul_f32_e32 v12, v10, v11
	v_fma_f32 v9, v10, v11, -v12
	s_delay_alu instid0(VALU_DEP_1) | instskip(NEXT) | instid1(VALU_DEP_1)
	v_fmac_f32_e32 v9, v7, v11
	v_add_f32_e32 v11, v12, v9
	v_frexp_exp_i32_f64_e32 v1, v[1:2]
	s_delay_alu instid0(VALU_DEP_2) | instskip(NEXT) | instid1(VALU_DEP_1)
	v_sub_f32_e32 v12, v11, v12
	v_sub_f32_e32 v2, v9, v12
	v_fma_f32 v12, v10, v6, -v14
	s_delay_alu instid0(VALU_DEP_2) | instskip(NEXT) | instid1(VALU_DEP_2)
	v_add_f32_e32 v2, 0x31739010, v2
	v_dual_add_f32 v13, 0x3f2aaaaa, v11 :: v_dual_fmac_f32 v12, v10, v8
	v_ldexp_f32 v8, v8, 1
	s_delay_alu instid0(VALU_DEP_2) | instskip(NEXT) | instid1(VALU_DEP_1)
	v_dual_add_f32 v9, 0xbf2aaaaa, v13 :: v_dual_fmac_f32 v12, v7, v6
	v_sub_f32_e32 v9, v11, v9
	s_delay_alu instid0(VALU_DEP_1) | instskip(NEXT) | instid1(VALU_DEP_3)
	v_add_f32_e32 v2, v2, v9
	v_add_f32_e32 v9, v14, v12
	s_delay_alu instid0(VALU_DEP_2) | instskip(NEXT) | instid1(VALU_DEP_1)
	v_add_f32_e32 v7, v13, v2
	v_sub_f32_e32 v10, v13, v7
	s_delay_alu instid0(VALU_DEP_3) | instskip(SKIP_2) | instid1(VALU_DEP_4)
	v_mul_f32_e32 v11, v9, v7
	v_sub_f32_e32 v13, v9, v14
	v_subrev_co_ci_u32_e64 v1, s2, 0, v1, s2
	v_add_f32_e32 v2, v2, v10
	s_delay_alu instid0(VALU_DEP_4) | instskip(NEXT) | instid1(VALU_DEP_4)
	v_fma_f32 v10, v9, v7, -v11
	v_sub_f32_e32 v12, v12, v13
	s_delay_alu instid0(VALU_DEP_4) | instskip(NEXT) | instid1(VALU_DEP_3)
	v_cvt_f32_i32_e32 v1, v1
	v_fmac_f32_e32 v10, v9, v2
	v_ldexp_f32 v2, v6, 1
	s_delay_alu instid0(VALU_DEP_2) | instskip(NEXT) | instid1(VALU_DEP_1)
	v_fmac_f32_e32 v10, v12, v7
	v_add_f32_e32 v6, v11, v10
	s_delay_alu instid0(VALU_DEP_1) | instskip(NEXT) | instid1(VALU_DEP_1)
	v_add_f32_e32 v7, v2, v6
	v_dual_sub_f32 v2, v7, v2 :: v_dual_sub_f32 v9, v6, v11
	s_delay_alu instid0(VALU_DEP_1) | instskip(NEXT) | instid1(VALU_DEP_2)
	v_sub_f32_e32 v2, v6, v2
	v_sub_f32_e32 v9, v10, v9
	s_delay_alu instid0(VALU_DEP_1) | instskip(NEXT) | instid1(VALU_DEP_1)
	v_add_f32_e32 v6, v8, v9
	v_dual_mul_f32 v11, 0x3f317218, v1 :: v_dual_add_f32 v2, v6, v2
	s_delay_alu instid0(VALU_DEP_1) | instskip(NEXT) | instid1(VALU_DEP_2)
	v_fma_f32 v10, 0x3f317218, v1, -v11
	v_add_f32_e32 v8, v7, v2
	s_delay_alu instid0(VALU_DEP_1) | instskip(NEXT) | instid1(VALU_DEP_1)
	v_sub_f32_e32 v7, v8, v7
	v_dual_fmamk_f32 v1, v1, 0xb102e308, v10 :: v_dual_sub_f32 v2, v2, v7
	s_delay_alu instid0(VALU_DEP_1) | instskip(NEXT) | instid1(VALU_DEP_1)
	v_add_f32_e32 v6, v11, v1
	v_add_f32_e32 v9, v6, v8
	s_delay_alu instid0(VALU_DEP_1) | instskip(NEXT) | instid1(VALU_DEP_1)
	v_dual_sub_f32 v11, v6, v11 :: v_dual_sub_f32 v10, v9, v6
	v_sub_f32_e32 v12, v9, v10
	s_delay_alu instid0(VALU_DEP_2) | instskip(NEXT) | instid1(VALU_DEP_2)
	v_sub_f32_e32 v1, v1, v11
	v_dual_sub_f32 v7, v8, v10 :: v_dual_sub_f32 v6, v6, v12
	s_delay_alu instid0(VALU_DEP_2) | instskip(NEXT) | instid1(VALU_DEP_2)
	v_add_f32_e32 v8, v1, v2
	v_add_f32_e32 v6, v7, v6
	s_delay_alu instid0(VALU_DEP_1) | instskip(NEXT) | instid1(VALU_DEP_1)
	v_add_f32_e32 v6, v8, v6
	v_dual_sub_f32 v7, v8, v1 :: v_dual_add_f32 v10, v9, v6
	s_delay_alu instid0(VALU_DEP_1) | instskip(SKIP_1) | instid1(VALU_DEP_3)
	v_sub_f32_e32 v8, v8, v7
	v_sub_f32_e32 v2, v2, v7
	;; [unrolled: 1-line block ×3, first 2 shown]
	s_delay_alu instid0(VALU_DEP_3) | instskip(NEXT) | instid1(VALU_DEP_1)
	v_sub_f32_e32 v1, v1, v8
	v_add_f32_e32 v1, v2, v1
	s_delay_alu instid0(VALU_DEP_3) | instskip(NEXT) | instid1(VALU_DEP_1)
	v_sub_f32_e32 v2, v6, v7
	v_add_f32_e32 v1, v1, v2
	s_delay_alu instid0(VALU_DEP_1) | instskip(NEXT) | instid1(VALU_DEP_1)
	v_add_f32_e32 v2, v10, v1
	v_mul_f32_e32 v7, v4, v2
	v_sub_f32_e32 v6, v2, v10
	s_delay_alu instid0(VALU_DEP_2) | instskip(NEXT) | instid1(VALU_DEP_2)
	v_fma_f32 v2, v4, v2, -v7
	v_sub_f32_e32 v1, v1, v6
	v_cmp_class_f32_e64 s2, v7, 0x204
	s_delay_alu instid0(VALU_DEP_2) | instskip(NEXT) | instid1(VALU_DEP_1)
	v_fmac_f32_e32 v2, v4, v1
	v_add_f32_e32 v1, v7, v2
	s_delay_alu instid0(VALU_DEP_1) | instskip(NEXT) | instid1(VALU_DEP_1)
	v_cndmask_b32_e64 v6, v1, v7, s2
	v_cmp_eq_f32_e64 s2, 0x42b17218, v6
	s_delay_alu instid0(VALU_DEP_1) | instskip(SKIP_1) | instid1(VALU_DEP_2)
	v_cndmask_b32_e64 v8, 0, 0x37000000, s2
	v_cmp_neq_f32_e64 s2, 0x7f800000, |v6|
	v_sub_f32_e32 v9, v6, v8
	v_trunc_f32_e32 v6, v4
	s_delay_alu instid0(VALU_DEP_2) | instskip(NEXT) | instid1(VALU_DEP_1)
	v_mul_f32_e32 v10, 0x3fb8aa3b, v9
	v_fma_f32 v11, 0x3fb8aa3b, v9, -v10
	v_rndne_f32_e32 v12, v10
	s_delay_alu instid0(VALU_DEP_1) | instskip(NEXT) | instid1(VALU_DEP_1)
	v_dual_fmamk_f32 v11, v9, 0x32a5705f, v11 :: v_dual_sub_f32 v10, v10, v12
	v_add_f32_e32 v10, v10, v11
	v_sub_f32_e32 v1, v1, v7
	v_cvt_i32_f32_e32 v7, v12
	s_delay_alu instid0(VALU_DEP_3) | instskip(NEXT) | instid1(VALU_DEP_2)
	v_exp_f32_e32 v10, v10
	v_sub_f32_e32 v1, v2, v1
	s_delay_alu instid0(VALU_DEP_1)
	v_cndmask_b32_e64 v1, 0, v1, s2
	v_cmp_ngt_f32_e64 s2, 0xc2ce8ed0, v9
	s_waitcnt_depctr 0xfff
	v_ldexp_f32 v2, v10, v7
	v_mul_f32_e32 v7, 0.5, v4
	v_add_f32_e32 v1, v8, v1
	s_delay_alu instid0(VALU_DEP_3) | instskip(NEXT) | instid1(VALU_DEP_3)
	v_cndmask_b32_e64 v2, 0, v2, s2
	v_trunc_f32_e32 v10, v7
	v_cmp_nlt_f32_e64 s2, 0x42b17218, v9
	s_delay_alu instid0(VALU_DEP_2) | instskip(NEXT) | instid1(VALU_DEP_2)
	v_cmp_neq_f32_e64 s3, v10, v7
	v_cndmask_b32_e64 v2, 0x7f800000, v2, s2
	v_cmp_eq_f32_e64 s2, v6, v4
	s_delay_alu instid0(VALU_DEP_2) | instskip(NEXT) | instid1(VALU_DEP_2)
	v_fma_f32 v1, v2, v1, v2
	s_and_b32 vcc_lo, s2, s3
	v_cmp_class_f32_e64 s3, v2, 0x204
	v_cndmask_b32_e32 v6, 1.0, v3, vcc_lo
	s_delay_alu instid0(VALU_DEP_2) | instskip(SKIP_1) | instid1(VALU_DEP_2)
	v_cndmask_b32_e64 v1, v1, v2, s3
	v_cmp_gt_f32_e64 s3, 0, v4
	v_bfi_b32 v1, 0x7fffffff, v1, v6
	v_cndmask_b32_e32 v6, 0, v3, vcc_lo
	s_delay_alu instid0(VALU_DEP_3)
	s_xor_b32 s3, s3, s4
	v_cmp_eq_f32_e32 vcc_lo, 0x7f800000, v5
	v_cndmask_b32_e64 v2, 0x7f800000, 0, s3
	v_cndmask_b32_e64 v4, 0x7fc00000, v1, s2
	v_cmp_gt_f32_e64 s2, 0, v3
	s_or_b32 vcc_lo, vcc_lo, s4
	s_delay_alu instid0(VALU_DEP_3) | instskip(NEXT) | instid1(VALU_DEP_2)
	v_bfi_b32 v2, 0x7fffffff, v2, v6
	v_cndmask_b32_e64 v1, v1, v4, s2
	s_delay_alu instid0(VALU_DEP_1) | instskip(SKIP_1) | instid1(VALU_DEP_2)
	v_cndmask_b32_e32 v1, v1, v2, vcc_lo
	v_cmp_o_f32_e32 vcc_lo, v3, v3
	v_cndmask_b32_e32 v29, 0x7fc00000, v1, vcc_lo
.LBB91_4:
	v_bfe_u32 v27, v0, 10, 10
	s_load_b128 s[48:51], s[0:1], 0x70
	s_ashr_i32 s35, s34, 31
	s_ashr_i32 s2, s5, 31
	v_dual_mov_b32 v21, 0 :: v_dual_and_b32 v0, 0x3ff, v0
	v_lshl_add_u32 v1, s13, 1, v27
	v_lshlrev_b32_e32 v22, 6, v27
	s_delay_alu instid0(VALU_DEP_3) | instskip(NEXT) | instid1(VALU_DEP_3)
	v_lshlrev_b32_e32 v28, 1, v0
	v_mul_hi_u32 v2, s8, v1
	s_delay_alu instid0(VALU_DEP_1)
	v_add_nc_u32_e32 v2, v1, v2
	s_waitcnt lgkmcnt(0)
	s_mul_i32 s3, s12, s50
	s_mul_i32 s4, s34, s49
	s_ashr_i32 s5, s3, 31
	v_lshrrev_b32_e32 v2, s9, v2
	s_add_u32 s3, s16, s3
	s_addc_u32 s5, s17, s5
	s_ashr_i32 s6, s4, 31
	s_add_u32 s3, s3, s4
	v_mul_lo_u32 v2, v2, s10
	s_addc_u32 s4, s5, s6
	s_ashr_i32 s5, s48, 31
	s_delay_alu instid0(SALU_CYCLE_1) | instskip(SKIP_2) | instid1(VALU_DEP_2)
	v_alignbit_b32 v4, s5, s48, 2
	s_lshr_b32 s5, s5, 2
	s_cmp_eq_u64 s[26:27], 0
	v_sub_nc_u32_e32 v30, v1, v2
	s_delay_alu instid0(VALU_DEP_1) | instskip(NEXT) | instid1(VALU_DEP_1)
	v_mad_u64_u32 v[2:3], null, v4, v30, 0
	v_mad_u64_u32 v[4:5], null, s5, v30, v[3:4]
	s_delay_alu instid0(VALU_DEP_1) | instskip(NEXT) | instid1(VALU_DEP_1)
	v_dual_mov_b32 v3, v4 :: v_dual_lshlrev_b32 v4, 4, v0
	v_lshlrev_b64 v[2:3], 2, v[2:3]
	s_delay_alu instid0(VALU_DEP_1) | instskip(NEXT) | instid1(VALU_DEP_2)
	v_add_co_u32 v2, vcc_lo, s3, v2
	v_add_co_ci_u32_e32 v3, vcc_lo, s4, v3, vcc_lo
	s_delay_alu instid0(VALU_DEP_2) | instskip(NEXT) | instid1(VALU_DEP_2)
	v_add_co_u32 v2, vcc_lo, v2, v4
	v_add_co_ci_u32_e32 v3, vcc_lo, 0, v3, vcc_lo
	global_load_b128 v[2:5], v[2:3], off
	s_waitcnt vmcnt(0)
	v_fma_mixlo_f16 v7, v4, s36, 0
	v_fma_mixlo_f16 v6, v2, s36, 0
	v_add_lshl_u32 v2, v22, v28, 2
	s_delay_alu instid0(VALU_DEP_3) | instskip(NEXT) | instid1(VALU_DEP_3)
	v_fma_mixhi_f16 v7, v5, s36, 0
	v_fma_mixhi_f16 v6, v3, s36, 0
	ds_store_b64 v2, v[6:7] offset:4608
	s_waitcnt lgkmcnt(0)
	s_barrier
	buffer_gl0_inv
	s_cbranch_scc1 .LBB91_6
; %bb.5:
	s_load_b32 s3, s[0:1], 0xd0
	s_mov_b32 s5, 0
	s_waitcnt lgkmcnt(0)
	s_mul_i32 s3, s3, s12
	s_delay_alu instid0(SALU_CYCLE_1) | instskip(NEXT) | instid1(SALU_CYCLE_1)
	s_add_i32 s4, s3, s13
	s_lshl_b64 s[4:5], s[4:5], 2
	s_delay_alu instid0(SALU_CYCLE_1)
	s_add_u32 s4, s26, s4
	s_addc_u32 s5, s27, s5
	s_load_b32 s42, s[4:5], 0x0
.LBB91_6:
	s_clause 0x1
	s_load_b64 s[8:9], s[0:1], 0x8c
	s_load_b128 s[4:7], s[0:1], 0x98
	s_ashr_i32 s3, s12, 31
	s_load_b64 s[26:27], s[0:1], 0xa8
	s_ashr_i32 s16, s45, 1
	s_mul_i32 s13, s37, s15
	v_lshlrev_b32_e32 v20, 2, v0
	v_mov_b32_e32 v2, 0xfeffffff
	v_mov_b32_e32 v26, 0
	v_lshrrev_b32_e32 v34, 3, v0
	v_mul_u32_u24_e32 v33, 0x90, v0
	v_and_b32_e32 v35, 28, v20
	v_lshrrev_b32_e32 v31, 4, v0
	v_and_b32_e32 v32, 60, v20
	v_lshlrev_b32_e32 v24, 3, v0
	v_mbcnt_lo_u32_b32 v23, -1, 0
	s_waitcnt lgkmcnt(0)
	s_ashr_i32 s17, s8, 2
	s_ashr_i32 s8, s6, 2
	s_mul_i32 s5, s12, s5
	s_mul_hi_u32 s6, s12, s4
	s_mul_i32 s22, s3, s4
	s_add_i32 s5, s6, s5
	s_mul_i32 s4, s12, s4
	s_add_i32 s5, s5, s22
	s_add_u32 s4, s18, s4
	s_addc_u32 s5, s19, s5
	s_sub_i32 s6, s33, s13
	s_xor_b32 s2, s35, s2
	s_add_i32 s13, s37, 1
	s_sub_i32 s18, s6, s15
	s_cmp_ge_u32 s6, s15
	s_mul_i32 s3, s3, s26
	s_cselect_b32 s13, s13, s37
	s_cselect_b32 s6, s18, s6
	s_add_i32 s18, s13, 1
	s_cmp_ge_u32 s6, s15
	s_mul_hi_u32 s15, s12, s26
	s_cselect_b32 s6, s18, s13
	s_mul_i32 s13, s12, s27
	s_xor_b32 s6, s6, s2
	s_delay_alu instid0(SALU_CYCLE_1) | instskip(NEXT) | instid1(SALU_CYCLE_1)
	s_sub_i32 s2, s6, s2
	s_mul_i32 s6, s2, s9
	s_mul_i32 s9, s12, s26
	s_ashr_i32 s18, s6, 31
	s_add_u32 s4, s4, s6
	s_addc_u32 s5, s5, s18
	s_add_i32 s6, s15, s13
	s_mul_i32 s2, s2, s7
	s_add_i32 s6, s6, s3
	s_add_u32 s3, s20, s9
	s_addc_u32 s6, s21, s6
	s_ashr_i32 s7, s2, 31
	s_add_u32 s9, s3, s2
	s_addc_u32 s13, s6, s7
	s_lshl_b32 s15, s14, 5
	s_sub_i32 s6, s42, 32
	s_delay_alu instid0(SALU_CYCLE_1)
	s_cmp_ge_i32 s15, s6
	s_cbranch_scc1 .LBB91_17
; %bb.7:
	v_lshl_add_u32 v2, v27, 2, v34
	v_lshl_add_u32 v8, v27, 1, v31
	s_lshl_b32 s2, s17, 3
	s_cmp_lg_u64 s[40:41], 0
	v_mad_u64_u32 v[3:4], null, v30, s16, v[0:1]
	v_mul_lo_u32 v5, s17, v2
	v_mul_lo_u32 v12, s8, v8
	s_cselect_b32 s7, -1, 0
	s_lshl_b32 s3, s8, 2
	v_dual_mov_b32 v25, 0 :: v_dual_lshlrev_b32 v6, 2, v35
	v_dual_mov_b32 v21, 0 :: v_dual_lshlrev_b32 v4, 2, v32
	s_delay_alu instid0(VALU_DEP_4) | instskip(NEXT) | instid1(VALU_DEP_4)
	v_dual_mov_b32 v50, 0xfeffffff :: v_dual_add_nc_u32 v7, s2, v5
	v_add_nc_u32_e32 v14, s3, v12
	s_delay_alu instid0(VALU_DEP_4) | instskip(NEXT) | instid1(VALU_DEP_4)
	v_mad_u32_u24 v38, 0x90, v2, v6
	v_lshl_or_b32 v39, v8, 8, v4
	s_delay_alu instid0(VALU_DEP_4)
	v_add_nc_u32_e32 v9, s2, v7
	v_ashrrev_i32_e32 v6, 31, v5
	v_add_nc_u32_e32 v18, s3, v14
	v_ashrrev_i32_e32 v8, 31, v7
	v_ashrrev_i32_e32 v13, 31, v12
	v_add_nc_u32_e32 v16, s2, v9
	v_ashrrev_i32_e32 v10, 31, v9
	v_add_nc_u32_e32 v51, s3, v18
	v_ashrrev_i32_e32 v15, 31, v14
	v_ashrrev_i32_e32 v19, 31, v18
	;; [unrolled: 1-line block ×3, first 2 shown]
	v_dual_mov_b32 v26, 0 :: v_dual_add_nc_u32 v37, 0x1400, v22
	v_ashrrev_i32_e32 v52, 31, v51
	v_lshlrev_b64 v[4:5], 2, v[5:6]
	v_lshlrev_b64 v[6:7], 2, v[7:8]
	;; [unrolled: 1-line block ×8, first 2 shown]
	v_lshl_add_u32 v36, v27, 8, 0x1200
	v_add_nc_u32_e32 v40, 0x480, v38
	v_add_nc_u32_e32 v41, 0x900, v38
	;; [unrolled: 1-line block ×3, first 2 shown]
	v_lshl_add_u32 v43, v0, 1, v37
	v_add_nc_u32_e32 v44, 0x400, v39
	v_add_nc_u32_e32 v45, 0x800, v39
	;; [unrolled: 1-line block ×3, first 2 shown]
	v_lshlrev_b32_e32 v47, 2, v35
	v_lshlrev_b32_e32 v48, 2, v32
	v_mbcnt_lo_u32_b32 v49, -1, 0
	s_add_u32 s2, s0, 0xd0
	s_addc_u32 s3, s1, 0
	s_mov_b32 s18, 0xbbbac73d
.LBB91_8:                               ; =>This Inner Loop Header: Depth=1
	s_mul_hi_i32 s21, s15, s17
	s_mul_i32 s20, s15, s17
	s_delay_alu instid0(SALU_CYCLE_1) | instskip(NEXT) | instid1(SALU_CYCLE_1)
	s_lshl_b64 s[20:21], s[20:21], 2
	s_add_u32 s19, s4, s20
	s_addc_u32 s20, s5, s21
	v_add_co_u32 v2, vcc_lo, s19, v4
	v_add_co_ci_u32_e32 v51, vcc_lo, s20, v5, vcc_lo
	v_add_co_u32 v52, vcc_lo, s19, v6
	v_add_co_ci_u32_e32 v53, vcc_lo, s20, v7, vcc_lo
	s_delay_alu instid0(VALU_DEP_4) | instskip(NEXT) | instid1(VALU_DEP_4)
	v_add_co_u32 v67, vcc_lo, v2, v47
	v_add_co_ci_u32_e32 v68, vcc_lo, 0, v51, vcc_lo
	s_delay_alu instid0(VALU_DEP_4) | instskip(NEXT) | instid1(VALU_DEP_4)
	v_add_co_u32 v69, vcc_lo, v52, v47
	v_add_co_ci_u32_e32 v70, vcc_lo, 0, v53, vcc_lo
	v_add_co_u32 v2, vcc_lo, s19, v8
	v_add_co_ci_u32_e32 v51, vcc_lo, s20, v9, vcc_lo
	;; [unrolled: 2-line block ×3, first 2 shown]
	s_delay_alu instid0(VALU_DEP_4) | instskip(NEXT) | instid1(VALU_DEP_4)
	v_add_co_u32 v71, vcc_lo, v2, v47
	v_add_co_ci_u32_e32 v72, vcc_lo, 0, v51, vcc_lo
	s_delay_alu instid0(VALU_DEP_4) | instskip(NEXT) | instid1(VALU_DEP_4)
	v_add_co_u32 v73, vcc_lo, v52, v47
	v_add_co_ci_u32_e32 v74, vcc_lo, 0, v53, vcc_lo
	s_clause 0x3
	global_load_b128 v[51:54], v[67:68], off
	global_load_b128 v[55:58], v[69:70], off
	;; [unrolled: 1-line block ×4, first 2 shown]
	v_mov_b32_e32 v2, 0
	s_waitcnt vmcnt(3)
	ds_store_b128 v38, v[51:54]
	s_waitcnt vmcnt(2)
	ds_store_b128 v40, v[55:58]
	;; [unrolled: 2-line block ×4, first 2 shown]
	s_waitcnt lgkmcnt(0)
	s_barrier
	buffer_gl0_inv
	ds_load_b128 v[51:54], v33
	ds_load_b128 v[55:58], v36
	s_waitcnt lgkmcnt(0)
	;;#ASMSTART
	v_dot2_f32_f16 v2, v51, v55, v2
	;;#ASMEND
	;;#ASMSTART
	v_dot2_f32_f16 v2, v52, v56, v2
	;;#ASMEND
	;;#ASMSTART
	v_dot2_f32_f16 v2, v53, v57, v2
	;;#ASMEND
	;;#ASMSTART
	v_dot2_f32_f16 v2, v54, v58, v2
	;;#ASMEND
	ds_load_b128 v[51:54], v33 offset:16
	ds_load_b128 v[55:58], v36 offset:16
	s_waitcnt lgkmcnt(0)
	;;#ASMSTART
	v_dot2_f32_f16 v2, v51, v55, v2
	;;#ASMEND
	;;#ASMSTART
	v_dot2_f32_f16 v2, v52, v56, v2
	;;#ASMEND
	;;#ASMSTART
	v_dot2_f32_f16 v2, v53, v57, v2
	;;#ASMEND
	;;#ASMSTART
	v_dot2_f32_f16 v2, v54, v58, v2
	;;#ASMEND
	ds_load_b128 v[51:54], v33 offset:32
	ds_load_b128 v[55:58], v36 offset:32
	;; [unrolled: 15-line block ×7, first 2 shown]
	s_waitcnt lgkmcnt(0)
	;;#ASMSTART
	v_dot2_f32_f16 v2, v51, v55, v2
	;;#ASMEND
	;;#ASMSTART
	v_dot2_f32_f16 v2, v52, v56, v2
	;;#ASMEND
	;; [unrolled: 3-line block ×4, first 2 shown]
	s_barrier
	buffer_gl0_inv
	s_clause 0x3
	global_load_b128 v[51:54], v[67:68], off offset:128
	global_load_b128 v[55:58], v[69:70], off offset:128
	;; [unrolled: 1-line block ×4, first 2 shown]
	s_waitcnt vmcnt(3)
	ds_store_b128 v38, v[51:54]
	s_waitcnt vmcnt(2)
	ds_store_b128 v40, v[55:58]
	;; [unrolled: 2-line block ×4, first 2 shown]
	s_waitcnt lgkmcnt(0)
	s_barrier
	buffer_gl0_inv
	ds_load_b128 v[51:54], v33
	ds_load_b128 v[55:58], v36 offset:128
	s_waitcnt lgkmcnt(0)
	;;#ASMSTART
	v_dot2_f32_f16 v2, v51, v55, v2
	;;#ASMEND
	;;#ASMSTART
	v_dot2_f32_f16 v2, v52, v56, v2
	;;#ASMEND
	;;#ASMSTART
	v_dot2_f32_f16 v2, v53, v57, v2
	;;#ASMEND
	;;#ASMSTART
	v_dot2_f32_f16 v2, v54, v58, v2
	;;#ASMEND
	ds_load_b128 v[51:54], v33 offset:16
	ds_load_b128 v[55:58], v36 offset:144
	s_waitcnt lgkmcnt(0)
	;;#ASMSTART
	v_dot2_f32_f16 v2, v51, v55, v2
	;;#ASMEND
	;;#ASMSTART
	v_dot2_f32_f16 v2, v52, v56, v2
	;;#ASMEND
	;;#ASMSTART
	v_dot2_f32_f16 v2, v53, v57, v2
	;;#ASMEND
	;;#ASMSTART
	v_dot2_f32_f16 v2, v54, v58, v2
	;;#ASMEND
	ds_load_b128 v[51:54], v33 offset:32
	;; [unrolled: 15-line block ×7, first 2 shown]
	ds_load_b128 v[55:58], v36 offset:240
	s_waitcnt lgkmcnt(0)
	;;#ASMSTART
	v_dot2_f32_f16 v2, v51, v55, v2
	;;#ASMEND
	;;#ASMSTART
	v_dot2_f32_f16 v2, v52, v56, v2
	;;#ASMEND
	;; [unrolled: 3-line block ×4, first 2 shown]
	v_cmp_ngt_f32_e64 s19, 0x3f200000, |v2|
                                        ; implicit-def: $vgpr51
	s_delay_alu instid0(VALU_DEP_1) | instskip(NEXT) | instid1(SALU_CYCLE_1)
	s_and_saveexec_b32 s20, s19
	s_xor_b32 s19, exec_lo, s20
	s_cbranch_execnz .LBB91_12
; %bb.9:                                ;   in Loop: Header=BB91_8 Depth=1
	s_and_not1_saveexec_b32 s19, s19
	s_cbranch_execnz .LBB91_13
.LBB91_10:                              ;   in Loop: Header=BB91_8 Depth=1
	s_or_b32 exec_lo, exec_lo, s19
	s_delay_alu instid0(SALU_CYCLE_1)
	s_and_not1_b32 vcc_lo, exec_lo, s7
	s_cbranch_vccnz .LBB91_14
.LBB91_11:                              ;   in Loop: Header=BB91_8 Depth=1
	v_add_nc_u32_e32 v52, s15, v3
	s_delay_alu instid0(VALU_DEP_1) | instskip(NEXT) | instid1(VALU_DEP_1)
	v_ashrrev_i32_e32 v53, 31, v52
	v_lshlrev_b64 v[52:53], 1, v[52:53]
	s_delay_alu instid0(VALU_DEP_1) | instskip(NEXT) | instid1(VALU_DEP_2)
	v_add_co_u32 v52, vcc_lo, s40, v52
	v_add_co_ci_u32_e32 v53, vcc_lo, s41, v53, vcc_lo
	flat_load_u16 v52, v[52:53]
	s_waitcnt vmcnt(0) lgkmcnt(0)
	v_cvt_f32_f16_e32 v52, v52
	s_delay_alu instid0(VALU_DEP_1)
	v_mul_f32_e32 v52, v29, v52
	s_branch .LBB91_15
.LBB91_12:                              ;   in Loop: Header=BB91_8 Depth=1
	v_add_f32_e64 v51, |v2|, |v2|
	s_delay_alu instid0(VALU_DEP_1) | instskip(SKIP_1) | instid1(VALU_DEP_2)
	v_mul_f32_e32 v52, 0x3fb8aa3b, v51
	v_cmp_ngt_f32_e32 vcc_lo, 0xc2ce8ed0, v51
	v_rndne_f32_e32 v53, v52
	v_fma_f32 v54, 0x3fb8aa3b, v51, -v52
	s_delay_alu instid0(VALU_DEP_2) | instskip(NEXT) | instid1(VALU_DEP_2)
	v_sub_f32_e32 v52, v52, v53
	v_fmac_f32_e32 v54, 0x32a5705f, v51
	v_cvt_i32_f32_e32 v53, v53
	s_delay_alu instid0(VALU_DEP_2) | instskip(NEXT) | instid1(VALU_DEP_1)
	v_add_f32_e32 v52, v52, v54
	v_exp_f32_e32 v52, v52
	s_waitcnt_depctr 0xfff
	v_ldexp_f32 v52, v52, v53
	s_delay_alu instid0(VALU_DEP_1) | instskip(SKIP_1) | instid1(VALU_DEP_2)
	v_cndmask_b32_e32 v52, 0, v52, vcc_lo
	v_cmp_nlt_f32_e32 vcc_lo, 0x42b17218, v51
	v_cndmask_b32_e32 v51, 0x7f800000, v52, vcc_lo
	s_delay_alu instid0(VALU_DEP_1) | instskip(NEXT) | instid1(VALU_DEP_1)
	v_add_f32_e32 v51, 1.0, v51
	v_rcp_f32_e32 v51, v51
	s_waitcnt_depctr 0xfff
	v_fma_f32 v51, v51, -2.0, 1.0
	s_and_not1_saveexec_b32 s19, s19
	s_cbranch_execz .LBB91_10
.LBB91_13:                              ;   in Loop: Header=BB91_8 Depth=1
	v_mul_f32_e32 v51, v2, v2
	s_delay_alu instid0(VALU_DEP_1) | instskip(NEXT) | instid1(VALU_DEP_1)
	v_fmaak_f32 v52, s18, v51, 0x3ca908c9
	v_fmaak_f32 v52, v51, v52, 0xbd5c1c4e
	s_delay_alu instid0(VALU_DEP_1) | instskip(NEXT) | instid1(VALU_DEP_1)
	v_fmaak_f32 v52, v51, v52, 0x3e088382
	v_fmaak_f32 v52, v51, v52, 0xbeaaaa99
	s_delay_alu instid0(VALU_DEP_1) | instskip(NEXT) | instid1(VALU_DEP_1)
	v_mul_f32_e64 v52, |v2|, v52
	v_fma_f32 v51, v51, v52, |v2|
	s_or_b32 exec_lo, exec_lo, s19
	s_delay_alu instid0(SALU_CYCLE_1)
	s_and_not1_b32 vcc_lo, exec_lo, s7
	s_cbranch_vccz .LBB91_11
.LBB91_14:                              ;   in Loop: Header=BB91_8 Depth=1
	v_mov_b32_e32 v52, 0
.LBB91_15:                              ;   in Loop: Header=BB91_8 Depth=1
	s_mul_hi_i32 s21, s15, s8
	s_mul_i32 s20, s15, s8
	s_delay_alu instid0(SALU_CYCLE_1)
	s_lshl_b64 s[20:21], s[20:21], 2
	s_barrier
	s_add_u32 s19, s9, s20
	s_addc_u32 s20, s13, s21
	v_add_co_u32 v53, vcc_lo, s19, v12
	v_add_co_ci_u32_e32 v54, vcc_lo, s20, v13, vcc_lo
	v_add_co_u32 v55, vcc_lo, s19, v14
	v_add_co_ci_u32_e32 v56, vcc_lo, s20, v15, vcc_lo
	s_delay_alu instid0(VALU_DEP_4) | instskip(NEXT) | instid1(VALU_DEP_4)
	v_add_co_u32 v53, vcc_lo, v53, v48
	v_add_co_ci_u32_e32 v54, vcc_lo, 0, v54, vcc_lo
	s_delay_alu instid0(VALU_DEP_4) | instskip(NEXT) | instid1(VALU_DEP_4)
	v_add_co_u32 v57, vcc_lo, v55, v48
	v_add_co_ci_u32_e32 v58, vcc_lo, 0, v56, vcc_lo
	v_add_co_u32 v55, vcc_lo, s19, v16
	v_add_co_ci_u32_e32 v56, vcc_lo, s20, v17, vcc_lo
	;; [unrolled: 2-line block ×3, first 2 shown]
	s_delay_alu instid0(VALU_DEP_4) | instskip(NEXT) | instid1(VALU_DEP_4)
	v_add_co_u32 v61, vcc_lo, v55, v48
	v_add_co_ci_u32_e32 v62, vcc_lo, 0, v56, vcc_lo
	s_delay_alu instid0(VALU_DEP_4) | instskip(NEXT) | instid1(VALU_DEP_4)
	v_add_co_u32 v65, vcc_lo, v59, v48
	v_add_co_ci_u32_e32 v66, vcc_lo, 0, v60, vcc_lo
	buffer_gl0_inv
	s_clause 0x3
	global_load_b128 v[53:56], v[53:54], off
	global_load_b128 v[57:60], v[57:58], off
	global_load_b128 v[61:64], v[61:62], off
	global_load_b128 v[65:68], v[65:66], off
	v_bfi_b32 v2, 0x7fffffff, v51, v2
	v_xor_b32_e32 v51, 16, v49
	s_or_b32 s19, s15, 16
	v_add_nc_u32_e32 v107, 0x800, v24
	s_mul_hi_i32 s21, s19, s8
	s_mul_i32 s20, s19, s8
	v_cmp_gt_i32_e32 vcc_lo, 32, v51
	v_fmac_f32_e32 v52, s23, v2
	s_lshl_b64 s[20:21], s[20:21], 2
	s_delay_alu instid0(SALU_CYCLE_1) | instskip(SKIP_1) | instid1(VALU_DEP_2)
	s_add_u32 s19, s9, s20
	v_dual_cndmask_b32 v51, v49, v51 :: v_dual_max_f32 v2, v50, v50
	v_add_f32_e32 v69, 0x40051340, v52
	s_addc_u32 s20, s13, s21
	s_delay_alu instid0(VALU_DEP_1)
	v_dual_max_f32 v2, v2, v69 :: v_dual_lshlrev_b32 v51, 2, v51
	v_xor_b32_e32 v69, 8, v49
	ds_bpermute_b32 v51, v51, v2
	v_cmp_gt_i32_e32 vcc_lo, 32, v69
	s_waitcnt lgkmcnt(0)
	v_max_f32_e32 v51, v51, v51
	s_delay_alu instid0(VALU_DEP_1) | instskip(NEXT) | instid1(VALU_DEP_1)
	v_dual_cndmask_b32 v69, v49, v69 :: v_dual_max_f32 v2, v2, v51
	v_lshlrev_b32_e32 v69, 2, v69
	ds_bpermute_b32 v51, v69, v2
	v_xor_b32_e32 v69, 4, v49
	s_delay_alu instid0(VALU_DEP_1) | instskip(SKIP_2) | instid1(VALU_DEP_1)
	v_cmp_gt_i32_e32 vcc_lo, 32, v69
	s_waitcnt lgkmcnt(0)
	v_max_f32_e32 v51, v51, v51
	v_dual_max_f32 v2, v2, v51 :: v_dual_cndmask_b32 v69, v49, v69
	s_delay_alu instid0(VALU_DEP_1) | instskip(SKIP_2) | instid1(VALU_DEP_1)
	v_lshlrev_b32_e32 v69, 2, v69
	ds_bpermute_b32 v51, v69, v2
	v_xor_b32_e32 v69, 2, v49
	v_cmp_gt_i32_e32 vcc_lo, 32, v69
	v_cndmask_b32_e32 v69, v49, v69, vcc_lo
	s_delay_alu instid0(VALU_DEP_1) | instskip(SKIP_2) | instid1(VALU_DEP_1)
	v_lshlrev_b32_e32 v69, 2, v69
	s_waitcnt lgkmcnt(0)
	v_max_f32_e32 v51, v51, v51
	v_max_f32_e32 v2, v2, v51
	ds_bpermute_b32 v51, v69, v2
	v_xor_b32_e32 v69, 1, v49
	s_delay_alu instid0(VALU_DEP_1) | instskip(SKIP_3) | instid1(VALU_DEP_3)
	v_cmp_gt_i32_e32 vcc_lo, 32, v69
	v_cndmask_b32_e32 v69, v49, v69, vcc_lo
	v_add_co_u32 v71, vcc_lo, s19, v12
	v_add_co_ci_u32_e32 v72, vcc_lo, s20, v13, vcc_lo
	v_lshlrev_b32_e32 v69, 2, v69
	s_waitcnt lgkmcnt(0)
	v_max_f32_e32 v51, v51, v51
	s_delay_alu instid0(VALU_DEP_1) | instskip(SKIP_3) | instid1(VALU_DEP_1)
	v_max_f32_e32 v2, v2, v51
	ds_bpermute_b32 v51, v69, v2
	s_waitcnt lgkmcnt(0)
	v_max_f32_e32 v51, v51, v51
	v_max_f32_e32 v2, v2, v51
	s_delay_alu instid0(VALU_DEP_1) | instskip(SKIP_1) | instid1(VALU_DEP_1)
	v_sub_f32_e32 v51, v52, v2
	v_sub_f32_e32 v50, v50, v2
	v_dual_mul_f32 v52, 0x3fb8aa3b, v51 :: v_dual_mul_f32 v109, 0x3fb8aa3b, v50
	s_delay_alu instid0(VALU_DEP_1) | instskip(SKIP_1) | instid1(VALU_DEP_3)
	v_fma_f32 v69, 0x3fb8aa3b, v51, -v52
	v_rndne_f32_e32 v70, v52
	v_fma_f32 v110, 0x3fb8aa3b, v50, -v109
	v_rndne_f32_e32 v111, v109
	s_delay_alu instid0(VALU_DEP_3) | instskip(SKIP_1) | instid1(VALU_DEP_3)
	v_dual_fmac_f32 v69, 0x32a5705f, v51 :: v_dual_sub_f32 v52, v52, v70
	v_cvt_i32_f32_e32 v70, v70
	v_dual_fmac_f32 v110, 0x32a5705f, v50 :: v_dual_sub_f32 v109, v109, v111
	s_delay_alu instid0(VALU_DEP_3) | instskip(SKIP_2) | instid1(VALU_DEP_3)
	v_add_f32_e32 v52, v52, v69
	v_add_co_u32 v69, vcc_lo, s19, v14
	v_add_co_ci_u32_e32 v73, vcc_lo, s20, v15, vcc_lo
	v_exp_f32_e32 v52, v52
	v_add_co_u32 v74, vcc_lo, s19, v16
	v_add_co_ci_u32_e32 v75, vcc_lo, s20, v17, vcc_lo
	v_add_co_u32 v76, vcc_lo, s19, v18
	v_add_co_ci_u32_e32 v77, vcc_lo, s20, v19, vcc_lo
	;; [unrolled: 2-line block ×3, first 2 shown]
	s_delay_alu instid0(TRANS32_DEP_1) | instskip(SKIP_3) | instid1(VALU_DEP_4)
	v_ldexp_f32 v52, v52, v70
	v_cmp_ngt_f32_e32 vcc_lo, 0xc2ce8ed0, v51
	v_add_f32_e32 v109, v109, v110
	v_cvt_i32_f32_e32 v110, v111
	v_cndmask_b32_e32 v52, 0, v52, vcc_lo
	v_add_co_u32 v95, vcc_lo, v69, v48
	v_add_co_ci_u32_e32 v96, vcc_lo, 0, v73, vcc_lo
	v_cmp_nlt_f32_e32 vcc_lo, 0x42b17218, v51
	v_exp_f32_e32 v109, v109
	v_cndmask_b32_e32 v108, 0x7f800000, v52, vcc_lo
	v_add_co_u32 v99, vcc_lo, v74, v48
	v_add_co_ci_u32_e32 v100, vcc_lo, 0, v75, vcc_lo
	s_delay_alu instid0(VALU_DEP_3) | instskip(SKIP_2) | instid1(TRANS32_DEP_1)
	v_cvt_f16_f32_e32 v51, v108
	v_add_co_u32 v103, vcc_lo, v76, v48
	v_add_co_ci_u32_e32 v104, vcc_lo, 0, v77, vcc_lo
	v_ldexp_f32 v109, v109, v110
	v_cmp_ngt_f32_e32 vcc_lo, 0xc2ce8ed0, v50
	ds_store_b16 v43, v51
	s_waitcnt vmcnt(3)
	ds_store_b128 v39, v[53:56]
	s_waitcnt vmcnt(2)
	ds_store_b128 v44, v[57:60]
	;; [unrolled: 2-line block ×4, first 2 shown]
	s_waitcnt lgkmcnt(0)
	s_barrier
	buffer_gl0_inv
	ds_load_2addr_b64 v[51:54], v24 offset1:32
	ds_load_b128 v[55:58], v37
	ds_load_b128 v[59:62], v37 offset:16
	ds_load_2addr_b64 v[63:66], v24 offset0:64 offset1:96
	ds_load_2addr_b64 v[67:70], v24 offset0:128 offset1:160
	;; [unrolled: 1-line block ×3, first 2 shown]
	ds_load_2addr_b64 v[75:78], v107 offset1:32
	ds_load_2addr_b64 v[79:82], v107 offset0:64 offset1:96
	ds_load_2addr_b64 v[83:86], v107 offset0:128 offset1:160
	;; [unrolled: 1-line block ×3, first 2 shown]
	s_waitcnt lgkmcnt(0)
	s_barrier
	buffer_gl0_inv
	s_clause 0x3
	global_load_b128 v[91:94], v[91:92], off
	global_load_b128 v[95:98], v[95:96], off
	;; [unrolled: 1-line block ×4, first 2 shown]
	v_cndmask_b32_e32 v109, 0, v109, vcc_lo
	v_cmp_nlt_f32_e32 vcc_lo, 0x42b17218, v50
	s_waitcnt vmcnt(3)
	ds_store_b128 v39, v[91:94]
	s_waitcnt vmcnt(2)
	ds_store_b128 v44, v[95:98]
	s_waitcnt vmcnt(1)
	ds_store_b128 v45, v[99:102]
	s_waitcnt vmcnt(0)
	ds_store_b128 v46, v[103:106]
	v_cndmask_b32_e32 v109, 0x7f800000, v109, vcc_lo
	v_pk_mul_f16 v51, v51, v55 op_sel_hi:[1,0]
	v_pk_mul_f16 v52, v52, v55 op_sel_hi:[1,0]
	s_waitcnt lgkmcnt(0)
	s_barrier
	v_cvt_f16_f32_e32 v50, v109
	buffer_gl0_inv
	v_fma_f32 v21, v21, v109, v108
	v_pk_fma_f16 v25, v25, v50, v51 op_sel_hi:[1,0,1]
	v_pk_fma_f16 v26, v26, v50, v52 op_sel_hi:[1,0,1]
	s_delay_alu instid0(VALU_DEP_2) | instskip(NEXT) | instid1(VALU_DEP_2)
	v_pk_fma_f16 v25, v53, v55, v25 op_sel:[0,1,0]
	v_pk_fma_f16 v26, v54, v55, v26 op_sel:[0,1,0]
	s_delay_alu instid0(VALU_DEP_2) | instskip(NEXT) | instid1(VALU_DEP_2)
	v_pk_fma_f16 v25, v63, v56, v25 op_sel_hi:[1,0,1]
	v_pk_fma_f16 v26, v64, v56, v26 op_sel_hi:[1,0,1]
	s_delay_alu instid0(VALU_DEP_2) | instskip(NEXT) | instid1(VALU_DEP_2)
	v_pk_fma_f16 v25, v65, v56, v25 op_sel:[0,1,0]
	v_pk_fma_f16 v26, v66, v56, v26 op_sel:[0,1,0]
	s_delay_alu instid0(VALU_DEP_2) | instskip(NEXT) | instid1(VALU_DEP_2)
	v_pk_fma_f16 v25, v67, v57, v25 op_sel_hi:[1,0,1]
	v_pk_fma_f16 v26, v68, v57, v26 op_sel_hi:[1,0,1]
	s_delay_alu instid0(VALU_DEP_2) | instskip(NEXT) | instid1(VALU_DEP_2)
	v_pk_fma_f16 v25, v69, v57, v25 op_sel:[0,1,0]
	v_pk_fma_f16 v26, v70, v57, v26 op_sel:[0,1,0]
	ds_load_2addr_b64 v[50:53], v24 offset1:32
	ds_load_b128 v[54:57], v37 offset:32
	v_pk_fma_f16 v25, v71, v58, v25 op_sel_hi:[1,0,1]
	v_pk_fma_f16 v26, v72, v58, v26 op_sel_hi:[1,0,1]
	s_delay_alu instid0(VALU_DEP_2) | instskip(NEXT) | instid1(VALU_DEP_2)
	v_pk_fma_f16 v25, v73, v58, v25 op_sel:[0,1,0]
	v_pk_fma_f16 v26, v74, v58, v26 op_sel:[0,1,0]
	s_delay_alu instid0(VALU_DEP_2) | instskip(NEXT) | instid1(VALU_DEP_2)
	v_pk_fma_f16 v25, v75, v59, v25 op_sel_hi:[1,0,1]
	v_pk_fma_f16 v26, v76, v59, v26 op_sel_hi:[1,0,1]
	s_delay_alu instid0(VALU_DEP_2) | instskip(NEXT) | instid1(VALU_DEP_2)
	v_pk_fma_f16 v25, v77, v59, v25 op_sel:[0,1,0]
	v_pk_fma_f16 v26, v78, v59, v26 op_sel:[0,1,0]
	s_delay_alu instid0(VALU_DEP_2) | instskip(NEXT) | instid1(VALU_DEP_2)
	;; [unrolled: 6-line block ×3, first 2 shown]
	v_pk_fma_f16 v25, v83, v61, v25 op_sel_hi:[1,0,1]
	v_pk_fma_f16 v26, v84, v61, v26 op_sel_hi:[1,0,1]
	s_delay_alu instid0(VALU_DEP_2) | instskip(NEXT) | instid1(VALU_DEP_2)
	v_pk_fma_f16 v25, v85, v61, v25 op_sel:[0,1,0]
	v_pk_fma_f16 v26, v86, v61, v26 op_sel:[0,1,0]
	ds_load_2addr_b64 v[58:61], v24 offset0:64 offset1:96
	v_pk_fma_f16 v25, v87, v62, v25 op_sel_hi:[1,0,1]
	v_pk_fma_f16 v26, v88, v62, v26 op_sel_hi:[1,0,1]
	s_delay_alu instid0(VALU_DEP_2) | instskip(NEXT) | instid1(VALU_DEP_2)
	v_pk_fma_f16 v25, v89, v62, v25 op_sel:[0,1,0]
	v_pk_fma_f16 v26, v90, v62, v26 op_sel:[0,1,0]
	ds_load_b128 v[62:65], v37 offset:48
	ds_load_2addr_b64 v[66:69], v24 offset0:128 offset1:160
	s_waitcnt lgkmcnt(3)
	v_pk_fma_f16 v25, v50, v54, v25 op_sel_hi:[1,0,1]
	v_pk_fma_f16 v26, v51, v54, v26 op_sel_hi:[1,0,1]
	s_delay_alu instid0(VALU_DEP_2) | instskip(NEXT) | instid1(VALU_DEP_2)
	v_pk_fma_f16 v25, v52, v54, v25 op_sel:[0,1,0]
	v_pk_fma_f16 v26, v53, v54, v26 op_sel:[0,1,0]
	ds_load_2addr_b64 v[50:53], v24 offset0:192 offset1:224
	s_waitcnt lgkmcnt(3)
	v_pk_fma_f16 v25, v58, v55, v25 op_sel_hi:[1,0,1]
	v_pk_fma_f16 v26, v59, v55, v26 op_sel_hi:[1,0,1]
	s_delay_alu instid0(VALU_DEP_2) | instskip(NEXT) | instid1(VALU_DEP_2)
	v_pk_fma_f16 v25, v60, v55, v25 op_sel:[0,1,0]
	v_pk_fma_f16 v26, v61, v55, v26 op_sel:[0,1,0]
	ds_load_2addr_b64 v[58:61], v107 offset1:32
	s_waitcnt lgkmcnt(2)
	v_pk_fma_f16 v25, v66, v56, v25 op_sel_hi:[1,0,1]
	v_pk_fma_f16 v26, v67, v56, v26 op_sel_hi:[1,0,1]
	s_delay_alu instid0(VALU_DEP_2) | instskip(NEXT) | instid1(VALU_DEP_2)
	v_pk_fma_f16 v25, v68, v56, v25 op_sel:[0,1,0]
	v_pk_fma_f16 v26, v69, v56, v26 op_sel:[0,1,0]
	ds_load_2addr_b64 v[66:69], v107 offset0:64 offset1:96
	s_waitcnt lgkmcnt(2)
	v_pk_fma_f16 v25, v50, v57, v25 op_sel_hi:[1,0,1]
	v_pk_fma_f16 v26, v51, v57, v26 op_sel_hi:[1,0,1]
	s_delay_alu instid0(VALU_DEP_2) | instskip(NEXT) | instid1(VALU_DEP_2)
	v_pk_fma_f16 v25, v52, v57, v25 op_sel:[0,1,0]
	v_pk_fma_f16 v26, v53, v57, v26 op_sel:[0,1,0]
	ds_load_2addr_b64 v[50:53], v107 offset0:128 offset1:160
	ds_load_2addr_b64 v[54:57], v107 offset0:192 offset1:224
	s_waitcnt lgkmcnt(0)
	v_pk_fma_f16 v25, v58, v62, v25 op_sel_hi:[1,0,1]
	v_pk_fma_f16 v26, v59, v62, v26 op_sel_hi:[1,0,1]
	s_barrier
	buffer_gl0_inv
	s_load_b32 s19, s[2:3], 0x4
	v_pk_fma_f16 v25, v60, v62, v25 op_sel:[0,1,0]
	v_pk_fma_f16 v26, v61, v62, v26 op_sel:[0,1,0]
	s_delay_alu instid0(VALU_DEP_2) | instskip(NEXT) | instid1(VALU_DEP_2)
	v_pk_fma_f16 v25, v66, v63, v25 op_sel_hi:[1,0,1]
	v_pk_fma_f16 v26, v67, v63, v26 op_sel_hi:[1,0,1]
	s_delay_alu instid0(VALU_DEP_2) | instskip(NEXT) | instid1(VALU_DEP_2)
	v_pk_fma_f16 v25, v68, v63, v25 op_sel:[0,1,0]
	v_pk_fma_f16 v26, v69, v63, v26 op_sel:[0,1,0]
	s_delay_alu instid0(VALU_DEP_2) | instskip(NEXT) | instid1(VALU_DEP_2)
	v_pk_fma_f16 v25, v50, v64, v25 op_sel_hi:[1,0,1]
	v_pk_fma_f16 v26, v51, v64, v26 op_sel_hi:[1,0,1]
	s_waitcnt lgkmcnt(0)
	s_lshl_b32 s19, s19, 5
	s_delay_alu instid0(VALU_DEP_2) | instskip(NEXT) | instid1(VALU_DEP_2)
	v_pk_fma_f16 v25, v52, v64, v25 op_sel:[0,1,0]
	v_pk_fma_f16 v26, v53, v64, v26 op_sel:[0,1,0]
	s_add_i32 s15, s19, s15
	s_delay_alu instid0(SALU_CYCLE_1) | instskip(NEXT) | instid1(VALU_DEP_2)
	s_cmp_lt_i32 s15, s6
	v_pk_fma_f16 v25, v54, v65, v25 op_sel_hi:[1,0,1]
	s_delay_alu instid0(VALU_DEP_2) | instskip(NEXT) | instid1(VALU_DEP_2)
	v_pk_fma_f16 v26, v55, v65, v26 op_sel_hi:[1,0,1]
	v_pk_fma_f16 v25, v56, v65, v25 op_sel:[0,1,0]
	s_delay_alu instid0(VALU_DEP_2)
	v_pk_fma_f16 v26, v57, v65, v26 op_sel:[0,1,0]
	s_cbranch_scc0 .LBB91_18
; %bb.16:                               ;   in Loop: Header=BB91_8 Depth=1
	v_mov_b32_e32 v50, v2
	s_branch .LBB91_8
.LBB91_17:
	v_mov_b32_e32 v25, 0
.LBB91_18:
	s_cmp_gt_i32 s42, s15
	s_cbranch_scc1 .LBB91_20
; %bb.19:
	v_mbcnt_lo_u32_b32 v8, -1, 0
	v_mov_b32_e32 v10, 32
	s_delay_alu instid0(VALU_DEP_2)
	v_xor_b32_e32 v3, 16, v8
	v_xor_b32_e32 v4, 8, v8
	;; [unrolled: 1-line block ×5, first 2 shown]
	s_cbranch_execz .LBB91_21
	s_branch .LBB91_31
.LBB91_20:
                                        ; implicit-def: $vgpr8
                                        ; implicit-def: $vgpr10
                                        ; implicit-def: $vgpr3
                                        ; implicit-def: $vgpr4
                                        ; implicit-def: $vgpr5
                                        ; implicit-def: $vgpr6
                                        ; implicit-def: $vgpr7
.LBB91_21:
	v_lshl_add_u32 v10, v27, 2, v34
	s_mul_hi_i32 s3, s15, s17
	s_mul_i32 s2, s15, s17
	s_sub_i32 s18, s42, s15
	s_lshl_b64 s[2:3], s[2:3], 2
	v_mul_lo_u32 v7, s17, v10
	s_mov_b32 s20, 0
	s_add_u32 s4, s4, s2
	s_addc_u32 s5, s5, s3
	s_mov_b32 s21, s20
	s_mov_b32 s22, s20
	v_dual_mov_b32 v12, s20 :: v_dual_lshlrev_b32 v11, 2, v35
	s_delay_alu instid0(VALU_DEP_2) | instskip(SKIP_3) | instid1(VALU_DEP_3)
	v_ashrrev_i32_e32 v8, 31, v7
	s_mov_b64 s[6:7], src_private_base
	v_dual_mov_b32 v17, 0 :: v_dual_mov_b32 v14, s22
	v_dual_mov_b32 v13, s21 :: v_dual_add_nc_u32 v18, 8, v10
	v_lshlrev_b64 v[3:4], 2, v[7:8]
	s_clause 0x1
	scratch_store_b32 off, v17, off
	scratch_store_b96 off, v[12:14], off offset:4
	s_lshl_b32 s6, s17, 3
	v_lshlrev_b32_e32 v39, 8, v27
	v_add_nc_u32_e32 v7, s6, v7
	v_add_co_u32 v3, vcc_lo, s4, v3
	v_add_co_ci_u32_e32 v4, vcc_lo, s5, v4, vcc_lo
	s_delay_alu instid0(VALU_DEP_3) | instskip(NEXT) | instid1(VALU_DEP_3)
	v_ashrrev_i32_e32 v8, 31, v7
	v_add_co_u32 v15, vcc_lo, v3, v11
	s_delay_alu instid0(VALU_DEP_3) | instskip(SKIP_1) | instid1(VALU_DEP_4)
	v_add_co_ci_u32_e32 v16, vcc_lo, 0, v4, vcc_lo
	v_cmp_gt_i32_e32 vcc_lo, s18, v10
	v_lshlrev_b64 v[8:9], 2, v[7:8]
	v_add_nc_u32_e32 v7, s6, v7
	s_delay_alu instid0(VALU_DEP_4) | instskip(SKIP_1) | instid1(VALU_DEP_4)
	v_dual_cndmask_b32 v4, s7, v16 :: v_dual_add_nc_u32 v35, 16, v10
	v_cndmask_b32_e32 v3, 0, v15, vcc_lo
	v_add_co_u32 v8, s2, s4, v8
	s_delay_alu instid0(VALU_DEP_1) | instskip(SKIP_2) | instid1(VALU_DEP_1)
	v_add_co_ci_u32_e64 v9, s2, s5, v9, s2
	flat_load_b128 v[3:6], v[3:4]
	v_add_co_u32 v19, s2, v8, v11
	v_add_co_ci_u32_e64 v34, s2, 0, v9, s2
	v_cmp_gt_i32_e64 s2, s18, v18
	v_mad_u32_u24 v18, 0x90, v10, v11
	s_clause 0x1
	scratch_store_b32 off, v17, off
	scratch_store_b96 off, v[12:14], off offset:4
	v_cndmask_b32_e64 v9, s7, v34, s2
	v_cndmask_b32_e64 v8, 0, v19, s2
	s_waitcnt vmcnt(0) lgkmcnt(0)
	ds_store_b128 v18, v[3:6]
	flat_load_b128 v[3:6], v[8:9]
	v_ashrrev_i32_e32 v8, 31, v7
	s_clause 0x1
	scratch_store_b32 off, v17, off
	scratch_store_b96 off, v[12:14], off offset:4
	v_lshlrev_b64 v[8:9], 2, v[7:8]
	v_add_nc_u32_e32 v7, s6, v7
	s_delay_alu instid0(VALU_DEP_2) | instskip(NEXT) | instid1(VALU_DEP_1)
	v_add_co_u32 v8, s3, s4, v8
	v_add_co_ci_u32_e64 v9, s3, s5, v9, s3
	s_delay_alu instid0(VALU_DEP_2) | instskip(NEXT) | instid1(VALU_DEP_1)
	v_add_co_u32 v36, s3, v8, v11
	v_add_co_ci_u32_e64 v37, s3, 0, v9, s3
	v_cmp_gt_i32_e64 s3, s18, v35
	s_delay_alu instid0(VALU_DEP_1) | instskip(NEXT) | instid1(VALU_DEP_4)
	v_cndmask_b32_e64 v9, s7, v37, s3
	v_cndmask_b32_e64 v8, 0, v36, s3
	s_waitcnt vmcnt(0) lgkmcnt(0)
	ds_store_b128 v18, v[3:6] offset:1152
	flat_load_b128 v[3:6], v[8:9]
	v_ashrrev_i32_e32 v8, 31, v7
	s_clause 0x1
	scratch_store_b32 off, v17, off
	scratch_store_b96 off, v[12:14], off offset:4
	v_lshlrev_b64 v[7:8], 2, v[7:8]
	s_delay_alu instid0(VALU_DEP_1) | instskip(NEXT) | instid1(VALU_DEP_1)
	v_add_co_u32 v7, s4, s4, v7
	v_add_co_ci_u32_e64 v8, s4, s5, v8, s4
	v_add_co_u32 v15, s5, 0x80, v15
	s_delay_alu instid0(VALU_DEP_1) | instskip(SKIP_2) | instid1(VALU_DEP_3)
	v_add_co_ci_u32_e64 v16, s5, 0, v16, s5
	v_add_nc_u32_e32 v9, 24, v10
	v_add_co_u32 v35, s4, v7, v11
	v_cndmask_b32_e32 v16, s7, v16, vcc_lo
	v_add_co_ci_u32_e64 v38, s4, 0, v8, s4
	s_delay_alu instid0(VALU_DEP_4) | instskip(SKIP_1) | instid1(VALU_DEP_2)
	v_cmp_gt_i32_e64 s4, s18, v9
	v_cndmask_b32_e32 v15, 0, v15, vcc_lo
	v_cndmask_b32_e64 v8, s7, v38, s4
	v_cndmask_b32_e64 v7, 0, v35, s4
	s_waitcnt vmcnt(0) lgkmcnt(0)
	ds_store_b128 v18, v[3:6] offset:2304
	flat_load_b128 v[3:6], v[7:8]
	s_waitcnt vmcnt(0) lgkmcnt(0)
	ds_store_b128 v18, v[3:6] offset:3456
	s_waitcnt lgkmcnt(0)
	s_waitcnt_vscnt null, 0x0
	s_barrier
	buffer_gl0_inv
	ds_load_b128 v[4:7], v33
	ds_load_b128 v[8:11], v39 offset:4608
	v_mov_b32_e32 v3, 0
	s_waitcnt lgkmcnt(0)
	;;#ASMSTART
	v_dot2_f32_f16 v3, v4, v8, v3
	;;#ASMEND
	;;#ASMSTART
	v_dot2_f32_f16 v3, v5, v9, v3
	;;#ASMEND
	;;#ASMSTART
	v_dot2_f32_f16 v3, v6, v10, v3
	;;#ASMEND
	;;#ASMSTART
	v_dot2_f32_f16 v3, v7, v11, v3
	;;#ASMEND
	ds_load_b128 v[4:7], v33 offset:16
	ds_load_b128 v[8:11], v39 offset:4624
	s_waitcnt lgkmcnt(0)
	;;#ASMSTART
	v_dot2_f32_f16 v3, v4, v8, v3
	;;#ASMEND
	;;#ASMSTART
	v_dot2_f32_f16 v3, v5, v9, v3
	;;#ASMEND
	;;#ASMSTART
	v_dot2_f32_f16 v3, v6, v10, v3
	;;#ASMEND
	;;#ASMSTART
	v_dot2_f32_f16 v3, v7, v11, v3
	;;#ASMEND
	ds_load_b128 v[4:7], v33 offset:32
	ds_load_b128 v[8:11], v39 offset:4640
	;; [unrolled: 15-line block ×7, first 2 shown]
	s_waitcnt lgkmcnt(0)
	;;#ASMSTART
	v_dot2_f32_f16 v3, v4, v8, v3
	;;#ASMEND
	;;#ASMSTART
	v_dot2_f32_f16 v3, v5, v9, v3
	;;#ASMEND
	;; [unrolled: 3-line block ×4, first 2 shown]
	s_barrier
	buffer_gl0_inv
	s_clause 0x1
	scratch_store_b32 off, v17, off
	scratch_store_b96 off, v[12:14], off offset:4
	flat_load_b128 v[4:7], v[15:16]
	v_add_co_u32 v8, vcc_lo, 0x80, v19
	v_add_co_ci_u32_e32 v9, vcc_lo, 0, v34, vcc_lo
	s_clause 0x1
	scratch_store_b32 off, v17, off
	scratch_store_b96 off, v[12:14], off offset:4
	v_cndmask_b32_e64 v8, 0, v8, s2
	v_cndmask_b32_e64 v9, s7, v9, s2
	s_waitcnt vmcnt(0) lgkmcnt(0)
	ds_store_b128 v18, v[4:7]
	flat_load_b128 v[4:7], v[8:9]
	v_add_co_u32 v8, vcc_lo, 0x80, v36
	v_add_co_ci_u32_e32 v9, vcc_lo, 0, v37, vcc_lo
	s_clause 0x1
	scratch_store_b32 off, v17, off
	scratch_store_b96 off, v[12:14], off offset:4
	v_cndmask_b32_e64 v8, 0, v8, s3
	v_cndmask_b32_e64 v9, s7, v9, s3
	s_waitcnt vmcnt(0) lgkmcnt(0)
	ds_store_b128 v18, v[4:7] offset:1152
	flat_load_b128 v[4:7], v[8:9]
	v_add_co_u32 v8, vcc_lo, 0x80, v35
	v_add_co_ci_u32_e32 v9, vcc_lo, 0, v38, vcc_lo
	s_clause 0x1
	scratch_store_b32 off, v17, off
	scratch_store_b96 off, v[12:14], off offset:4
	v_cndmask_b32_e64 v8, 0, v8, s4
	v_cndmask_b32_e64 v9, s7, v9, s4
	s_waitcnt vmcnt(0) lgkmcnt(0)
	ds_store_b128 v18, v[4:7] offset:2304
	flat_load_b128 v[4:7], v[8:9]
	s_waitcnt vmcnt(0) lgkmcnt(0)
	ds_store_b128 v18, v[4:7] offset:3456
	s_waitcnt lgkmcnt(0)
	s_waitcnt_vscnt null, 0x0
	s_barrier
	buffer_gl0_inv
	ds_load_b128 v[4:7], v33
	ds_load_b128 v[8:11], v39 offset:4736
	s_waitcnt lgkmcnt(0)
	;;#ASMSTART
	v_dot2_f32_f16 v3, v4, v8, v3
	;;#ASMEND
	;;#ASMSTART
	v_dot2_f32_f16 v3, v5, v9, v3
	;;#ASMEND
	;;#ASMSTART
	v_dot2_f32_f16 v3, v6, v10, v3
	;;#ASMEND
	;;#ASMSTART
	v_dot2_f32_f16 v3, v7, v11, v3
	;;#ASMEND
	ds_load_b128 v[4:7], v33 offset:16
	ds_load_b128 v[8:11], v39 offset:4752
	s_waitcnt lgkmcnt(0)
	;;#ASMSTART
	v_dot2_f32_f16 v3, v4, v8, v3
	;;#ASMEND
	;;#ASMSTART
	v_dot2_f32_f16 v3, v5, v9, v3
	;;#ASMEND
	;;#ASMSTART
	v_dot2_f32_f16 v3, v6, v10, v3
	;;#ASMEND
	;;#ASMSTART
	v_dot2_f32_f16 v3, v7, v11, v3
	;;#ASMEND
	ds_load_b128 v[4:7], v33 offset:32
	;; [unrolled: 15-line block ×7, first 2 shown]
	ds_load_b128 v[8:11], v39 offset:4848
	s_waitcnt lgkmcnt(0)
	;;#ASMSTART
	v_dot2_f32_f16 v3, v4, v8, v3
	;;#ASMEND
	;;#ASMSTART
	v_dot2_f32_f16 v3, v5, v9, v3
	;;#ASMEND
	;; [unrolled: 3-line block ×4, first 2 shown]
	v_cmp_ngt_f32_e64 s2, 0x3f200000, |v3|
                                        ; implicit-def: $vgpr4
	s_delay_alu instid0(VALU_DEP_1) | instskip(NEXT) | instid1(SALU_CYCLE_1)
	s_and_saveexec_b32 s3, s2
	s_xor_b32 s2, exec_lo, s3
	s_cbranch_execz .LBB91_23
; %bb.22:
	v_add_f32_e64 v4, |v3|, |v3|
	s_delay_alu instid0(VALU_DEP_1) | instskip(SKIP_1) | instid1(VALU_DEP_2)
	v_mul_f32_e32 v5, 0x3fb8aa3b, v4
	v_cmp_ngt_f32_e32 vcc_lo, 0xc2ce8ed0, v4
	v_rndne_f32_e32 v6, v5
	v_fma_f32 v7, 0x3fb8aa3b, v4, -v5
	s_delay_alu instid0(VALU_DEP_2) | instskip(NEXT) | instid1(VALU_DEP_2)
	v_sub_f32_e32 v5, v5, v6
	v_fmamk_f32 v7, v4, 0x32a5705f, v7
	v_cvt_i32_f32_e32 v6, v6
	s_delay_alu instid0(VALU_DEP_2) | instskip(NEXT) | instid1(VALU_DEP_1)
	v_add_f32_e32 v5, v5, v7
	v_exp_f32_e32 v5, v5
	s_waitcnt_depctr 0xfff
	v_ldexp_f32 v5, v5, v6
	s_delay_alu instid0(VALU_DEP_1) | instskip(SKIP_1) | instid1(VALU_DEP_2)
	v_cndmask_b32_e32 v5, 0, v5, vcc_lo
	v_cmp_nlt_f32_e32 vcc_lo, 0x42b17218, v4
	v_cndmask_b32_e32 v4, 0x7f800000, v5, vcc_lo
	s_delay_alu instid0(VALU_DEP_1) | instskip(NEXT) | instid1(VALU_DEP_1)
	v_add_f32_e32 v4, 1.0, v4
	v_rcp_f32_e32 v4, v4
	s_waitcnt_depctr 0xfff
	v_fma_f32 v4, v4, -2.0, 1.0
.LBB91_23:
	s_and_not1_saveexec_b32 s2, s2
; %bb.24:
	v_mul_f32_e32 v4, v3, v3
	s_mov_b32 s3, 0xbbbac73d
	s_delay_alu instid0(VALU_DEP_1) | instid1(SALU_CYCLE_1)
	v_fmaak_f32 v5, s3, v4, 0x3ca908c9
	s_delay_alu instid0(VALU_DEP_1) | instskip(NEXT) | instid1(VALU_DEP_1)
	v_fmaak_f32 v5, v4, v5, 0xbd5c1c4e
	v_fmaak_f32 v5, v4, v5, 0x3e088382
	s_delay_alu instid0(VALU_DEP_1) | instskip(NEXT) | instid1(VALU_DEP_1)
	v_fmaak_f32 v5, v4, v5, 0xbeaaaa99
	v_mul_f32_e64 v5, |v3|, v5
	s_delay_alu instid0(VALU_DEP_1)
	v_fma_f32 v4, v4, v5, |v3|
; %bb.25:
	s_or_b32 exec_lo, exec_lo, s2
	s_delay_alu instid0(VALU_DEP_1) | instskip(SKIP_2) | instid1(VALU_DEP_2)
	v_bfi_b32 v3, 0x7fffffff, v4, v3
	v_mov_b32_e32 v5, v2
	s_mov_b32 s2, exec_lo
	v_mul_f32_e32 v9, s23, v3
	v_cmpx_gt_i32_e64 s18, v0
	s_cbranch_execz .LBB91_30
; %bb.26:
	s_cmp_eq_u64 s[40:41], 0
	s_cbranch_scc1 .LBB91_28
; %bb.27:
	v_mul_lo_u32 v3, v30, s16
	s_delay_alu instid0(VALU_DEP_1) | instskip(NEXT) | instid1(VALU_DEP_1)
	v_add3_u32 v3, v3, v0, s15
	v_ashrrev_i32_e32 v4, 31, v3
	s_delay_alu instid0(VALU_DEP_1) | instskip(NEXT) | instid1(VALU_DEP_1)
	v_lshlrev_b64 v[3:4], 1, v[3:4]
	v_add_co_u32 v3, vcc_lo, s40, v3
	s_delay_alu instid0(VALU_DEP_2) | instskip(SKIP_3) | instid1(VALU_DEP_1)
	v_add_co_ci_u32_e32 v4, vcc_lo, s41, v4, vcc_lo
	flat_load_u16 v3, v[3:4]
	s_waitcnt vmcnt(0) lgkmcnt(0)
	v_cvt_f32_f16_e32 v3, v3
	v_mul_f32_e32 v3, v29, v3
	s_branch .LBB91_29
.LBB91_28:
	v_mov_b32_e32 v3, 0
.LBB91_29:
	s_delay_alu instid0(VALU_DEP_1) | instskip(NEXT) | instid1(VALU_DEP_1)
	v_dual_add_f32 v9, v9, v3 :: v_dual_max_f32 v4, v2, v2
	v_add_f32_e32 v3, 0x40051340, v9
	s_delay_alu instid0(VALU_DEP_1)
	v_max_f32_e32 v5, v4, v3
.LBB91_30:
	s_or_b32 exec_lo, exec_lo, s2
	v_xor_b32_e32 v3, 16, v23
	s_mov_b32 s4, 0
	s_mul_hi_i32 s7, s15, s8
	s_mul_i32 s6, s15, s8
	s_mov_b32 s5, s4
	v_cmp_gt_i32_e32 vcc_lo, 32, v3
	s_lshl_b64 s[16:17], s[6:7], 2
	s_mov_b32 s6, s4
	v_lshl_add_u32 v30, v27, 1, v31
	s_mov_b64 s[2:3], src_private_base
	v_cndmask_b32_e32 v4, v23, v3, vcc_lo
	s_lshl_b32 s2, s8, 2
	s_add_u32 s7, s9, s16
	v_mul_lo_u32 v14, s8, v30
	s_addc_u32 s16, s13, s17
	v_lshlrev_b32_e32 v4, 2, v4
	v_lshlrev_b32_e32 v70, 2, v32
	v_add3_u32 v13, 0x1400, v22, v28
	s_barrier
	ds_bpermute_b32 v6, v4, v5
	v_xor_b32_e32 v4, 8, v23
	v_max_f32_e32 v5, v5, v5
	v_ashrrev_i32_e32 v15, 31, v14
	s_waitcnt lgkmcnt(0)
	buffer_gl0_inv
	v_add_nc_u32_e32 v72, 4, v30
	v_cmp_gt_i32_e32 vcc_lo, 32, v4
	v_lshl_or_b32 v73, v30, 8, v70
	v_lshlrev_b64 v[15:16], 2, v[14:15]
	v_add_nc_u32_e32 v74, 8, v30
	v_dual_cndmask_b32 v7, v23, v4 :: v_dual_add_nc_u32 v76, 12, v30
	v_mov_b32_e32 v71, 0
	v_dual_mov_b32 v65, s6 :: v_dual_mov_b32 v64, s5
	v_mov_b32_e32 v63, s4
	s_clause 0x1
	scratch_store_b32 off, v71, off
	scratch_store_b96 off, v[63:65], off offset:4
	v_dual_max_f32 v6, v6, v6 :: v_dual_lshlrev_b32 v7, 2, v7
	v_add_nc_u32_e32 v17, s2, v14
	s_delay_alu instid0(VALU_DEP_2) | instskip(SKIP_1) | instid1(VALU_DEP_3)
	v_dual_max_f32 v6, v5, v6 :: v_dual_add_nc_u32 v79, 0x800, v24
	v_xor_b32_e32 v5, 4, v23
	v_ashrrev_i32_e32 v18, 31, v17
	ds_bpermute_b32 v7, v7, v6
	v_cmp_gt_i32_e32 vcc_lo, 32, v5
	v_lshlrev_b64 v[18:19], 2, v[17:18]
	s_waitcnt lgkmcnt(0)
	v_max_f32_e32 v7, v7, v7
	s_delay_alu instid0(VALU_DEP_1) | instskip(NEXT) | instid1(VALU_DEP_1)
	v_dual_cndmask_b32 v8, v23, v5 :: v_dual_max_f32 v7, v6, v7
	v_lshlrev_b32_e32 v8, 2, v8
	v_xor_b32_e32 v6, 2, v23
	ds_bpermute_b32 v8, v8, v7
	v_cmp_gt_i32_e32 vcc_lo, 32, v6
	v_cndmask_b32_e32 v10, v23, v6, vcc_lo
	s_waitcnt lgkmcnt(0)
	v_max_f32_e32 v8, v8, v8
	s_delay_alu instid0(VALU_DEP_1) | instskip(SKIP_1) | instid1(VALU_DEP_1)
	v_max_f32_e32 v8, v7, v8
	v_xor_b32_e32 v7, 1, v23
	v_cmp_gt_i32_e32 vcc_lo, 32, v7
	v_cndmask_b32_e32 v11, v23, v7, vcc_lo
	s_delay_alu instid0(VALU_DEP_1) | instskip(SKIP_4) | instid1(VALU_DEP_1)
	v_lshlrev_b32_e32 v11, 2, v11
	v_lshlrev_b32_e32 v10, 2, v10
	ds_bpermute_b32 v10, v10, v8
	s_waitcnt lgkmcnt(0)
	v_max_f32_e32 v10, v10, v10
	v_max_f32_e32 v8, v8, v10
	ds_bpermute_b32 v10, v11, v8
	s_waitcnt lgkmcnt(0)
	v_max_f32_e32 v10, v10, v10
	s_delay_alu instid0(VALU_DEP_1) | instskip(NEXT) | instid1(VALU_DEP_1)
	v_max_f32_e32 v8, v8, v10
	v_sub_f32_e32 v9, v9, v8
	v_sub_f32_e32 v2, v2, v8
	s_delay_alu instid0(VALU_DEP_2) | instskip(SKIP_1) | instid1(VALU_DEP_2)
	v_mul_f32_e32 v10, 0x3fb8aa3b, v9
	v_cmp_ngt_f32_e32 vcc_lo, 0xc2ce8ed0, v9
	v_fma_f32 v11, 0x3fb8aa3b, v9, -v10
	v_rndne_f32_e32 v12, v10
	s_delay_alu instid0(VALU_DEP_1) | instskip(NEXT) | instid1(VALU_DEP_1)
	v_dual_fmac_f32 v11, 0x32a5705f, v9 :: v_dual_sub_f32 v10, v10, v12
	v_add_f32_e32 v10, v10, v11
	v_cvt_i32_f32_e32 v11, v12
	s_delay_alu instid0(VALU_DEP_2) | instskip(SKIP_2) | instid1(VALU_DEP_1)
	v_exp_f32_e32 v10, v10
	s_waitcnt_depctr 0xfff
	v_ldexp_f32 v10, v10, v11
	v_cndmask_b32_e32 v10, 0, v10, vcc_lo
	v_add_co_u32 v11, vcc_lo, s7, v15
	v_add_co_ci_u32_e32 v12, vcc_lo, s16, v16, vcc_lo
	v_cmp_nlt_f32_e32 vcc_lo, 0x42b17218, v9
	s_delay_alu instid0(VALU_DEP_4) | instskip(NEXT) | instid1(VALU_DEP_4)
	v_cndmask_b32_e32 v9, 0x7f800000, v10, vcc_lo
	v_add_co_u32 v10, vcc_lo, v11, v70
	s_delay_alu instid0(VALU_DEP_4) | instskip(SKIP_1) | instid1(VALU_DEP_4)
	v_add_co_ci_u32_e32 v11, vcc_lo, 0, v12, vcc_lo
	v_cmp_gt_u32_e32 vcc_lo, s18, v0
	v_cndmask_b32_e32 v9, 0, v9, vcc_lo
	v_cmp_gt_i32_e32 vcc_lo, s18, v30
	s_delay_alu instid0(VALU_DEP_2)
	v_cvt_f16_f32_e32 v12, v9
	v_cndmask_b32_e32 v11, s3, v11, vcc_lo
	v_cndmask_b32_e32 v10, 0, v10, vcc_lo
	v_add_co_u32 v14, vcc_lo, s7, v18
	ds_store_b16 v13, v12
	v_add_co_ci_u32_e32 v27, vcc_lo, s16, v19, vcc_lo
	flat_load_b128 v[10:13], v[10:11]
	v_add_co_u32 v14, vcc_lo, v14, v70
	v_add_co_ci_u32_e32 v27, vcc_lo, 0, v27, vcc_lo
	v_cmp_gt_i32_e32 vcc_lo, s18, v72
	s_clause 0x1
	scratch_store_b32 off, v71, off
	scratch_store_b96 off, v[63:65], off offset:4
	v_cndmask_b32_e32 v28, s3, v27, vcc_lo
	v_cndmask_b32_e32 v27, 0, v14, vcc_lo
	s_waitcnt vmcnt(0) lgkmcnt(0)
	ds_store_b128 v73, v[10:13]
	flat_load_b128 v[10:13], v[27:28]
	v_add_nc_u32_e32 v27, s2, v17
	s_delay_alu instid0(VALU_DEP_1) | instskip(NEXT) | instid1(VALU_DEP_1)
	v_ashrrev_i32_e32 v28, 31, v27
	v_lshlrev_b64 v[66:67], 2, v[27:28]
	v_add_nc_u32_e32 v27, s2, v27
	s_clause 0x1
	scratch_store_b32 off, v71, off
	scratch_store_b96 off, v[63:65], off offset:4
	s_or_b32 s2, s15, 16
	s_delay_alu instid0(SALU_CYCLE_1) | instskip(SKIP_3) | instid1(VALU_DEP_2)
	s_mul_hi_i32 s5, s2, s8
	v_add_co_u32 v14, vcc_lo, s7, v66
	v_add_co_ci_u32_e32 v17, vcc_lo, s16, v67, vcc_lo
	s_mul_i32 s4, s2, s8
	v_add_co_u32 v14, vcc_lo, v14, v70
	s_delay_alu instid0(VALU_DEP_2) | instskip(SKIP_2) | instid1(SALU_CYCLE_1)
	v_add_co_ci_u32_e32 v17, vcc_lo, 0, v17, vcc_lo
	v_cmp_gt_i32_e32 vcc_lo, s18, v74
	s_lshl_b64 s[4:5], s[4:5], 2
	s_add_u32 s2, s9, s4
	s_addc_u32 s4, s13, s5
	v_cndmask_b32_e32 v29, s3, v17, vcc_lo
	v_lshl_or_b32 v75, v72, 8, v70
	v_cndmask_b32_e32 v28, 0, v14, vcc_lo
	v_lshl_or_b32 v77, v74, 8, v70
	v_lshl_or_b32 v78, v76, 8, v70
	s_waitcnt vmcnt(0) lgkmcnt(0)
	ds_store_b128 v75, v[10:13]
	flat_load_b128 v[10:13], v[28:29]
	v_ashrrev_i32_e32 v28, 31, v27
	s_clause 0x1
	scratch_store_b32 off, v71, off
	scratch_store_b96 off, v[63:65], off offset:4
	v_lshlrev_b64 v[68:69], 2, v[27:28]
	s_delay_alu instid0(VALU_DEP_1) | instskip(NEXT) | instid1(VALU_DEP_2)
	v_add_co_u32 v14, vcc_lo, s7, v68
	v_add_co_ci_u32_e32 v17, vcc_lo, s16, v69, vcc_lo
	s_delay_alu instid0(VALU_DEP_2) | instskip(NEXT) | instid1(VALU_DEP_2)
	v_add_co_u32 v14, vcc_lo, v14, v70
	v_add_co_ci_u32_e32 v17, vcc_lo, 0, v17, vcc_lo
	v_cmp_gt_i32_e32 vcc_lo, s18, v76
	s_add_i32 s18, s18, -16
	s_delay_alu instid0(VALU_DEP_2) | instskip(SKIP_3) | instid1(VALU_DEP_2)
	v_cndmask_b32_e32 v28, s3, v17, vcc_lo
	v_cndmask_b32_e32 v27, 0, v14, vcc_lo
	v_add_co_u32 v14, vcc_lo, s2, v15
	v_add_co_ci_u32_e32 v15, vcc_lo, s4, v16, vcc_lo
	v_add_co_u32 v14, vcc_lo, v14, v70
	s_delay_alu instid0(VALU_DEP_2) | instskip(SKIP_1) | instid1(VALU_DEP_2)
	v_add_co_ci_u32_e32 v15, vcc_lo, 0, v15, vcc_lo
	v_cmp_gt_i32_e32 vcc_lo, s18, v30
	v_cndmask_b32_e32 v60, s3, v15, vcc_lo
	s_delay_alu instid0(VALU_DEP_4) | instskip(SKIP_2) | instid1(VALU_DEP_2)
	v_cndmask_b32_e32 v59, 0, v14, vcc_lo
	v_add_co_u32 v18, vcc_lo, s2, v18
	v_add_co_ci_u32_e32 v19, vcc_lo, s4, v19, vcc_lo
	v_add_co_u32 v18, vcc_lo, v18, v70
	s_delay_alu instid0(VALU_DEP_2) | instskip(SKIP_1) | instid1(VALU_DEP_2)
	v_add_co_ci_u32_e32 v19, vcc_lo, 0, v19, vcc_lo
	v_cmp_gt_i32_e32 vcc_lo, s18, v72
	v_cndmask_b32_e32 v19, s3, v19, vcc_lo
	s_delay_alu instid0(VALU_DEP_4)
	v_cndmask_b32_e32 v18, 0, v18, vcc_lo
	s_waitcnt vmcnt(0) lgkmcnt(0)
	ds_store_b128 v77, v[10:13]
	flat_load_b128 v[10:13], v[27:28]
	s_waitcnt vmcnt(0) lgkmcnt(0)
	ds_store_b128 v78, v[10:13]
	s_waitcnt lgkmcnt(0)
	s_waitcnt_vscnt null, 0x0
	s_barrier
	buffer_gl0_inv
	ds_load_2addr_b64 v[10:13], v24 offset1:32
	ds_load_b128 v[14:17], v22 offset:5120
	ds_load_b128 v[27:30], v22 offset:5136
	ds_load_2addr_b64 v[31:34], v24 offset0:64 offset1:96
	ds_load_2addr_b64 v[35:38], v24 offset0:128 offset1:160
	;; [unrolled: 1-line block ×3, first 2 shown]
	ds_load_2addr_b64 v[43:46], v79 offset1:32
	ds_load_2addr_b64 v[47:50], v79 offset0:64 offset1:96
	ds_load_2addr_b64 v[51:54], v79 offset0:128 offset1:160
	;; [unrolled: 1-line block ×3, first 2 shown]
	s_waitcnt lgkmcnt(0)
	s_barrier
	buffer_gl0_inv
	s_clause 0x1
	scratch_store_b32 off, v71, off
	scratch_store_b96 off, v[63:65], off offset:4
	flat_load_b128 v[59:62], v[59:60]
	s_clause 0x1
	scratch_store_b32 off, v71, off
	scratch_store_b96 off, v[63:65], off offset:4
	v_pk_mul_f16 v10, v10, v14 op_sel_hi:[1,0]
	v_pk_mul_f16 v11, v11, v14 op_sel_hi:[1,0]
	s_waitcnt vmcnt(0) lgkmcnt(0)
	ds_store_b128 v73, v[59:62]
	flat_load_b128 v[59:62], v[18:19]
	v_add_co_u32 v18, vcc_lo, s2, v66
	v_add_co_ci_u32_e32 v19, vcc_lo, s4, v67, vcc_lo
	s_clause 0x1
	scratch_store_b32 off, v71, off
	scratch_store_b96 off, v[63:65], off offset:4
	v_add_co_u32 v18, vcc_lo, v18, v70
	v_add_co_ci_u32_e32 v19, vcc_lo, 0, v19, vcc_lo
	v_cmp_gt_i32_e32 vcc_lo, s18, v74
	s_delay_alu instid0(VALU_DEP_2) | instskip(NEXT) | instid1(VALU_DEP_4)
	v_cndmask_b32_e32 v19, s3, v19, vcc_lo
	v_cndmask_b32_e32 v18, 0, v18, vcc_lo
	s_waitcnt vmcnt(0) lgkmcnt(0)
	ds_store_b128 v75, v[59:62]
	flat_load_b128 v[59:62], v[18:19]
	v_add_co_u32 v18, vcc_lo, s2, v68
	v_add_co_ci_u32_e32 v19, vcc_lo, s4, v69, vcc_lo
	s_clause 0x1
	scratch_store_b32 off, v71, off
	scratch_store_b96 off, v[63:65], off offset:4
	v_add_co_u32 v18, vcc_lo, v18, v70
	v_add_co_ci_u32_e32 v19, vcc_lo, 0, v19, vcc_lo
	v_cmp_gt_i32_e32 vcc_lo, s18, v76
	s_delay_alu instid0(VALU_DEP_2) | instskip(NEXT) | instid1(VALU_DEP_4)
	v_cndmask_b32_e32 v19, s3, v19, vcc_lo
	v_cndmask_b32_e32 v18, 0, v18, vcc_lo
	v_cmp_ngt_f32_e32 vcc_lo, 0xc2ce8ed0, v2
	s_waitcnt vmcnt(0) lgkmcnt(0)
	ds_store_b128 v77, v[59:62]
	flat_load_b128 v[59:62], v[18:19]
	v_mul_f32_e32 v18, 0x3fb8aa3b, v2
	s_delay_alu instid0(VALU_DEP_1) | instskip(SKIP_1) | instid1(VALU_DEP_1)
	v_fma_f32 v19, 0x3fb8aa3b, v2, -v18
	v_rndne_f32_e32 v63, v18
	v_dual_fmac_f32 v19, 0x32a5705f, v2 :: v_dual_sub_f32 v18, v18, v63
	s_delay_alu instid0(VALU_DEP_1) | instskip(SKIP_1) | instid1(VALU_DEP_2)
	v_add_f32_e32 v18, v18, v19
	v_cvt_i32_f32_e32 v19, v63
	v_exp_f32_e32 v18, v18
	s_waitcnt_depctr 0xfff
	v_ldexp_f32 v18, v18, v19
	s_delay_alu instid0(VALU_DEP_1) | instskip(SKIP_1) | instid1(VALU_DEP_2)
	v_cndmask_b32_e32 v18, 0, v18, vcc_lo
	v_cmp_nlt_f32_e32 vcc_lo, 0x42b17218, v2
	v_cndmask_b32_e32 v18, 0x7f800000, v18, vcc_lo
	s_delay_alu instid0(VALU_DEP_1) | instskip(SKIP_1) | instid1(VALU_DEP_2)
	v_cvt_f16_f32_e32 v2, v18
	v_fma_f32 v21, v21, v18, v9
	v_pk_fma_f16 v10, v25, v2, v10 op_sel_hi:[1,0,1]
	v_pk_fma_f16 v2, v26, v2, v11 op_sel_hi:[1,0,1]
	s_delay_alu instid0(VALU_DEP_2) | instskip(NEXT) | instid1(VALU_DEP_2)
	v_pk_fma_f16 v10, v12, v14, v10 op_sel:[0,1,0]
	v_pk_fma_f16 v2, v13, v14, v2 op_sel:[0,1,0]
	s_delay_alu instid0(VALU_DEP_2) | instskip(NEXT) | instid1(VALU_DEP_2)
	v_pk_fma_f16 v10, v31, v15, v10 op_sel_hi:[1,0,1]
	v_pk_fma_f16 v2, v32, v15, v2 op_sel_hi:[1,0,1]
	s_delay_alu instid0(VALU_DEP_2) | instskip(NEXT) | instid1(VALU_DEP_2)
	v_pk_fma_f16 v10, v33, v15, v10 op_sel:[0,1,0]
	v_pk_fma_f16 v2, v34, v15, v2 op_sel:[0,1,0]
	s_delay_alu instid0(VALU_DEP_2) | instskip(NEXT) | instid1(VALU_DEP_2)
	;; [unrolled: 6-line block ×7, first 2 shown]
	v_pk_fma_f16 v19, v55, v30, v19 op_sel_hi:[1,0,1]
	v_pk_fma_f16 v2, v56, v30, v2 op_sel_hi:[1,0,1]
	s_delay_alu instid0(VALU_DEP_2) | instskip(NEXT) | instid1(VALU_DEP_2)
	v_pk_fma_f16 v19, v57, v30, v19 op_sel:[0,1,0]
	v_pk_fma_f16 v2, v58, v30, v2 op_sel:[0,1,0]
	s_waitcnt vmcnt(0) lgkmcnt(0)
	ds_store_b128 v78, v[59:62]
	s_waitcnt lgkmcnt(0)
	s_waitcnt_vscnt null, 0x0
	s_barrier
	buffer_gl0_inv
	ds_load_2addr_b64 v[10:13], v24 offset1:32
	ds_load_b128 v[14:17], v22 offset:5152
	ds_load_2addr_b64 v[25:28], v24 offset0:64 offset1:96
	ds_load_b128 v[29:32], v22 offset:5168
	ds_load_2addr_b64 v[33:36], v24 offset0:128 offset1:160
	s_waitcnt lgkmcnt(3)
	v_pk_fma_f16 v10, v10, v14, v19 op_sel_hi:[1,0,1]
	v_pk_fma_f16 v2, v11, v14, v2 op_sel_hi:[1,0,1]
	s_delay_alu instid0(VALU_DEP_2) | instskip(NEXT) | instid1(VALU_DEP_2)
	v_pk_fma_f16 v19, v12, v14, v10 op_sel:[0,1,0]
	v_pk_fma_f16 v2, v13, v14, v2 op_sel:[0,1,0]
	ds_load_2addr_b64 v[10:13], v24 offset0:192 offset1:224
	s_waitcnt lgkmcnt(3)
	v_pk_fma_f16 v14, v25, v15, v19 op_sel_hi:[1,0,1]
	v_pk_fma_f16 v2, v26, v15, v2 op_sel_hi:[1,0,1]
	s_delay_alu instid0(VALU_DEP_2) | instskip(NEXT) | instid1(VALU_DEP_2)
	v_pk_fma_f16 v14, v27, v15, v14 op_sel:[0,1,0]
	v_pk_fma_f16 v2, v28, v15, v2 op_sel:[0,1,0]
	ds_load_2addr_b64 v[24:27], v79 offset1:32
	s_waitcnt lgkmcnt(2)
	v_pk_fma_f16 v14, v33, v16, v14 op_sel_hi:[1,0,1]
	v_pk_fma_f16 v2, v34, v16, v2 op_sel_hi:[1,0,1]
	s_delay_alu instid0(VALU_DEP_2) | instskip(NEXT) | instid1(VALU_DEP_2)
	v_pk_fma_f16 v14, v35, v16, v14 op_sel:[0,1,0]
	v_pk_fma_f16 v2, v36, v16, v2 op_sel:[0,1,0]
	ds_load_2addr_b64 v[33:36], v79 offset0:64 offset1:96
	s_waitcnt lgkmcnt(2)
	v_pk_fma_f16 v10, v10, v17, v14 op_sel_hi:[1,0,1]
	v_pk_fma_f16 v2, v11, v17, v2 op_sel_hi:[1,0,1]
	s_delay_alu instid0(VALU_DEP_2) | instskip(NEXT) | instid1(VALU_DEP_2)
	v_pk_fma_f16 v14, v12, v17, v10 op_sel:[0,1,0]
	v_pk_fma_f16 v2, v13, v17, v2 op_sel:[0,1,0]
	ds_load_2addr_b64 v[10:13], v79 offset0:128 offset1:160
	;; [unrolled: 7-line block ×3, first 2 shown]
	s_waitcnt lgkmcnt(0)
	s_barrier
	v_pk_fma_f16 v19, v33, v30, v19 op_sel_hi:[1,0,1]
	v_pk_fma_f16 v2, v34, v30, v2 op_sel_hi:[1,0,1]
	buffer_gl0_inv
	v_pk_fma_f16 v19, v35, v30, v19 op_sel:[0,1,0]
	v_pk_fma_f16 v2, v36, v30, v2 op_sel:[0,1,0]
	s_delay_alu instid0(VALU_DEP_2) | instskip(NEXT) | instid1(VALU_DEP_2)
	v_pk_fma_f16 v10, v10, v31, v19 op_sel_hi:[1,0,1]
	v_pk_fma_f16 v2, v11, v31, v2 op_sel_hi:[1,0,1]
	s_delay_alu instid0(VALU_DEP_2) | instskip(NEXT) | instid1(VALU_DEP_2)
	v_pk_fma_f16 v10, v12, v31, v10 op_sel:[0,1,0]
	v_pk_fma_f16 v2, v13, v31, v2 op_sel:[0,1,0]
	s_delay_alu instid0(VALU_DEP_2) | instskip(SKIP_1) | instid1(VALU_DEP_3)
	v_pk_fma_f16 v11, v14, v32, v10 op_sel_hi:[1,0,1]
	v_mov_b32_e32 v10, 32
	v_pk_fma_f16 v12, v15, v32, v2 op_sel_hi:[1,0,1]
	v_mov_b32_e32 v2, v8
	v_mov_b32_e32 v8, v23
	v_pk_fma_f16 v25, v16, v32, v11 op_sel:[0,1,0]
	s_delay_alu instid0(VALU_DEP_4)
	v_pk_fma_f16 v26, v17, v32, v12 op_sel:[0,1,0]
.LBB91_31:
	v_cmp_lt_i32_e32 vcc_lo, v3, v10
	s_cmp_eq_u64 s[24:25], 0
	s_cselect_b32 s2, -1, 0
	s_cmp_lg_u32 s14, 0
	v_cndmask_b32_e32 v3, v8, v3, vcc_lo
	v_cmp_lt_i32_e32 vcc_lo, v4, v10
	s_cselect_b32 s3, -1, 0
	s_delay_alu instid0(SALU_CYCLE_1) | instskip(SKIP_2) | instid1(VALU_DEP_2)
	s_or_b32 s2, s3, s2
	v_cndmask_b32_e32 v4, v8, v4, vcc_lo
	v_cmp_lt_i32_e32 vcc_lo, v5, v10
	v_lshlrev_b32_e32 v4, 2, v4
	v_lshlrev_b32_e32 v3, 2, v3
	v_cndmask_b32_e32 v5, v8, v5, vcc_lo
	v_cmp_lt_i32_e32 vcc_lo, v6, v10
	ds_bpermute_b32 v3, v3, v21
	v_lshlrev_b32_e32 v5, 2, v5
	s_waitcnt lgkmcnt(0)
	v_add_f32_e32 v3, v21, v3
	ds_bpermute_b32 v4, v4, v3
	s_waitcnt lgkmcnt(0)
	v_add_f32_e32 v3, v3, v4
	ds_bpermute_b32 v4, v5, v3
	v_cndmask_b32_e32 v5, v8, v6, vcc_lo
	v_cmp_lt_i32_e32 vcc_lo, v7, v10
	s_delay_alu instid0(VALU_DEP_2)
	v_lshlrev_b32_e32 v5, 2, v5
	s_waitcnt lgkmcnt(0)
	v_add_f32_e32 v3, v3, v4
	ds_bpermute_b32 v4, v5, v3
	v_cndmask_b32_e32 v5, v8, v7, vcc_lo
	s_and_b32 vcc_lo, exec_lo, s2
	s_delay_alu instid0(VALU_DEP_1)
	v_lshlrev_b32_e32 v5, 2, v5
	s_waitcnt lgkmcnt(0)
	v_add_f32_e32 v3, v3, v4
	ds_bpermute_b32 v4, v5, v3
	s_waitcnt lgkmcnt(0)
	v_add_f32_e32 v3, v3, v4
	s_cbranch_vccnz .LBB91_33
; %bb.32:
	s_lshl_b64 s[2:3], s[34:35], 2
	v_dual_mov_b32 v4, 0 :: v_dual_max_f32 v5, v2, v2
	s_add_u32 s2, s24, s2
	s_addc_u32 s3, s25, s3
	global_load_b32 v4, v4, s[2:3]
	s_waitcnt vmcnt(0)
	v_max_f32_e32 v6, v4, v4
	s_delay_alu instid0(VALU_DEP_1) | instskip(NEXT) | instid1(VALU_DEP_1)
	v_max_f32_e32 v5, v5, v6
	v_sub_f32_e32 v2, v2, v5
	s_delay_alu instid0(VALU_DEP_1) | instskip(NEXT) | instid1(VALU_DEP_1)
	v_mul_f32_e32 v6, 0x3fb8aa3b, v2
	v_rndne_f32_e32 v9, v6
	v_fma_f32 v8, 0x3fb8aa3b, v2, -v6
	s_delay_alu instid0(VALU_DEP_2) | instskip(SKIP_1) | instid1(VALU_DEP_1)
	v_sub_f32_e32 v6, v6, v9
	v_sub_f32_e32 v4, v4, v5
	v_mul_f32_e32 v7, 0x3fb8aa3b, v4
	s_delay_alu instid0(VALU_DEP_4) | instskip(SKIP_1) | instid1(VALU_DEP_3)
	v_fmac_f32_e32 v8, 0x32a5705f, v2
	v_cmp_ngt_f32_e32 vcc_lo, 0xc2ce8ed0, v2
	v_fma_f32 v10, 0x3fb8aa3b, v4, -v7
	v_rndne_f32_e32 v11, v7
	s_delay_alu instid0(VALU_DEP_4) | instskip(SKIP_1) | instid1(VALU_DEP_3)
	v_add_f32_e32 v6, v6, v8
	v_cvt_i32_f32_e32 v8, v9
	v_dual_fmac_f32 v10, 0x32a5705f, v4 :: v_dual_sub_f32 v7, v7, v11
	s_delay_alu instid0(VALU_DEP_3) | instskip(SKIP_1) | instid1(VALU_DEP_2)
	v_exp_f32_e32 v6, v6
	v_cvt_i32_f32_e32 v9, v11
	v_add_f32_e32 v7, v7, v10
	s_delay_alu instid0(VALU_DEP_1) | instskip(SKIP_2) | instid1(VALU_DEP_1)
	v_exp_f32_e32 v7, v7
	s_waitcnt_depctr 0xfff
	v_ldexp_f32 v6, v6, v8
	v_cndmask_b32_e32 v6, 0, v6, vcc_lo
	v_cmp_ngt_f32_e32 vcc_lo, 0xc2ce8ed0, v4
	v_ldexp_f32 v7, v7, v9
	s_delay_alu instid0(VALU_DEP_1) | instskip(SKIP_3) | instid1(VALU_DEP_2)
	v_cndmask_b32_e32 v7, 0, v7, vcc_lo
	v_cmp_nlt_f32_e32 vcc_lo, 0x42b17218, v2
	v_cndmask_b32_e32 v2, 0x7f800000, v6, vcc_lo
	v_cmp_nlt_f32_e32 vcc_lo, 0x42b17218, v4
	v_cvt_f16_f32_e32 v6, v2
	v_cndmask_b32_e32 v4, 0x7f800000, v7, vcc_lo
	s_delay_alu instid0(VALU_DEP_2) | instskip(NEXT) | instid1(VALU_DEP_2)
	v_pk_mul_f16 v25, v6, v25 op_sel_hi:[0,1]
	v_fmac_f32_e32 v4, v3, v2
	v_pk_mul_f16 v26, v6, v26 op_sel_hi:[0,1]
	s_delay_alu instid0(VALU_DEP_2)
	v_dual_mov_b32 v2, v5 :: v_dual_mov_b32 v3, v4
.LBB91_33:
	s_mov_b32 s2, exec_lo
	v_cmpx_gt_i32_e64 s10, v1
	s_cbranch_execz .LBB91_36
; %bb.34:
	s_delay_alu instid0(VALU_DEP_2) | instskip(SKIP_2) | instid1(VALU_DEP_2)
	v_div_scale_f32 v8, null, v3, v3, 1.0
	s_load_b32 s0, s[0:1], 0xd4
	v_div_scale_f32 v10, vcc_lo, 1.0, v3, 1.0
	v_rcp_f32_e32 v9, v8
	s_waitcnt_depctr 0xfff
	v_fma_f32 v4, -v8, v9, 1.0
	s_delay_alu instid0(VALU_DEP_1) | instskip(SKIP_4) | instid1(VALU_DEP_1)
	v_fmac_f32_e32 v9, v4, v9
	v_mad_u64_u32 v[4:5], null, s12, s10, v[1:2]
	s_waitcnt lgkmcnt(0)
	s_cmp_lg_u32 s0, 1
	s_cselect_b32 s1, -1, 0
	v_mad_u64_u32 v[6:7], null, v4, s11, s[34:35]
	v_cvt_f32_f16_e32 v7, v25
	s_delay_alu instid0(VALU_DEP_2) | instskip(SKIP_1) | instid1(VALU_DEP_1)
	v_mad_u64_u32 v[4:5], null, s0, v6, s[14:15]
	v_dual_mov_b32 v6, 0 :: v_dual_mul_f32 v11, v10, v9
	v_fma_f32 v1, -v8, v11, v10
	s_delay_alu instid0(VALU_DEP_3) | instskip(NEXT) | instid1(VALU_DEP_2)
	v_lshl_add_u32 v5, v4, 7, v20
	v_fmac_f32_e32 v11, v1, v9
	s_delay_alu instid0(VALU_DEP_1) | instskip(SKIP_2) | instid1(VALU_DEP_3)
	v_fma_f32 v1, -v8, v11, v10
	v_lshrrev_b32_e32 v8, 16, v25
	v_lshrrev_b32_e32 v10, 16, v26
	v_div_fmas_f32 v1, v1, v9, v11
	v_cmp_eq_u32_e32 vcc_lo, 0, v0
	v_cvt_f32_f16_e32 v9, v26
	v_cvt_f32_f16_e32 v8, v8
	;; [unrolled: 1-line block ×3, first 2 shown]
	v_div_fixup_f32 v1, v1, v3, 1.0
	s_delay_alu instid0(VALU_DEP_1) | instskip(SKIP_1) | instid1(VALU_DEP_2)
	v_cndmask_b32_e64 v11, v1, 1.0, s1
	v_lshlrev_b64 v[0:1], 2, v[5:6]
	v_mul_f32_e32 v5, v11, v7
	v_mul_f32_e32 v6, v11, v8
	s_delay_alu instid0(VALU_DEP_3)
	v_add_co_u32 v0, s0, s28, v0
	v_mul_f32_e32 v7, v11, v9
	v_mul_f32_e32 v8, v11, v10
	v_add_co_ci_u32_e64 v1, s0, s29, v1, s0
	s_and_b32 s0, vcc_lo, s1
	global_store_b128 v[0:1], v[5:8], off
	s_and_b32 exec_lo, exec_lo, s0
	s_cbranch_execz .LBB91_36
; %bb.35:
	v_ashrrev_i32_e32 v5, 31, v4
	s_delay_alu instid0(VALU_DEP_1) | instskip(NEXT) | instid1(VALU_DEP_1)
	v_lshlrev_b64 v[0:1], 3, v[4:5]
	v_add_co_u32 v0, vcc_lo, s30, v0
	s_delay_alu instid0(VALU_DEP_2)
	v_add_co_ci_u32_e32 v1, vcc_lo, s31, v1, vcc_lo
	global_store_b64 v[0:1], v[2:3], off
.LBB91_36:
	s_nop 0
	s_sendmsg sendmsg(MSG_DEALLOC_VGPRS)
	s_endpgm
	.section	.rodata,"a",@progbits
	.p2align	6, 0x0
	.amdhsa_kernel _ZL15flash_attn_tileILi128ELi128ELi2ELi1ELb1EEvPKcS1_S1_S1_S1_PKiPfP15HIP_vector_typeIfLj2EEffffjfiS5_IjLj3EEiiiiiiiiiiiliiliiiiil
		.amdhsa_group_segment_fixed_size 5248
		.amdhsa_private_segment_fixed_size 32
		.amdhsa_kernarg_size 464
		.amdhsa_user_sgpr_count 13
		.amdhsa_user_sgpr_dispatch_ptr 0
		.amdhsa_user_sgpr_queue_ptr 0
		.amdhsa_user_sgpr_kernarg_segment_ptr 1
		.amdhsa_user_sgpr_dispatch_id 0
		.amdhsa_user_sgpr_private_segment_size 0
		.amdhsa_wavefront_size32 1
		.amdhsa_uses_dynamic_stack 0
		.amdhsa_enable_private_segment 1
		.amdhsa_system_sgpr_workgroup_id_x 1
		.amdhsa_system_sgpr_workgroup_id_y 1
		.amdhsa_system_sgpr_workgroup_id_z 1
		.amdhsa_system_sgpr_workgroup_info 0
		.amdhsa_system_vgpr_workitem_id 1
		.amdhsa_next_free_vgpr 112
		.amdhsa_next_free_sgpr 52
		.amdhsa_reserve_vcc 1
		.amdhsa_float_round_mode_32 0
		.amdhsa_float_round_mode_16_64 0
		.amdhsa_float_denorm_mode_32 3
		.amdhsa_float_denorm_mode_16_64 3
		.amdhsa_dx10_clamp 1
		.amdhsa_ieee_mode 1
		.amdhsa_fp16_overflow 0
		.amdhsa_workgroup_processor_mode 1
		.amdhsa_memory_ordered 1
		.amdhsa_forward_progress 0
		.amdhsa_shared_vgpr_count 0
		.amdhsa_exception_fp_ieee_invalid_op 0
		.amdhsa_exception_fp_denorm_src 0
		.amdhsa_exception_fp_ieee_div_zero 0
		.amdhsa_exception_fp_ieee_overflow 0
		.amdhsa_exception_fp_ieee_underflow 0
		.amdhsa_exception_fp_ieee_inexact 0
		.amdhsa_exception_int_div_zero 0
	.end_amdhsa_kernel
	.section	.text._ZL15flash_attn_tileILi128ELi128ELi2ELi1ELb1EEvPKcS1_S1_S1_S1_PKiPfP15HIP_vector_typeIfLj2EEffffjfiS5_IjLj3EEiiiiiiiiiiiliiliiiiil,"axG",@progbits,_ZL15flash_attn_tileILi128ELi128ELi2ELi1ELb1EEvPKcS1_S1_S1_S1_PKiPfP15HIP_vector_typeIfLj2EEffffjfiS5_IjLj3EEiiiiiiiiiiiliiliiiiil,comdat
.Lfunc_end91:
	.size	_ZL15flash_attn_tileILi128ELi128ELi2ELi1ELb1EEvPKcS1_S1_S1_S1_PKiPfP15HIP_vector_typeIfLj2EEffffjfiS5_IjLj3EEiiiiiiiiiiiliiliiiiil, .Lfunc_end91-_ZL15flash_attn_tileILi128ELi128ELi2ELi1ELb1EEvPKcS1_S1_S1_S1_PKiPfP15HIP_vector_typeIfLj2EEffffjfiS5_IjLj3EEiiiiiiiiiiiliiliiiiil
                                        ; -- End function
	.section	.AMDGPU.csdata,"",@progbits
; Kernel info:
; codeLenInByte = 12872
; NumSgprs: 54
; NumVgprs: 112
; ScratchSize: 32
; MemoryBound: 0
; FloatMode: 240
; IeeeMode: 1
; LDSByteSize: 5248 bytes/workgroup (compile time only)
; SGPRBlocks: 6
; VGPRBlocks: 13
; NumSGPRsForWavesPerEU: 54
; NumVGPRsForWavesPerEU: 112
; Occupancy: 12
; WaveLimiterHint : 1
; COMPUTE_PGM_RSRC2:SCRATCH_EN: 1
; COMPUTE_PGM_RSRC2:USER_SGPR: 13
; COMPUTE_PGM_RSRC2:TRAP_HANDLER: 0
; COMPUTE_PGM_RSRC2:TGID_X_EN: 1
; COMPUTE_PGM_RSRC2:TGID_Y_EN: 1
; COMPUTE_PGM_RSRC2:TGID_Z_EN: 1
; COMPUTE_PGM_RSRC2:TIDIG_COMP_CNT: 1
	.text
	.p2alignl 7, 3214868480
	.fill 96, 4, 3214868480
	.type	__hip_cuid_171cba071a55345d,@object ; @__hip_cuid_171cba071a55345d
	.section	.bss,"aw",@nobits
	.globl	__hip_cuid_171cba071a55345d
__hip_cuid_171cba071a55345d:
	.byte	0                               ; 0x0
	.size	__hip_cuid_171cba071a55345d, 1

	.ident	"AMD clang version 19.0.0git (https://github.com/RadeonOpenCompute/llvm-project roc-6.4.0 25133 c7fe45cf4b819c5991fe208aaa96edf142730f1d)"
	.section	".note.GNU-stack","",@progbits
	.addrsig
	.addrsig_sym __hip_cuid_171cba071a55345d
	.amdgpu_metadata
---
amdhsa.kernels:
  - .args:
      - .address_space:  global
        .offset:         0
        .size:           8
        .value_kind:     global_buffer
      - .address_space:  global
        .offset:         8
        .size:           8
        .value_kind:     global_buffer
      - .address_space:  global
        .offset:         16
        .size:           8
        .value_kind:     global_buffer
      - .address_space:  global
        .offset:         24
        .size:           8
        .value_kind:     global_buffer
      - .address_space:  global
        .offset:         32
        .size:           8
        .value_kind:     global_buffer
      - .address_space:  global
        .offset:         40
        .size:           8
        .value_kind:     global_buffer
      - .address_space:  global
        .offset:         48
        .size:           8
        .value_kind:     global_buffer
      - .address_space:  global
        .offset:         56
        .size:           8
        .value_kind:     global_buffer
      - .offset:         64
        .size:           4
        .value_kind:     by_value
      - .offset:         68
        .size:           4
        .value_kind:     by_value
      - .offset:         72
        .size:           4
        .value_kind:     by_value
      - .offset:         76
        .size:           4
        .value_kind:     by_value
      - .offset:         80
        .size:           4
        .value_kind:     by_value
      - .offset:         84
        .size:           4
        .value_kind:     by_value
      - .offset:         88
        .size:           4
        .value_kind:     by_value
      - .offset:         92
        .size:           12
        .value_kind:     by_value
      - .offset:         104
        .size:           4
        .value_kind:     by_value
      - .offset:         108
        .size:           4
        .value_kind:     by_value
      - .offset:         112
        .size:           4
        .value_kind:     by_value
      - .offset:         116
        .size:           4
        .value_kind:     by_value
      - .offset:         120
        .size:           4
        .value_kind:     by_value
      - .offset:         124
        .size:           4
        .value_kind:     by_value
      - .offset:         128
        .size:           4
        .value_kind:     by_value
      - .offset:         132
        .size:           4
        .value_kind:     by_value
      - .offset:         136
        .size:           4
        .value_kind:     by_value
      - .offset:         140
        .size:           4
        .value_kind:     by_value
      - .offset:         144
        .size:           4
        .value_kind:     by_value
      - .offset:         152
        .size:           8
        .value_kind:     by_value
      - .offset:         160
        .size:           4
        .value_kind:     by_value
      - .offset:         164
        .size:           4
        .value_kind:     by_value
      - .offset:         168
        .size:           8
        .value_kind:     by_value
      - .offset:         176
        .size:           4
        .value_kind:     by_value
      - .offset:         180
        .size:           4
        .value_kind:     by_value
      - .offset:         184
        .size:           4
        .value_kind:     by_value
      - .offset:         188
        .size:           4
        .value_kind:     by_value
      - .offset:         192
        .size:           4
        .value_kind:     by_value
      - .offset:         200
        .size:           8
        .value_kind:     by_value
      - .offset:         208
        .size:           4
        .value_kind:     hidden_block_count_x
      - .offset:         212
        .size:           4
        .value_kind:     hidden_block_count_y
      - .offset:         216
        .size:           4
        .value_kind:     hidden_block_count_z
      - .offset:         220
        .size:           2
        .value_kind:     hidden_group_size_x
      - .offset:         222
        .size:           2
        .value_kind:     hidden_group_size_y
      - .offset:         224
        .size:           2
        .value_kind:     hidden_group_size_z
      - .offset:         226
        .size:           2
        .value_kind:     hidden_remainder_x
      - .offset:         228
        .size:           2
        .value_kind:     hidden_remainder_y
      - .offset:         230
        .size:           2
        .value_kind:     hidden_remainder_z
      - .offset:         248
        .size:           8
        .value_kind:     hidden_global_offset_x
      - .offset:         256
        .size:           8
        .value_kind:     hidden_global_offset_y
      - .offset:         264
        .size:           8
        .value_kind:     hidden_global_offset_z
      - .offset:         272
        .size:           2
        .value_kind:     hidden_grid_dims
    .group_segment_fixed_size: 33792
    .kernarg_segment_align: 8
    .kernarg_segment_size: 464
    .language:       OpenCL C
    .language_version:
      - 2
      - 0
    .max_flat_workgroup_size: 256
    .name:           _ZL15flash_attn_tileILi128ELi128ELi8ELi8ELb0EEvPKcS1_S1_S1_S1_PKiPfP15HIP_vector_typeIfLj2EEffffjfiS5_IjLj3EEiiiiiiiiiiiliiliiiiil
    .private_segment_fixed_size: 0
    .sgpr_count:     75
    .sgpr_spill_count: 0
    .symbol:         _ZL15flash_attn_tileILi128ELi128ELi8ELi8ELb0EEvPKcS1_S1_S1_S1_PKiPfP15HIP_vector_typeIfLj2EEffffjfiS5_IjLj3EEiiiiiiiiiiiliiliiiiil.kd
    .uniform_work_group_size: 1
    .uses_dynamic_stack: false
    .vgpr_count:     228
    .vgpr_spill_count: 0
    .wavefront_size: 32
    .workgroup_processor_mode: 1
  - .args:
      - .actual_access:  read_only
        .address_space:  global
        .offset:         0
        .size:           8
        .value_kind:     global_buffer
      - .actual_access:  write_only
        .address_space:  global
        .offset:         8
        .size:           8
        .value_kind:     global_buffer
      - .offset:         16
        .size:           4
        .value_kind:     by_value
      - .offset:         20
        .size:           4
        .value_kind:     by_value
      - .offset:         24
        .size:           4
        .value_kind:     by_value
      - .offset:         32
        .size:           4
        .value_kind:     hidden_block_count_x
      - .offset:         36
        .size:           4
        .value_kind:     hidden_block_count_y
      - .offset:         40
        .size:           4
        .value_kind:     hidden_block_count_z
      - .offset:         44
        .size:           2
        .value_kind:     hidden_group_size_x
      - .offset:         46
        .size:           2
        .value_kind:     hidden_group_size_y
      - .offset:         48
        .size:           2
        .value_kind:     hidden_group_size_z
      - .offset:         50
        .size:           2
        .value_kind:     hidden_remainder_x
      - .offset:         52
        .size:           2
        .value_kind:     hidden_remainder_y
      - .offset:         54
        .size:           2
        .value_kind:     hidden_remainder_z
      - .offset:         72
        .size:           8
        .value_kind:     hidden_global_offset_x
      - .offset:         80
        .size:           8
        .value_kind:     hidden_global_offset_y
      - .offset:         88
        .size:           8
        .value_kind:     hidden_global_offset_z
      - .offset:         96
        .size:           2
        .value_kind:     hidden_grid_dims
    .group_segment_fixed_size: 128
    .kernarg_segment_align: 8
    .kernarg_segment_size: 288
    .language:       OpenCL C
    .language_version:
      - 2
      - 0
    .max_flat_workgroup_size: 128
    .name:           _ZL25flash_attn_mask_to_KV_maxILi8EEvPK7__half2Piiii
    .private_segment_fixed_size: 0
    .sgpr_count:     29
    .sgpr_spill_count: 0
    .symbol:         _ZL25flash_attn_mask_to_KV_maxILi8EEvPK7__half2Piiii.kd
    .uniform_work_group_size: 1
    .uses_dynamic_stack: false
    .vgpr_count:     9
    .vgpr_spill_count: 0
    .wavefront_size: 32
    .workgroup_processor_mode: 1
  - .args:
      - .address_space:  global
        .offset:         0
        .size:           8
        .value_kind:     global_buffer
      - .address_space:  global
        .offset:         8
        .size:           8
        .value_kind:     global_buffer
      - .offset:         16
        .size:           4
        .value_kind:     by_value
      - .offset:         20
        .size:           4
        .value_kind:     by_value
      - .offset:         24
        .size:           4
        .value_kind:     by_value
      - .offset:         28
        .size:           4
        .value_kind:     by_value
      - .offset:         32
        .size:           4
        .value_kind:     by_value
      - .offset:         36
        .size:           4
        .value_kind:     by_value
      - .offset:         40
        .size:           12
        .value_kind:     by_value
      - .offset:         52
        .size:           12
        .value_kind:     by_value
      - .offset:         64
        .size:           12
        .value_kind:     by_value
    .group_segment_fixed_size: 0
    .kernarg_segment_align: 8
    .kernarg_segment_size: 76
    .language:       OpenCL C
    .language_version:
      - 2
      - 0
    .max_flat_workgroup_size: 128
    .name:           _ZL33flash_attn_stream_k_fixup_uniformILi128ELi8ELi8EEvPfPK15HIP_vector_typeIfLj2EEiiiiiiS1_IjLj3EES5_S5_
    .private_segment_fixed_size: 0
    .sgpr_count:     22
    .sgpr_spill_count: 0
    .symbol:         _ZL33flash_attn_stream_k_fixup_uniformILi128ELi8ELi8EEvPfPK15HIP_vector_typeIfLj2EEiiiiiiS1_IjLj3EES5_S5_.kd
    .uniform_work_group_size: 1
    .uses_dynamic_stack: false
    .vgpr_count:     15
    .vgpr_spill_count: 0
    .wavefront_size: 32
    .workgroup_processor_mode: 1
  - .args:
      - .address_space:  global
        .offset:         0
        .size:           8
        .value_kind:     global_buffer
      - .address_space:  global
        .offset:         8
        .size:           8
        .value_kind:     global_buffer
      - .offset:         16
        .size:           4
        .value_kind:     by_value
      - .offset:         20
        .size:           4
        .value_kind:     by_value
      - .offset:         24
        .size:           4
        .value_kind:     by_value
      - .offset:         28
        .size:           4
        .value_kind:     by_value
      - .offset:         32
        .size:           12
        .value_kind:     by_value
      - .offset:         44
        .size:           12
        .value_kind:     by_value
      - .offset:         56
        .size:           12
        .value_kind:     by_value
      - .offset:         68
        .size:           12
        .value_kind:     by_value
      - .offset:         80
        .size:           4
        .value_kind:     hidden_block_count_x
      - .offset:         84
        .size:           4
        .value_kind:     hidden_block_count_y
      - .offset:         88
        .size:           4
        .value_kind:     hidden_block_count_z
      - .offset:         92
        .size:           2
        .value_kind:     hidden_group_size_x
      - .offset:         94
        .size:           2
        .value_kind:     hidden_group_size_y
      - .offset:         96
        .size:           2
        .value_kind:     hidden_group_size_z
      - .offset:         98
        .size:           2
        .value_kind:     hidden_remainder_x
      - .offset:         100
        .size:           2
        .value_kind:     hidden_remainder_y
      - .offset:         102
        .size:           2
        .value_kind:     hidden_remainder_z
      - .offset:         120
        .size:           8
        .value_kind:     hidden_global_offset_x
      - .offset:         128
        .size:           8
        .value_kind:     hidden_global_offset_y
      - .offset:         136
        .size:           8
        .value_kind:     hidden_global_offset_z
      - .offset:         144
        .size:           2
        .value_kind:     hidden_grid_dims
    .group_segment_fixed_size: 0
    .kernarg_segment_align: 8
    .kernarg_segment_size: 336
    .language:       OpenCL C
    .language_version:
      - 2
      - 0
    .max_flat_workgroup_size: 128
    .name:           _ZL33flash_attn_stream_k_fixup_generalILi128ELi8ELi8EEvPfPK15HIP_vector_typeIfLj2EEiiiiS1_IjLj3EES5_S5_S5_
    .private_segment_fixed_size: 0
    .sgpr_count:     34
    .sgpr_spill_count: 0
    .symbol:         _ZL33flash_attn_stream_k_fixup_generalILi128ELi8ELi8EEvPfPK15HIP_vector_typeIfLj2EEiiiiS1_IjLj3EES5_S5_S5_.kd
    .uniform_work_group_size: 1
    .uses_dynamic_stack: false
    .vgpr_count:     19
    .vgpr_spill_count: 0
    .wavefront_size: 32
    .workgroup_processor_mode: 1
  - .args:
      - .address_space:  global
        .offset:         0
        .size:           8
        .value_kind:     global_buffer
      - .address_space:  global
        .offset:         8
        .size:           8
        .value_kind:     global_buffer
      - .address_space:  global
        .offset:         16
        .size:           8
        .value_kind:     global_buffer
      - .offset:         24
        .size:           4
        .value_kind:     by_value
      - .offset:         32
        .size:           4
        .value_kind:     hidden_block_count_x
      - .offset:         36
        .size:           4
        .value_kind:     hidden_block_count_y
      - .offset:         40
        .size:           4
        .value_kind:     hidden_block_count_z
      - .offset:         44
        .size:           2
        .value_kind:     hidden_group_size_x
      - .offset:         46
        .size:           2
        .value_kind:     hidden_group_size_y
      - .offset:         48
        .size:           2
        .value_kind:     hidden_group_size_z
      - .offset:         50
        .size:           2
        .value_kind:     hidden_remainder_x
      - .offset:         52
        .size:           2
        .value_kind:     hidden_remainder_y
      - .offset:         54
        .size:           2
        .value_kind:     hidden_remainder_z
      - .offset:         72
        .size:           8
        .value_kind:     hidden_global_offset_x
      - .offset:         80
        .size:           8
        .value_kind:     hidden_global_offset_y
      - .offset:         88
        .size:           8
        .value_kind:     hidden_global_offset_z
      - .offset:         96
        .size:           2
        .value_kind:     hidden_grid_dims
      - .offset:         152
        .size:           4
        .value_kind:     hidden_dynamic_lds_size
    .group_segment_fixed_size: 0
    .kernarg_segment_align: 8
    .kernarg_segment_size: 288
    .language:       OpenCL C
    .language_version:
      - 2
      - 0
    .max_flat_workgroup_size: 128
    .name:           _ZL26flash_attn_combine_resultsILi128EEvPKfPK15HIP_vector_typeIfLj2EEPfi
    .private_segment_fixed_size: 0
    .sgpr_count:     18
    .sgpr_spill_count: 0
    .symbol:         _ZL26flash_attn_combine_resultsILi128EEvPKfPK15HIP_vector_typeIfLj2EEPfi.kd
    .uniform_work_group_size: 1
    .uses_dynamic_stack: false
    .vgpr_count:     55
    .vgpr_spill_count: 0
    .wavefront_size: 32
    .workgroup_processor_mode: 1
  - .args:
      - .address_space:  global
        .offset:         0
        .size:           8
        .value_kind:     global_buffer
      - .address_space:  global
        .offset:         8
        .size:           8
        .value_kind:     global_buffer
      - .address_space:  global
        .offset:         16
        .size:           8
        .value_kind:     global_buffer
      - .address_space:  global
        .offset:         24
        .size:           8
        .value_kind:     global_buffer
      - .address_space:  global
        .offset:         32
        .size:           8
        .value_kind:     global_buffer
      - .address_space:  global
        .offset:         40
        .size:           8
        .value_kind:     global_buffer
      - .address_space:  global
        .offset:         48
        .size:           8
        .value_kind:     global_buffer
      - .address_space:  global
        .offset:         56
        .size:           8
        .value_kind:     global_buffer
      - .offset:         64
        .size:           4
        .value_kind:     by_value
      - .offset:         68
        .size:           4
        .value_kind:     by_value
      - .offset:         72
        .size:           4
        .value_kind:     by_value
      - .offset:         76
        .size:           4
        .value_kind:     by_value
      - .offset:         80
        .size:           4
        .value_kind:     by_value
      - .offset:         84
        .size:           4
        .value_kind:     by_value
      - .offset:         88
        .size:           4
        .value_kind:     by_value
      - .offset:         92
        .size:           12
        .value_kind:     by_value
      - .offset:         104
        .size:           4
        .value_kind:     by_value
      - .offset:         108
        .size:           4
        .value_kind:     by_value
      - .offset:         112
        .size:           4
        .value_kind:     by_value
      - .offset:         116
        .size:           4
        .value_kind:     by_value
      - .offset:         120
        .size:           4
        .value_kind:     by_value
      - .offset:         124
        .size:           4
        .value_kind:     by_value
      - .offset:         128
        .size:           4
        .value_kind:     by_value
      - .offset:         132
        .size:           4
        .value_kind:     by_value
      - .offset:         136
        .size:           4
        .value_kind:     by_value
      - .offset:         140
        .size:           4
        .value_kind:     by_value
      - .offset:         144
        .size:           4
        .value_kind:     by_value
      - .offset:         152
        .size:           8
        .value_kind:     by_value
      - .offset:         160
        .size:           4
        .value_kind:     by_value
      - .offset:         164
        .size:           4
        .value_kind:     by_value
      - .offset:         168
        .size:           8
        .value_kind:     by_value
      - .offset:         176
        .size:           4
        .value_kind:     by_value
      - .offset:         180
        .size:           4
        .value_kind:     by_value
      - .offset:         184
        .size:           4
        .value_kind:     by_value
      - .offset:         188
        .size:           4
        .value_kind:     by_value
      - .offset:         192
        .size:           4
        .value_kind:     by_value
      - .offset:         200
        .size:           8
        .value_kind:     by_value
      - .offset:         208
        .size:           4
        .value_kind:     hidden_block_count_x
      - .offset:         212
        .size:           4
        .value_kind:     hidden_block_count_y
      - .offset:         216
        .size:           4
        .value_kind:     hidden_block_count_z
      - .offset:         220
        .size:           2
        .value_kind:     hidden_group_size_x
      - .offset:         222
        .size:           2
        .value_kind:     hidden_group_size_y
      - .offset:         224
        .size:           2
        .value_kind:     hidden_group_size_z
      - .offset:         226
        .size:           2
        .value_kind:     hidden_remainder_x
      - .offset:         228
        .size:           2
        .value_kind:     hidden_remainder_y
      - .offset:         230
        .size:           2
        .value_kind:     hidden_remainder_z
      - .offset:         248
        .size:           8
        .value_kind:     hidden_global_offset_x
      - .offset:         256
        .size:           8
        .value_kind:     hidden_global_offset_y
      - .offset:         264
        .size:           8
        .value_kind:     hidden_global_offset_z
      - .offset:         272
        .size:           2
        .value_kind:     hidden_grid_dims
    .group_segment_fixed_size: 34816
    .kernarg_segment_align: 8
    .kernarg_segment_size: 464
    .language:       OpenCL C
    .language_version:
      - 2
      - 0
    .max_flat_workgroup_size: 256
    .name:           _ZL15flash_attn_tileILi128ELi128ELi4ELi8ELb0EEvPKcS1_S1_S1_S1_PKiPfP15HIP_vector_typeIfLj2EEffffjfiS5_IjLj3EEiiiiiiiiiiiliiliiiiil
    .private_segment_fixed_size: 0
    .sgpr_count:     67
    .sgpr_spill_count: 0
    .symbol:         _ZL15flash_attn_tileILi128ELi128ELi4ELi8ELb0EEvPKcS1_S1_S1_S1_PKiPfP15HIP_vector_typeIfLj2EEffffjfiS5_IjLj3EEiiiiiiiiiiiliiliiiiil.kd
    .uniform_work_group_size: 1
    .uses_dynamic_stack: false
    .vgpr_count:     243
    .vgpr_spill_count: 0
    .wavefront_size: 32
    .workgroup_processor_mode: 1
  - .args:
      - .actual_access:  read_only
        .address_space:  global
        .offset:         0
        .size:           8
        .value_kind:     global_buffer
      - .actual_access:  write_only
        .address_space:  global
        .offset:         8
        .size:           8
        .value_kind:     global_buffer
      - .offset:         16
        .size:           4
        .value_kind:     by_value
      - .offset:         20
        .size:           4
        .value_kind:     by_value
      - .offset:         24
        .size:           4
        .value_kind:     by_value
      - .offset:         32
        .size:           4
        .value_kind:     hidden_block_count_x
      - .offset:         36
        .size:           4
        .value_kind:     hidden_block_count_y
      - .offset:         40
        .size:           4
        .value_kind:     hidden_block_count_z
      - .offset:         44
        .size:           2
        .value_kind:     hidden_group_size_x
      - .offset:         46
        .size:           2
        .value_kind:     hidden_group_size_y
      - .offset:         48
        .size:           2
        .value_kind:     hidden_group_size_z
      - .offset:         50
        .size:           2
        .value_kind:     hidden_remainder_x
      - .offset:         52
        .size:           2
        .value_kind:     hidden_remainder_y
      - .offset:         54
        .size:           2
        .value_kind:     hidden_remainder_z
      - .offset:         72
        .size:           8
        .value_kind:     hidden_global_offset_x
      - .offset:         80
        .size:           8
        .value_kind:     hidden_global_offset_y
      - .offset:         88
        .size:           8
        .value_kind:     hidden_global_offset_z
      - .offset:         96
        .size:           2
        .value_kind:     hidden_grid_dims
    .group_segment_fixed_size: 128
    .kernarg_segment_align: 8
    .kernarg_segment_size: 288
    .language:       OpenCL C
    .language_version:
      - 2
      - 0
    .max_flat_workgroup_size: 128
    .name:           _ZL25flash_attn_mask_to_KV_maxILi4EEvPK7__half2Piiii
    .private_segment_fixed_size: 0
    .sgpr_count:     21
    .sgpr_spill_count: 0
    .symbol:         _ZL25flash_attn_mask_to_KV_maxILi4EEvPK7__half2Piiii.kd
    .uniform_work_group_size: 1
    .uses_dynamic_stack: false
    .vgpr_count:     9
    .vgpr_spill_count: 0
    .wavefront_size: 32
    .workgroup_processor_mode: 1
  - .args:
      - .address_space:  global
        .offset:         0
        .size:           8
        .value_kind:     global_buffer
      - .address_space:  global
        .offset:         8
        .size:           8
        .value_kind:     global_buffer
      - .offset:         16
        .size:           4
        .value_kind:     by_value
      - .offset:         20
        .size:           4
        .value_kind:     by_value
      - .offset:         24
        .size:           4
        .value_kind:     by_value
      - .offset:         28
        .size:           4
        .value_kind:     by_value
      - .offset:         32
        .size:           4
        .value_kind:     by_value
      - .offset:         36
        .size:           4
        .value_kind:     by_value
      - .offset:         40
        .size:           12
        .value_kind:     by_value
      - .offset:         52
        .size:           12
        .value_kind:     by_value
      - .offset:         64
        .size:           12
        .value_kind:     by_value
    .group_segment_fixed_size: 0
    .kernarg_segment_align: 8
    .kernarg_segment_size: 76
    .language:       OpenCL C
    .language_version:
      - 2
      - 0
    .max_flat_workgroup_size: 128
    .name:           _ZL33flash_attn_stream_k_fixup_uniformILi128ELi4ELi8EEvPfPK15HIP_vector_typeIfLj2EEiiiiiiS1_IjLj3EES5_S5_
    .private_segment_fixed_size: 0
    .sgpr_count:     22
    .sgpr_spill_count: 0
    .symbol:         _ZL33flash_attn_stream_k_fixup_uniformILi128ELi4ELi8EEvPfPK15HIP_vector_typeIfLj2EEiiiiiiS1_IjLj3EES5_S5_.kd
    .uniform_work_group_size: 1
    .uses_dynamic_stack: false
    .vgpr_count:     15
    .vgpr_spill_count: 0
    .wavefront_size: 32
    .workgroup_processor_mode: 1
  - .args:
      - .address_space:  global
        .offset:         0
        .size:           8
        .value_kind:     global_buffer
      - .address_space:  global
        .offset:         8
        .size:           8
        .value_kind:     global_buffer
      - .offset:         16
        .size:           4
        .value_kind:     by_value
      - .offset:         20
        .size:           4
        .value_kind:     by_value
      - .offset:         24
        .size:           4
        .value_kind:     by_value
      - .offset:         28
        .size:           4
        .value_kind:     by_value
      - .offset:         32
        .size:           12
        .value_kind:     by_value
      - .offset:         44
        .size:           12
        .value_kind:     by_value
      - .offset:         56
        .size:           12
        .value_kind:     by_value
      - .offset:         68
        .size:           12
        .value_kind:     by_value
      - .offset:         80
        .size:           4
        .value_kind:     hidden_block_count_x
      - .offset:         84
        .size:           4
        .value_kind:     hidden_block_count_y
      - .offset:         88
        .size:           4
        .value_kind:     hidden_block_count_z
      - .offset:         92
        .size:           2
        .value_kind:     hidden_group_size_x
      - .offset:         94
        .size:           2
        .value_kind:     hidden_group_size_y
      - .offset:         96
        .size:           2
        .value_kind:     hidden_group_size_z
      - .offset:         98
        .size:           2
        .value_kind:     hidden_remainder_x
      - .offset:         100
        .size:           2
        .value_kind:     hidden_remainder_y
      - .offset:         102
        .size:           2
        .value_kind:     hidden_remainder_z
      - .offset:         120
        .size:           8
        .value_kind:     hidden_global_offset_x
      - .offset:         128
        .size:           8
        .value_kind:     hidden_global_offset_y
      - .offset:         136
        .size:           8
        .value_kind:     hidden_global_offset_z
      - .offset:         144
        .size:           2
        .value_kind:     hidden_grid_dims
    .group_segment_fixed_size: 0
    .kernarg_segment_align: 8
    .kernarg_segment_size: 336
    .language:       OpenCL C
    .language_version:
      - 2
      - 0
    .max_flat_workgroup_size: 128
    .name:           _ZL33flash_attn_stream_k_fixup_generalILi128ELi4ELi8EEvPfPK15HIP_vector_typeIfLj2EEiiiiS1_IjLj3EES5_S5_S5_
    .private_segment_fixed_size: 0
    .sgpr_count:     34
    .sgpr_spill_count: 0
    .symbol:         _ZL33flash_attn_stream_k_fixup_generalILi128ELi4ELi8EEvPfPK15HIP_vector_typeIfLj2EEiiiiS1_IjLj3EES5_S5_S5_.kd
    .uniform_work_group_size: 1
    .uses_dynamic_stack: false
    .vgpr_count:     19
    .vgpr_spill_count: 0
    .wavefront_size: 32
    .workgroup_processor_mode: 1
  - .args:
      - .address_space:  global
        .offset:         0
        .size:           8
        .value_kind:     global_buffer
      - .address_space:  global
        .offset:         8
        .size:           8
        .value_kind:     global_buffer
      - .address_space:  global
        .offset:         16
        .size:           8
        .value_kind:     global_buffer
      - .address_space:  global
        .offset:         24
        .size:           8
        .value_kind:     global_buffer
      - .address_space:  global
        .offset:         32
        .size:           8
        .value_kind:     global_buffer
      - .address_space:  global
        .offset:         40
        .size:           8
        .value_kind:     global_buffer
      - .address_space:  global
        .offset:         48
        .size:           8
        .value_kind:     global_buffer
      - .address_space:  global
        .offset:         56
        .size:           8
        .value_kind:     global_buffer
      - .offset:         64
        .size:           4
        .value_kind:     by_value
      - .offset:         68
        .size:           4
        .value_kind:     by_value
      - .offset:         72
        .size:           4
        .value_kind:     by_value
      - .offset:         76
        .size:           4
        .value_kind:     by_value
      - .offset:         80
        .size:           4
        .value_kind:     by_value
      - .offset:         84
        .size:           4
        .value_kind:     by_value
      - .offset:         88
        .size:           4
        .value_kind:     by_value
      - .offset:         92
        .size:           12
        .value_kind:     by_value
      - .offset:         104
        .size:           4
        .value_kind:     by_value
      - .offset:         108
        .size:           4
        .value_kind:     by_value
      - .offset:         112
        .size:           4
        .value_kind:     by_value
      - .offset:         116
        .size:           4
        .value_kind:     by_value
      - .offset:         120
        .size:           4
        .value_kind:     by_value
      - .offset:         124
        .size:           4
        .value_kind:     by_value
      - .offset:         128
        .size:           4
        .value_kind:     by_value
      - .offset:         132
        .size:           4
        .value_kind:     by_value
      - .offset:         136
        .size:           4
        .value_kind:     by_value
      - .offset:         140
        .size:           4
        .value_kind:     by_value
      - .offset:         144
        .size:           4
        .value_kind:     by_value
      - .offset:         152
        .size:           8
        .value_kind:     by_value
      - .offset:         160
        .size:           4
        .value_kind:     by_value
      - .offset:         164
        .size:           4
        .value_kind:     by_value
      - .offset:         168
        .size:           8
        .value_kind:     by_value
      - .offset:         176
        .size:           4
        .value_kind:     by_value
      - .offset:         180
        .size:           4
        .value_kind:     by_value
      - .offset:         184
        .size:           4
        .value_kind:     by_value
      - .offset:         188
        .size:           4
        .value_kind:     by_value
      - .offset:         192
        .size:           4
        .value_kind:     by_value
      - .offset:         200
        .size:           8
        .value_kind:     by_value
      - .offset:         208
        .size:           4
        .value_kind:     hidden_block_count_x
      - .offset:         212
        .size:           4
        .value_kind:     hidden_block_count_y
      - .offset:         216
        .size:           4
        .value_kind:     hidden_block_count_z
      - .offset:         220
        .size:           2
        .value_kind:     hidden_group_size_x
      - .offset:         222
        .size:           2
        .value_kind:     hidden_group_size_y
      - .offset:         224
        .size:           2
        .value_kind:     hidden_group_size_z
      - .offset:         226
        .size:           2
        .value_kind:     hidden_remainder_x
      - .offset:         228
        .size:           2
        .value_kind:     hidden_remainder_y
      - .offset:         230
        .size:           2
        .value_kind:     hidden_remainder_z
      - .offset:         248
        .size:           8
        .value_kind:     hidden_global_offset_x
      - .offset:         256
        .size:           8
        .value_kind:     hidden_global_offset_y
      - .offset:         264
        .size:           8
        .value_kind:     hidden_global_offset_z
      - .offset:         272
        .size:           2
        .value_kind:     hidden_grid_dims
    .group_segment_fixed_size: 43008
    .kernarg_segment_align: 8
    .kernarg_segment_size: 464
    .language:       OpenCL C
    .language_version:
      - 2
      - 0
    .max_flat_workgroup_size: 256
    .name:           _ZL15flash_attn_tileILi128ELi128ELi2ELi8ELb0EEvPKcS1_S1_S1_S1_PKiPfP15HIP_vector_typeIfLj2EEffffjfiS5_IjLj3EEiiiiiiiiiiiliiliiiiil
    .private_segment_fixed_size: 0
    .sgpr_count:     44
    .sgpr_spill_count: 0
    .symbol:         _ZL15flash_attn_tileILi128ELi128ELi2ELi8ELb0EEvPKcS1_S1_S1_S1_PKiPfP15HIP_vector_typeIfLj2EEffffjfiS5_IjLj3EEiiiiiiiiiiiliiliiiiil.kd
    .uniform_work_group_size: 1
    .uses_dynamic_stack: false
    .vgpr_count:     161
    .vgpr_spill_count: 0
    .wavefront_size: 32
    .workgroup_processor_mode: 1
  - .args:
      - .actual_access:  read_only
        .address_space:  global
        .offset:         0
        .size:           8
        .value_kind:     global_buffer
      - .actual_access:  write_only
        .address_space:  global
        .offset:         8
        .size:           8
        .value_kind:     global_buffer
      - .offset:         16
        .size:           4
        .value_kind:     by_value
      - .offset:         20
        .size:           4
        .value_kind:     by_value
      - .offset:         24
        .size:           4
        .value_kind:     by_value
      - .offset:         32
        .size:           4
        .value_kind:     hidden_block_count_x
      - .offset:         36
        .size:           4
        .value_kind:     hidden_block_count_y
      - .offset:         40
        .size:           4
        .value_kind:     hidden_block_count_z
      - .offset:         44
        .size:           2
        .value_kind:     hidden_group_size_x
      - .offset:         46
        .size:           2
        .value_kind:     hidden_group_size_y
      - .offset:         48
        .size:           2
        .value_kind:     hidden_group_size_z
      - .offset:         50
        .size:           2
        .value_kind:     hidden_remainder_x
      - .offset:         52
        .size:           2
        .value_kind:     hidden_remainder_y
      - .offset:         54
        .size:           2
        .value_kind:     hidden_remainder_z
      - .offset:         72
        .size:           8
        .value_kind:     hidden_global_offset_x
      - .offset:         80
        .size:           8
        .value_kind:     hidden_global_offset_y
      - .offset:         88
        .size:           8
        .value_kind:     hidden_global_offset_z
      - .offset:         96
        .size:           2
        .value_kind:     hidden_grid_dims
    .group_segment_fixed_size: 128
    .kernarg_segment_align: 8
    .kernarg_segment_size: 288
    .language:       OpenCL C
    .language_version:
      - 2
      - 0
    .max_flat_workgroup_size: 128
    .name:           _ZL25flash_attn_mask_to_KV_maxILi2EEvPK7__half2Piiii
    .private_segment_fixed_size: 0
    .sgpr_count:     18
    .sgpr_spill_count: 0
    .symbol:         _ZL25flash_attn_mask_to_KV_maxILi2EEvPK7__half2Piiii.kd
    .uniform_work_group_size: 1
    .uses_dynamic_stack: false
    .vgpr_count:     7
    .vgpr_spill_count: 0
    .wavefront_size: 32
    .workgroup_processor_mode: 1
  - .args:
      - .address_space:  global
        .offset:         0
        .size:           8
        .value_kind:     global_buffer
      - .address_space:  global
        .offset:         8
        .size:           8
        .value_kind:     global_buffer
      - .offset:         16
        .size:           4
        .value_kind:     by_value
      - .offset:         20
        .size:           4
        .value_kind:     by_value
      - .offset:         24
        .size:           4
        .value_kind:     by_value
      - .offset:         28
        .size:           4
        .value_kind:     by_value
      - .offset:         32
        .size:           4
        .value_kind:     by_value
      - .offset:         36
        .size:           4
        .value_kind:     by_value
      - .offset:         40
        .size:           12
        .value_kind:     by_value
      - .offset:         52
        .size:           12
        .value_kind:     by_value
      - .offset:         64
        .size:           12
        .value_kind:     by_value
    .group_segment_fixed_size: 0
    .kernarg_segment_align: 8
    .kernarg_segment_size: 76
    .language:       OpenCL C
    .language_version:
      - 2
      - 0
    .max_flat_workgroup_size: 128
    .name:           _ZL33flash_attn_stream_k_fixup_uniformILi128ELi2ELi8EEvPfPK15HIP_vector_typeIfLj2EEiiiiiiS1_IjLj3EES5_S5_
    .private_segment_fixed_size: 0
    .sgpr_count:     22
    .sgpr_spill_count: 0
    .symbol:         _ZL33flash_attn_stream_k_fixup_uniformILi128ELi2ELi8EEvPfPK15HIP_vector_typeIfLj2EEiiiiiiS1_IjLj3EES5_S5_.kd
    .uniform_work_group_size: 1
    .uses_dynamic_stack: false
    .vgpr_count:     15
    .vgpr_spill_count: 0
    .wavefront_size: 32
    .workgroup_processor_mode: 1
  - .args:
      - .address_space:  global
        .offset:         0
        .size:           8
        .value_kind:     global_buffer
      - .address_space:  global
        .offset:         8
        .size:           8
        .value_kind:     global_buffer
      - .offset:         16
        .size:           4
        .value_kind:     by_value
      - .offset:         20
        .size:           4
        .value_kind:     by_value
      - .offset:         24
        .size:           4
        .value_kind:     by_value
      - .offset:         28
        .size:           4
        .value_kind:     by_value
      - .offset:         32
        .size:           12
        .value_kind:     by_value
      - .offset:         44
        .size:           12
        .value_kind:     by_value
      - .offset:         56
        .size:           12
        .value_kind:     by_value
      - .offset:         68
        .size:           12
        .value_kind:     by_value
      - .offset:         80
        .size:           4
        .value_kind:     hidden_block_count_x
      - .offset:         84
        .size:           4
        .value_kind:     hidden_block_count_y
      - .offset:         88
        .size:           4
        .value_kind:     hidden_block_count_z
      - .offset:         92
        .size:           2
        .value_kind:     hidden_group_size_x
      - .offset:         94
        .size:           2
        .value_kind:     hidden_group_size_y
      - .offset:         96
        .size:           2
        .value_kind:     hidden_group_size_z
      - .offset:         98
        .size:           2
        .value_kind:     hidden_remainder_x
      - .offset:         100
        .size:           2
        .value_kind:     hidden_remainder_y
      - .offset:         102
        .size:           2
        .value_kind:     hidden_remainder_z
      - .offset:         120
        .size:           8
        .value_kind:     hidden_global_offset_x
      - .offset:         128
        .size:           8
        .value_kind:     hidden_global_offset_y
      - .offset:         136
        .size:           8
        .value_kind:     hidden_global_offset_z
      - .offset:         144
        .size:           2
        .value_kind:     hidden_grid_dims
    .group_segment_fixed_size: 0
    .kernarg_segment_align: 8
    .kernarg_segment_size: 336
    .language:       OpenCL C
    .language_version:
      - 2
      - 0
    .max_flat_workgroup_size: 128
    .name:           _ZL33flash_attn_stream_k_fixup_generalILi128ELi2ELi8EEvPfPK15HIP_vector_typeIfLj2EEiiiiS1_IjLj3EES5_S5_S5_
    .private_segment_fixed_size: 0
    .sgpr_count:     34
    .sgpr_spill_count: 0
    .symbol:         _ZL33flash_attn_stream_k_fixup_generalILi128ELi2ELi8EEvPfPK15HIP_vector_typeIfLj2EEiiiiS1_IjLj3EES5_S5_S5_.kd
    .uniform_work_group_size: 1
    .uses_dynamic_stack: false
    .vgpr_count:     19
    .vgpr_spill_count: 0
    .wavefront_size: 32
    .workgroup_processor_mode: 1
  - .args:
      - .address_space:  global
        .offset:         0
        .size:           8
        .value_kind:     global_buffer
      - .address_space:  global
        .offset:         8
        .size:           8
        .value_kind:     global_buffer
      - .address_space:  global
        .offset:         16
        .size:           8
        .value_kind:     global_buffer
      - .address_space:  global
        .offset:         24
        .size:           8
        .value_kind:     global_buffer
      - .address_space:  global
        .offset:         32
        .size:           8
        .value_kind:     global_buffer
      - .address_space:  global
        .offset:         40
        .size:           8
        .value_kind:     global_buffer
      - .address_space:  global
        .offset:         48
        .size:           8
        .value_kind:     global_buffer
      - .address_space:  global
        .offset:         56
        .size:           8
        .value_kind:     global_buffer
      - .offset:         64
        .size:           4
        .value_kind:     by_value
      - .offset:         68
        .size:           4
        .value_kind:     by_value
      - .offset:         72
        .size:           4
        .value_kind:     by_value
      - .offset:         76
        .size:           4
        .value_kind:     by_value
      - .offset:         80
        .size:           4
        .value_kind:     by_value
      - .offset:         84
        .size:           4
        .value_kind:     by_value
      - .offset:         88
        .size:           4
        .value_kind:     by_value
      - .offset:         92
        .size:           12
        .value_kind:     by_value
      - .offset:         104
        .size:           4
        .value_kind:     by_value
      - .offset:         108
        .size:           4
        .value_kind:     by_value
      - .offset:         112
        .size:           4
        .value_kind:     by_value
      - .offset:         116
        .size:           4
        .value_kind:     by_value
      - .offset:         120
        .size:           4
        .value_kind:     by_value
      - .offset:         124
        .size:           4
        .value_kind:     by_value
      - .offset:         128
        .size:           4
        .value_kind:     by_value
      - .offset:         132
        .size:           4
        .value_kind:     by_value
      - .offset:         136
        .size:           4
        .value_kind:     by_value
      - .offset:         140
        .size:           4
        .value_kind:     by_value
      - .offset:         144
        .size:           4
        .value_kind:     by_value
      - .offset:         152
        .size:           8
        .value_kind:     by_value
      - .offset:         160
        .size:           4
        .value_kind:     by_value
      - .offset:         164
        .size:           4
        .value_kind:     by_value
      - .offset:         168
        .size:           8
        .value_kind:     by_value
      - .offset:         176
        .size:           4
        .value_kind:     by_value
      - .offset:         180
        .size:           4
        .value_kind:     by_value
      - .offset:         184
        .size:           4
        .value_kind:     by_value
      - .offset:         188
        .size:           4
        .value_kind:     by_value
      - .offset:         192
        .size:           4
        .value_kind:     by_value
      - .offset:         200
        .size:           8
        .value_kind:     by_value
      - .offset:         208
        .size:           4
        .value_kind:     hidden_block_count_x
      - .offset:         212
        .size:           4
        .value_kind:     hidden_block_count_y
      - .offset:         216
        .size:           4
        .value_kind:     hidden_block_count_z
      - .offset:         220
        .size:           2
        .value_kind:     hidden_group_size_x
      - .offset:         222
        .size:           2
        .value_kind:     hidden_group_size_y
      - .offset:         224
        .size:           2
        .value_kind:     hidden_group_size_z
      - .offset:         226
        .size:           2
        .value_kind:     hidden_remainder_x
      - .offset:         228
        .size:           2
        .value_kind:     hidden_remainder_y
      - .offset:         230
        .size:           2
        .value_kind:     hidden_remainder_z
      - .offset:         248
        .size:           8
        .value_kind:     hidden_global_offset_x
      - .offset:         256
        .size:           8
        .value_kind:     hidden_global_offset_y
      - .offset:         264
        .size:           8
        .value_kind:     hidden_global_offset_z
      - .offset:         272
        .size:           2
        .value_kind:     hidden_grid_dims
    .group_segment_fixed_size: 12288
    .kernarg_segment_align: 8
    .kernarg_segment_size: 464
    .language:       OpenCL C
    .language_version:
      - 2
      - 0
    .max_flat_workgroup_size: 128
    .name:           _ZL15flash_attn_tileILi128ELi128ELi1ELi8ELb0EEvPKcS1_S1_S1_S1_PKiPfP15HIP_vector_typeIfLj2EEffffjfiS5_IjLj3EEiiiiiiiiiiiliiliiiiil
    .private_segment_fixed_size: 0
    .sgpr_count:     44
    .sgpr_spill_count: 0
    .symbol:         _ZL15flash_attn_tileILi128ELi128ELi1ELi8ELb0EEvPKcS1_S1_S1_S1_PKiPfP15HIP_vector_typeIfLj2EEffffjfiS5_IjLj3EEiiiiiiiiiiiliiliiiiil.kd
    .uniform_work_group_size: 1
    .uses_dynamic_stack: false
    .vgpr_count:     142
    .vgpr_spill_count: 0
    .wavefront_size: 32
    .workgroup_processor_mode: 1
  - .args:
      - .actual_access:  read_only
        .address_space:  global
        .offset:         0
        .size:           8
        .value_kind:     global_buffer
      - .actual_access:  write_only
        .address_space:  global
        .offset:         8
        .size:           8
        .value_kind:     global_buffer
      - .offset:         16
        .size:           4
        .value_kind:     by_value
      - .offset:         20
        .size:           4
        .value_kind:     by_value
      - .offset:         24
        .size:           4
        .value_kind:     by_value
      - .offset:         32
        .size:           4
        .value_kind:     hidden_block_count_x
      - .offset:         36
        .size:           4
        .value_kind:     hidden_block_count_y
      - .offset:         40
        .size:           4
        .value_kind:     hidden_block_count_z
      - .offset:         44
        .size:           2
        .value_kind:     hidden_group_size_x
      - .offset:         46
        .size:           2
        .value_kind:     hidden_group_size_y
      - .offset:         48
        .size:           2
        .value_kind:     hidden_group_size_z
      - .offset:         50
        .size:           2
        .value_kind:     hidden_remainder_x
      - .offset:         52
        .size:           2
        .value_kind:     hidden_remainder_y
      - .offset:         54
        .size:           2
        .value_kind:     hidden_remainder_z
      - .offset:         72
        .size:           8
        .value_kind:     hidden_global_offset_x
      - .offset:         80
        .size:           8
        .value_kind:     hidden_global_offset_y
      - .offset:         88
        .size:           8
        .value_kind:     hidden_global_offset_z
      - .offset:         96
        .size:           2
        .value_kind:     hidden_grid_dims
    .group_segment_fixed_size: 128
    .kernarg_segment_align: 8
    .kernarg_segment_size: 288
    .language:       OpenCL C
    .language_version:
      - 2
      - 0
    .max_flat_workgroup_size: 128
    .name:           _ZL25flash_attn_mask_to_KV_maxILi1EEvPK7__half2Piiii
    .private_segment_fixed_size: 0
    .sgpr_count:     18
    .sgpr_spill_count: 0
    .symbol:         _ZL25flash_attn_mask_to_KV_maxILi1EEvPK7__half2Piiii.kd
    .uniform_work_group_size: 1
    .uses_dynamic_stack: false
    .vgpr_count:     7
    .vgpr_spill_count: 0
    .wavefront_size: 32
    .workgroup_processor_mode: 1
  - .args:
      - .address_space:  global
        .offset:         0
        .size:           8
        .value_kind:     global_buffer
      - .address_space:  global
        .offset:         8
        .size:           8
        .value_kind:     global_buffer
      - .offset:         16
        .size:           4
        .value_kind:     by_value
      - .offset:         20
        .size:           4
        .value_kind:     by_value
      - .offset:         24
        .size:           4
        .value_kind:     by_value
      - .offset:         28
        .size:           4
        .value_kind:     by_value
      - .offset:         32
        .size:           4
        .value_kind:     by_value
      - .offset:         36
        .size:           4
        .value_kind:     by_value
      - .offset:         40
        .size:           12
        .value_kind:     by_value
      - .offset:         52
        .size:           12
        .value_kind:     by_value
      - .offset:         64
        .size:           12
        .value_kind:     by_value
    .group_segment_fixed_size: 0
    .kernarg_segment_align: 8
    .kernarg_segment_size: 76
    .language:       OpenCL C
    .language_version:
      - 2
      - 0
    .max_flat_workgroup_size: 128
    .name:           _ZL33flash_attn_stream_k_fixup_uniformILi128ELi1ELi8EEvPfPK15HIP_vector_typeIfLj2EEiiiiiiS1_IjLj3EES5_S5_
    .private_segment_fixed_size: 0
    .sgpr_count:     22
    .sgpr_spill_count: 0
    .symbol:         _ZL33flash_attn_stream_k_fixup_uniformILi128ELi1ELi8EEvPfPK15HIP_vector_typeIfLj2EEiiiiiiS1_IjLj3EES5_S5_.kd
    .uniform_work_group_size: 1
    .uses_dynamic_stack: false
    .vgpr_count:     15
    .vgpr_spill_count: 0
    .wavefront_size: 32
    .workgroup_processor_mode: 1
  - .args:
      - .address_space:  global
        .offset:         0
        .size:           8
        .value_kind:     global_buffer
      - .address_space:  global
        .offset:         8
        .size:           8
        .value_kind:     global_buffer
      - .offset:         16
        .size:           4
        .value_kind:     by_value
      - .offset:         20
        .size:           4
        .value_kind:     by_value
      - .offset:         24
        .size:           4
        .value_kind:     by_value
      - .offset:         28
        .size:           4
        .value_kind:     by_value
      - .offset:         32
        .size:           12
        .value_kind:     by_value
      - .offset:         44
        .size:           12
        .value_kind:     by_value
      - .offset:         56
        .size:           12
        .value_kind:     by_value
      - .offset:         68
        .size:           12
        .value_kind:     by_value
      - .offset:         80
        .size:           4
        .value_kind:     hidden_block_count_x
      - .offset:         84
        .size:           4
        .value_kind:     hidden_block_count_y
      - .offset:         88
        .size:           4
        .value_kind:     hidden_block_count_z
      - .offset:         92
        .size:           2
        .value_kind:     hidden_group_size_x
      - .offset:         94
        .size:           2
        .value_kind:     hidden_group_size_y
      - .offset:         96
        .size:           2
        .value_kind:     hidden_group_size_z
      - .offset:         98
        .size:           2
        .value_kind:     hidden_remainder_x
      - .offset:         100
        .size:           2
        .value_kind:     hidden_remainder_y
      - .offset:         102
        .size:           2
        .value_kind:     hidden_remainder_z
      - .offset:         120
        .size:           8
        .value_kind:     hidden_global_offset_x
      - .offset:         128
        .size:           8
        .value_kind:     hidden_global_offset_y
      - .offset:         136
        .size:           8
        .value_kind:     hidden_global_offset_z
      - .offset:         144
        .size:           2
        .value_kind:     hidden_grid_dims
    .group_segment_fixed_size: 0
    .kernarg_segment_align: 8
    .kernarg_segment_size: 336
    .language:       OpenCL C
    .language_version:
      - 2
      - 0
    .max_flat_workgroup_size: 128
    .name:           _ZL33flash_attn_stream_k_fixup_generalILi128ELi1ELi8EEvPfPK15HIP_vector_typeIfLj2EEiiiiS1_IjLj3EES5_S5_S5_
    .private_segment_fixed_size: 0
    .sgpr_count:     34
    .sgpr_spill_count: 0
    .symbol:         _ZL33flash_attn_stream_k_fixup_generalILi128ELi1ELi8EEvPfPK15HIP_vector_typeIfLj2EEiiiiS1_IjLj3EES5_S5_S5_.kd
    .uniform_work_group_size: 1
    .uses_dynamic_stack: false
    .vgpr_count:     19
    .vgpr_spill_count: 0
    .wavefront_size: 32
    .workgroup_processor_mode: 1
  - .args:
      - .address_space:  global
        .offset:         0
        .size:           8
        .value_kind:     global_buffer
      - .address_space:  global
        .offset:         8
        .size:           8
        .value_kind:     global_buffer
      - .address_space:  global
        .offset:         16
        .size:           8
        .value_kind:     global_buffer
      - .address_space:  global
        .offset:         24
        .size:           8
        .value_kind:     global_buffer
      - .address_space:  global
        .offset:         32
        .size:           8
        .value_kind:     global_buffer
      - .address_space:  global
        .offset:         40
        .size:           8
        .value_kind:     global_buffer
      - .address_space:  global
        .offset:         48
        .size:           8
        .value_kind:     global_buffer
      - .address_space:  global
        .offset:         56
        .size:           8
        .value_kind:     global_buffer
      - .offset:         64
        .size:           4
        .value_kind:     by_value
      - .offset:         68
        .size:           4
        .value_kind:     by_value
      - .offset:         72
        .size:           4
        .value_kind:     by_value
      - .offset:         76
        .size:           4
        .value_kind:     by_value
      - .offset:         80
        .size:           4
        .value_kind:     by_value
      - .offset:         84
        .size:           4
        .value_kind:     by_value
      - .offset:         88
        .size:           4
        .value_kind:     by_value
      - .offset:         92
        .size:           12
        .value_kind:     by_value
      - .offset:         104
        .size:           4
        .value_kind:     by_value
      - .offset:         108
        .size:           4
        .value_kind:     by_value
      - .offset:         112
        .size:           4
        .value_kind:     by_value
      - .offset:         116
        .size:           4
        .value_kind:     by_value
      - .offset:         120
        .size:           4
        .value_kind:     by_value
      - .offset:         124
        .size:           4
        .value_kind:     by_value
      - .offset:         128
        .size:           4
        .value_kind:     by_value
      - .offset:         132
        .size:           4
        .value_kind:     by_value
      - .offset:         136
        .size:           4
        .value_kind:     by_value
      - .offset:         140
        .size:           4
        .value_kind:     by_value
      - .offset:         144
        .size:           4
        .value_kind:     by_value
      - .offset:         152
        .size:           8
        .value_kind:     by_value
      - .offset:         160
        .size:           4
        .value_kind:     by_value
      - .offset:         164
        .size:           4
        .value_kind:     by_value
      - .offset:         168
        .size:           8
        .value_kind:     by_value
      - .offset:         176
        .size:           4
        .value_kind:     by_value
      - .offset:         180
        .size:           4
        .value_kind:     by_value
      - .offset:         184
        .size:           4
        .value_kind:     by_value
      - .offset:         188
        .size:           4
        .value_kind:     by_value
      - .offset:         192
        .size:           4
        .value_kind:     by_value
      - .offset:         200
        .size:           8
        .value_kind:     by_value
      - .offset:         208
        .size:           4
        .value_kind:     hidden_block_count_x
      - .offset:         212
        .size:           4
        .value_kind:     hidden_block_count_y
      - .offset:         216
        .size:           4
        .value_kind:     hidden_block_count_z
      - .offset:         220
        .size:           2
        .value_kind:     hidden_group_size_x
      - .offset:         222
        .size:           2
        .value_kind:     hidden_group_size_y
      - .offset:         224
        .size:           2
        .value_kind:     hidden_group_size_z
      - .offset:         226
        .size:           2
        .value_kind:     hidden_remainder_x
      - .offset:         228
        .size:           2
        .value_kind:     hidden_remainder_y
      - .offset:         230
        .size:           2
        .value_kind:     hidden_remainder_z
      - .offset:         248
        .size:           8
        .value_kind:     hidden_global_offset_x
      - .offset:         256
        .size:           8
        .value_kind:     hidden_global_offset_y
      - .offset:         264
        .size:           8
        .value_kind:     hidden_global_offset_z
      - .offset:         272
        .size:           2
        .value_kind:     hidden_grid_dims
    .group_segment_fixed_size: 33792
    .kernarg_segment_align: 8
    .kernarg_segment_size: 464
    .language:       OpenCL C
    .language_version:
      - 2
      - 0
    .max_flat_workgroup_size: 256
    .name:           _ZL15flash_attn_tileILi128ELi128ELi16ELi4ELb0EEvPKcS1_S1_S1_S1_PKiPfP15HIP_vector_typeIfLj2EEffffjfiS5_IjLj3EEiiiiiiiiiiiliiliiiiil
    .private_segment_fixed_size: 0
    .sgpr_count:     76
    .sgpr_spill_count: 0
    .symbol:         _ZL15flash_attn_tileILi128ELi128ELi16ELi4ELb0EEvPKcS1_S1_S1_S1_PKiPfP15HIP_vector_typeIfLj2EEffffjfiS5_IjLj3EEiiiiiiiiiiiliiliiiiil.kd
    .uniform_work_group_size: 1
    .uses_dynamic_stack: false
    .vgpr_count:     238
    .vgpr_spill_count: 0
    .wavefront_size: 32
    .workgroup_processor_mode: 1
  - .args:
      - .actual_access:  read_only
        .address_space:  global
        .offset:         0
        .size:           8
        .value_kind:     global_buffer
      - .actual_access:  write_only
        .address_space:  global
        .offset:         8
        .size:           8
        .value_kind:     global_buffer
      - .offset:         16
        .size:           4
        .value_kind:     by_value
      - .offset:         20
        .size:           4
        .value_kind:     by_value
      - .offset:         24
        .size:           4
        .value_kind:     by_value
      - .offset:         32
        .size:           4
        .value_kind:     hidden_block_count_x
      - .offset:         36
        .size:           4
        .value_kind:     hidden_block_count_y
      - .offset:         40
        .size:           4
        .value_kind:     hidden_block_count_z
      - .offset:         44
        .size:           2
        .value_kind:     hidden_group_size_x
      - .offset:         46
        .size:           2
        .value_kind:     hidden_group_size_y
      - .offset:         48
        .size:           2
        .value_kind:     hidden_group_size_z
      - .offset:         50
        .size:           2
        .value_kind:     hidden_remainder_x
      - .offset:         52
        .size:           2
        .value_kind:     hidden_remainder_y
      - .offset:         54
        .size:           2
        .value_kind:     hidden_remainder_z
      - .offset:         72
        .size:           8
        .value_kind:     hidden_global_offset_x
      - .offset:         80
        .size:           8
        .value_kind:     hidden_global_offset_y
      - .offset:         88
        .size:           8
        .value_kind:     hidden_global_offset_z
      - .offset:         96
        .size:           2
        .value_kind:     hidden_grid_dims
    .group_segment_fixed_size: 128
    .kernarg_segment_align: 8
    .kernarg_segment_size: 288
    .language:       OpenCL C
    .language_version:
      - 2
      - 0
    .max_flat_workgroup_size: 128
    .name:           _ZL25flash_attn_mask_to_KV_maxILi16EEvPK7__half2Piiii
    .private_segment_fixed_size: 0
    .sgpr_count:     46
    .sgpr_spill_count: 0
    .symbol:         _ZL25flash_attn_mask_to_KV_maxILi16EEvPK7__half2Piiii.kd
    .uniform_work_group_size: 1
    .uses_dynamic_stack: false
    .vgpr_count:     9
    .vgpr_spill_count: 0
    .wavefront_size: 32
    .workgroup_processor_mode: 1
  - .args:
      - .address_space:  global
        .offset:         0
        .size:           8
        .value_kind:     global_buffer
      - .address_space:  global
        .offset:         8
        .size:           8
        .value_kind:     global_buffer
      - .offset:         16
        .size:           4
        .value_kind:     by_value
      - .offset:         20
        .size:           4
        .value_kind:     by_value
      - .offset:         24
        .size:           4
        .value_kind:     by_value
      - .offset:         28
        .size:           4
        .value_kind:     by_value
      - .offset:         32
        .size:           4
        .value_kind:     by_value
      - .offset:         36
        .size:           4
        .value_kind:     by_value
      - .offset:         40
        .size:           12
        .value_kind:     by_value
      - .offset:         52
        .size:           12
        .value_kind:     by_value
      - .offset:         64
        .size:           12
        .value_kind:     by_value
    .group_segment_fixed_size: 0
    .kernarg_segment_align: 8
    .kernarg_segment_size: 76
    .language:       OpenCL C
    .language_version:
      - 2
      - 0
    .max_flat_workgroup_size: 128
    .name:           _ZL33flash_attn_stream_k_fixup_uniformILi128ELi16ELi4EEvPfPK15HIP_vector_typeIfLj2EEiiiiiiS1_IjLj3EES5_S5_
    .private_segment_fixed_size: 0
    .sgpr_count:     22
    .sgpr_spill_count: 0
    .symbol:         _ZL33flash_attn_stream_k_fixup_uniformILi128ELi16ELi4EEvPfPK15HIP_vector_typeIfLj2EEiiiiiiS1_IjLj3EES5_S5_.kd
    .uniform_work_group_size: 1
    .uses_dynamic_stack: false
    .vgpr_count:     15
    .vgpr_spill_count: 0
    .wavefront_size: 32
    .workgroup_processor_mode: 1
  - .args:
      - .address_space:  global
        .offset:         0
        .size:           8
        .value_kind:     global_buffer
      - .address_space:  global
        .offset:         8
        .size:           8
        .value_kind:     global_buffer
      - .offset:         16
        .size:           4
        .value_kind:     by_value
      - .offset:         20
        .size:           4
        .value_kind:     by_value
      - .offset:         24
        .size:           4
        .value_kind:     by_value
      - .offset:         28
        .size:           4
        .value_kind:     by_value
      - .offset:         32
        .size:           12
        .value_kind:     by_value
      - .offset:         44
        .size:           12
        .value_kind:     by_value
      - .offset:         56
        .size:           12
        .value_kind:     by_value
      - .offset:         68
        .size:           12
        .value_kind:     by_value
      - .offset:         80
        .size:           4
        .value_kind:     hidden_block_count_x
      - .offset:         84
        .size:           4
        .value_kind:     hidden_block_count_y
      - .offset:         88
        .size:           4
        .value_kind:     hidden_block_count_z
      - .offset:         92
        .size:           2
        .value_kind:     hidden_group_size_x
      - .offset:         94
        .size:           2
        .value_kind:     hidden_group_size_y
      - .offset:         96
        .size:           2
        .value_kind:     hidden_group_size_z
      - .offset:         98
        .size:           2
        .value_kind:     hidden_remainder_x
      - .offset:         100
        .size:           2
        .value_kind:     hidden_remainder_y
      - .offset:         102
        .size:           2
        .value_kind:     hidden_remainder_z
      - .offset:         120
        .size:           8
        .value_kind:     hidden_global_offset_x
      - .offset:         128
        .size:           8
        .value_kind:     hidden_global_offset_y
      - .offset:         136
        .size:           8
        .value_kind:     hidden_global_offset_z
      - .offset:         144
        .size:           2
        .value_kind:     hidden_grid_dims
    .group_segment_fixed_size: 0
    .kernarg_segment_align: 8
    .kernarg_segment_size: 336
    .language:       OpenCL C
    .language_version:
      - 2
      - 0
    .max_flat_workgroup_size: 128
    .name:           _ZL33flash_attn_stream_k_fixup_generalILi128ELi16ELi4EEvPfPK15HIP_vector_typeIfLj2EEiiiiS1_IjLj3EES5_S5_S5_
    .private_segment_fixed_size: 0
    .sgpr_count:     34
    .sgpr_spill_count: 0
    .symbol:         _ZL33flash_attn_stream_k_fixup_generalILi128ELi16ELi4EEvPfPK15HIP_vector_typeIfLj2EEiiiiS1_IjLj3EES5_S5_S5_.kd
    .uniform_work_group_size: 1
    .uses_dynamic_stack: false
    .vgpr_count:     19
    .vgpr_spill_count: 0
    .wavefront_size: 32
    .workgroup_processor_mode: 1
  - .args:
      - .address_space:  global
        .offset:         0
        .size:           8
        .value_kind:     global_buffer
      - .address_space:  global
        .offset:         8
        .size:           8
        .value_kind:     global_buffer
      - .address_space:  global
        .offset:         16
        .size:           8
        .value_kind:     global_buffer
      - .address_space:  global
        .offset:         24
        .size:           8
        .value_kind:     global_buffer
      - .address_space:  global
        .offset:         32
        .size:           8
        .value_kind:     global_buffer
      - .address_space:  global
        .offset:         40
        .size:           8
        .value_kind:     global_buffer
      - .address_space:  global
        .offset:         48
        .size:           8
        .value_kind:     global_buffer
      - .address_space:  global
        .offset:         56
        .size:           8
        .value_kind:     global_buffer
      - .offset:         64
        .size:           4
        .value_kind:     by_value
      - .offset:         68
        .size:           4
        .value_kind:     by_value
      - .offset:         72
        .size:           4
        .value_kind:     by_value
      - .offset:         76
        .size:           4
        .value_kind:     by_value
      - .offset:         80
        .size:           4
        .value_kind:     by_value
      - .offset:         84
        .size:           4
        .value_kind:     by_value
      - .offset:         88
        .size:           4
        .value_kind:     by_value
      - .offset:         92
        .size:           12
        .value_kind:     by_value
      - .offset:         104
        .size:           4
        .value_kind:     by_value
      - .offset:         108
        .size:           4
        .value_kind:     by_value
      - .offset:         112
        .size:           4
        .value_kind:     by_value
      - .offset:         116
        .size:           4
        .value_kind:     by_value
      - .offset:         120
        .size:           4
        .value_kind:     by_value
      - .offset:         124
        .size:           4
        .value_kind:     by_value
      - .offset:         128
        .size:           4
        .value_kind:     by_value
      - .offset:         132
        .size:           4
        .value_kind:     by_value
      - .offset:         136
        .size:           4
        .value_kind:     by_value
      - .offset:         140
        .size:           4
        .value_kind:     by_value
      - .offset:         144
        .size:           4
        .value_kind:     by_value
      - .offset:         152
        .size:           8
        .value_kind:     by_value
      - .offset:         160
        .size:           4
        .value_kind:     by_value
      - .offset:         164
        .size:           4
        .value_kind:     by_value
      - .offset:         168
        .size:           8
        .value_kind:     by_value
      - .offset:         176
        .size:           4
        .value_kind:     by_value
      - .offset:         180
        .size:           4
        .value_kind:     by_value
      - .offset:         184
        .size:           4
        .value_kind:     by_value
      - .offset:         188
        .size:           4
        .value_kind:     by_value
      - .offset:         192
        .size:           4
        .value_kind:     by_value
      - .offset:         200
        .size:           8
        .value_kind:     by_value
      - .offset:         208
        .size:           4
        .value_kind:     hidden_block_count_x
      - .offset:         212
        .size:           4
        .value_kind:     hidden_block_count_y
      - .offset:         216
        .size:           4
        .value_kind:     hidden_block_count_z
      - .offset:         220
        .size:           2
        .value_kind:     hidden_group_size_x
      - .offset:         222
        .size:           2
        .value_kind:     hidden_group_size_y
      - .offset:         224
        .size:           2
        .value_kind:     hidden_group_size_z
      - .offset:         226
        .size:           2
        .value_kind:     hidden_remainder_x
      - .offset:         228
        .size:           2
        .value_kind:     hidden_remainder_y
      - .offset:         230
        .size:           2
        .value_kind:     hidden_remainder_z
      - .offset:         248
        .size:           8
        .value_kind:     hidden_global_offset_x
      - .offset:         256
        .size:           8
        .value_kind:     hidden_global_offset_y
      - .offset:         264
        .size:           8
        .value_kind:     hidden_global_offset_z
      - .offset:         272
        .size:           2
        .value_kind:     hidden_grid_dims
    .group_segment_fixed_size: 34816
    .kernarg_segment_align: 8
    .kernarg_segment_size: 464
    .language:       OpenCL C
    .language_version:
      - 2
      - 0
    .max_flat_workgroup_size: 256
    .name:           _ZL15flash_attn_tileILi128ELi128ELi8ELi4ELb0EEvPKcS1_S1_S1_S1_PKiPfP15HIP_vector_typeIfLj2EEffffjfiS5_IjLj3EEiiiiiiiiiiiliiliiiiil
    .private_segment_fixed_size: 0
    .sgpr_count:     67
    .sgpr_spill_count: 0
    .symbol:         _ZL15flash_attn_tileILi128ELi128ELi8ELi4ELb0EEvPKcS1_S1_S1_S1_PKiPfP15HIP_vector_typeIfLj2EEffffjfiS5_IjLj3EEiiiiiiiiiiiliiliiiiil.kd
    .uniform_work_group_size: 1
    .uses_dynamic_stack: false
    .vgpr_count:     242
    .vgpr_spill_count: 0
    .wavefront_size: 32
    .workgroup_processor_mode: 1
  - .args:
      - .address_space:  global
        .offset:         0
        .size:           8
        .value_kind:     global_buffer
      - .address_space:  global
        .offset:         8
        .size:           8
        .value_kind:     global_buffer
      - .offset:         16
        .size:           4
        .value_kind:     by_value
      - .offset:         20
        .size:           4
        .value_kind:     by_value
      - .offset:         24
        .size:           4
        .value_kind:     by_value
      - .offset:         28
        .size:           4
        .value_kind:     by_value
      - .offset:         32
        .size:           4
        .value_kind:     by_value
      - .offset:         36
        .size:           4
        .value_kind:     by_value
      - .offset:         40
        .size:           12
        .value_kind:     by_value
      - .offset:         52
        .size:           12
        .value_kind:     by_value
      - .offset:         64
        .size:           12
        .value_kind:     by_value
    .group_segment_fixed_size: 0
    .kernarg_segment_align: 8
    .kernarg_segment_size: 76
    .language:       OpenCL C
    .language_version:
      - 2
      - 0
    .max_flat_workgroup_size: 128
    .name:           _ZL33flash_attn_stream_k_fixup_uniformILi128ELi8ELi4EEvPfPK15HIP_vector_typeIfLj2EEiiiiiiS1_IjLj3EES5_S5_
    .private_segment_fixed_size: 0
    .sgpr_count:     22
    .sgpr_spill_count: 0
    .symbol:         _ZL33flash_attn_stream_k_fixup_uniformILi128ELi8ELi4EEvPfPK15HIP_vector_typeIfLj2EEiiiiiiS1_IjLj3EES5_S5_.kd
    .uniform_work_group_size: 1
    .uses_dynamic_stack: false
    .vgpr_count:     15
    .vgpr_spill_count: 0
    .wavefront_size: 32
    .workgroup_processor_mode: 1
  - .args:
      - .address_space:  global
        .offset:         0
        .size:           8
        .value_kind:     global_buffer
      - .address_space:  global
        .offset:         8
        .size:           8
        .value_kind:     global_buffer
      - .offset:         16
        .size:           4
        .value_kind:     by_value
      - .offset:         20
        .size:           4
        .value_kind:     by_value
      - .offset:         24
        .size:           4
        .value_kind:     by_value
      - .offset:         28
        .size:           4
        .value_kind:     by_value
      - .offset:         32
        .size:           12
        .value_kind:     by_value
      - .offset:         44
        .size:           12
        .value_kind:     by_value
      - .offset:         56
        .size:           12
        .value_kind:     by_value
      - .offset:         68
        .size:           12
        .value_kind:     by_value
      - .offset:         80
        .size:           4
        .value_kind:     hidden_block_count_x
      - .offset:         84
        .size:           4
        .value_kind:     hidden_block_count_y
      - .offset:         88
        .size:           4
        .value_kind:     hidden_block_count_z
      - .offset:         92
        .size:           2
        .value_kind:     hidden_group_size_x
      - .offset:         94
        .size:           2
        .value_kind:     hidden_group_size_y
      - .offset:         96
        .size:           2
        .value_kind:     hidden_group_size_z
      - .offset:         98
        .size:           2
        .value_kind:     hidden_remainder_x
      - .offset:         100
        .size:           2
        .value_kind:     hidden_remainder_y
      - .offset:         102
        .size:           2
        .value_kind:     hidden_remainder_z
      - .offset:         120
        .size:           8
        .value_kind:     hidden_global_offset_x
      - .offset:         128
        .size:           8
        .value_kind:     hidden_global_offset_y
      - .offset:         136
        .size:           8
        .value_kind:     hidden_global_offset_z
      - .offset:         144
        .size:           2
        .value_kind:     hidden_grid_dims
    .group_segment_fixed_size: 0
    .kernarg_segment_align: 8
    .kernarg_segment_size: 336
    .language:       OpenCL C
    .language_version:
      - 2
      - 0
    .max_flat_workgroup_size: 128
    .name:           _ZL33flash_attn_stream_k_fixup_generalILi128ELi8ELi4EEvPfPK15HIP_vector_typeIfLj2EEiiiiS1_IjLj3EES5_S5_S5_
    .private_segment_fixed_size: 0
    .sgpr_count:     34
    .sgpr_spill_count: 0
    .symbol:         _ZL33flash_attn_stream_k_fixup_generalILi128ELi8ELi4EEvPfPK15HIP_vector_typeIfLj2EEiiiiS1_IjLj3EES5_S5_S5_.kd
    .uniform_work_group_size: 1
    .uses_dynamic_stack: false
    .vgpr_count:     19
    .vgpr_spill_count: 0
    .wavefront_size: 32
    .workgroup_processor_mode: 1
  - .args:
      - .address_space:  global
        .offset:         0
        .size:           8
        .value_kind:     global_buffer
      - .address_space:  global
        .offset:         8
        .size:           8
        .value_kind:     global_buffer
      - .address_space:  global
        .offset:         16
        .size:           8
        .value_kind:     global_buffer
      - .address_space:  global
        .offset:         24
        .size:           8
        .value_kind:     global_buffer
      - .address_space:  global
        .offset:         32
        .size:           8
        .value_kind:     global_buffer
      - .address_space:  global
        .offset:         40
        .size:           8
        .value_kind:     global_buffer
      - .address_space:  global
        .offset:         48
        .size:           8
        .value_kind:     global_buffer
      - .address_space:  global
        .offset:         56
        .size:           8
        .value_kind:     global_buffer
      - .offset:         64
        .size:           4
        .value_kind:     by_value
      - .offset:         68
        .size:           4
        .value_kind:     by_value
      - .offset:         72
        .size:           4
        .value_kind:     by_value
      - .offset:         76
        .size:           4
        .value_kind:     by_value
      - .offset:         80
        .size:           4
        .value_kind:     by_value
      - .offset:         84
        .size:           4
        .value_kind:     by_value
      - .offset:         88
        .size:           4
        .value_kind:     by_value
      - .offset:         92
        .size:           12
        .value_kind:     by_value
      - .offset:         104
        .size:           4
        .value_kind:     by_value
      - .offset:         108
        .size:           4
        .value_kind:     by_value
      - .offset:         112
        .size:           4
        .value_kind:     by_value
      - .offset:         116
        .size:           4
        .value_kind:     by_value
      - .offset:         120
        .size:           4
        .value_kind:     by_value
      - .offset:         124
        .size:           4
        .value_kind:     by_value
      - .offset:         128
        .size:           4
        .value_kind:     by_value
      - .offset:         132
        .size:           4
        .value_kind:     by_value
      - .offset:         136
        .size:           4
        .value_kind:     by_value
      - .offset:         140
        .size:           4
        .value_kind:     by_value
      - .offset:         144
        .size:           4
        .value_kind:     by_value
      - .offset:         152
        .size:           8
        .value_kind:     by_value
      - .offset:         160
        .size:           4
        .value_kind:     by_value
      - .offset:         164
        .size:           4
        .value_kind:     by_value
      - .offset:         168
        .size:           8
        .value_kind:     by_value
      - .offset:         176
        .size:           4
        .value_kind:     by_value
      - .offset:         180
        .size:           4
        .value_kind:     by_value
      - .offset:         184
        .size:           4
        .value_kind:     by_value
      - .offset:         188
        .size:           4
        .value_kind:     by_value
      - .offset:         192
        .size:           4
        .value_kind:     by_value
      - .offset:         200
        .size:           8
        .value_kind:     by_value
      - .offset:         208
        .size:           4
        .value_kind:     hidden_block_count_x
      - .offset:         212
        .size:           4
        .value_kind:     hidden_block_count_y
      - .offset:         216
        .size:           4
        .value_kind:     hidden_block_count_z
      - .offset:         220
        .size:           2
        .value_kind:     hidden_group_size_x
      - .offset:         222
        .size:           2
        .value_kind:     hidden_group_size_y
      - .offset:         224
        .size:           2
        .value_kind:     hidden_group_size_z
      - .offset:         226
        .size:           2
        .value_kind:     hidden_remainder_x
      - .offset:         228
        .size:           2
        .value_kind:     hidden_remainder_y
      - .offset:         230
        .size:           2
        .value_kind:     hidden_remainder_z
      - .offset:         248
        .size:           8
        .value_kind:     hidden_global_offset_x
      - .offset:         256
        .size:           8
        .value_kind:     hidden_global_offset_y
      - .offset:         264
        .size:           8
        .value_kind:     hidden_global_offset_z
      - .offset:         272
        .size:           2
        .value_kind:     hidden_grid_dims
    .group_segment_fixed_size: 43008
    .kernarg_segment_align: 8
    .kernarg_segment_size: 464
    .language:       OpenCL C
    .language_version:
      - 2
      - 0
    .max_flat_workgroup_size: 256
    .name:           _ZL15flash_attn_tileILi128ELi128ELi4ELi4ELb0EEvPKcS1_S1_S1_S1_PKiPfP15HIP_vector_typeIfLj2EEffffjfiS5_IjLj3EEiiiiiiiiiiiliiliiiiil
    .private_segment_fixed_size: 0
    .sgpr_count:     44
    .sgpr_spill_count: 0
    .symbol:         _ZL15flash_attn_tileILi128ELi128ELi4ELi4ELb0EEvPKcS1_S1_S1_S1_PKiPfP15HIP_vector_typeIfLj2EEffffjfiS5_IjLj3EEiiiiiiiiiiiliiliiiiil.kd
    .uniform_work_group_size: 1
    .uses_dynamic_stack: false
    .vgpr_count:     161
    .vgpr_spill_count: 0
    .wavefront_size: 32
    .workgroup_processor_mode: 1
  - .args:
      - .address_space:  global
        .offset:         0
        .size:           8
        .value_kind:     global_buffer
      - .address_space:  global
        .offset:         8
        .size:           8
        .value_kind:     global_buffer
      - .offset:         16
        .size:           4
        .value_kind:     by_value
      - .offset:         20
        .size:           4
        .value_kind:     by_value
      - .offset:         24
        .size:           4
        .value_kind:     by_value
      - .offset:         28
        .size:           4
        .value_kind:     by_value
      - .offset:         32
        .size:           4
        .value_kind:     by_value
      - .offset:         36
        .size:           4
        .value_kind:     by_value
      - .offset:         40
        .size:           12
        .value_kind:     by_value
      - .offset:         52
        .size:           12
        .value_kind:     by_value
      - .offset:         64
        .size:           12
        .value_kind:     by_value
    .group_segment_fixed_size: 0
    .kernarg_segment_align: 8
    .kernarg_segment_size: 76
    .language:       OpenCL C
    .language_version:
      - 2
      - 0
    .max_flat_workgroup_size: 128
    .name:           _ZL33flash_attn_stream_k_fixup_uniformILi128ELi4ELi4EEvPfPK15HIP_vector_typeIfLj2EEiiiiiiS1_IjLj3EES5_S5_
    .private_segment_fixed_size: 0
    .sgpr_count:     22
    .sgpr_spill_count: 0
    .symbol:         _ZL33flash_attn_stream_k_fixup_uniformILi128ELi4ELi4EEvPfPK15HIP_vector_typeIfLj2EEiiiiiiS1_IjLj3EES5_S5_.kd
    .uniform_work_group_size: 1
    .uses_dynamic_stack: false
    .vgpr_count:     15
    .vgpr_spill_count: 0
    .wavefront_size: 32
    .workgroup_processor_mode: 1
  - .args:
      - .address_space:  global
        .offset:         0
        .size:           8
        .value_kind:     global_buffer
      - .address_space:  global
        .offset:         8
        .size:           8
        .value_kind:     global_buffer
      - .offset:         16
        .size:           4
        .value_kind:     by_value
      - .offset:         20
        .size:           4
        .value_kind:     by_value
      - .offset:         24
        .size:           4
        .value_kind:     by_value
      - .offset:         28
        .size:           4
        .value_kind:     by_value
      - .offset:         32
        .size:           12
        .value_kind:     by_value
      - .offset:         44
        .size:           12
        .value_kind:     by_value
      - .offset:         56
        .size:           12
        .value_kind:     by_value
      - .offset:         68
        .size:           12
        .value_kind:     by_value
      - .offset:         80
        .size:           4
        .value_kind:     hidden_block_count_x
      - .offset:         84
        .size:           4
        .value_kind:     hidden_block_count_y
      - .offset:         88
        .size:           4
        .value_kind:     hidden_block_count_z
      - .offset:         92
        .size:           2
        .value_kind:     hidden_group_size_x
      - .offset:         94
        .size:           2
        .value_kind:     hidden_group_size_y
      - .offset:         96
        .size:           2
        .value_kind:     hidden_group_size_z
      - .offset:         98
        .size:           2
        .value_kind:     hidden_remainder_x
      - .offset:         100
        .size:           2
        .value_kind:     hidden_remainder_y
      - .offset:         102
        .size:           2
        .value_kind:     hidden_remainder_z
      - .offset:         120
        .size:           8
        .value_kind:     hidden_global_offset_x
      - .offset:         128
        .size:           8
        .value_kind:     hidden_global_offset_y
      - .offset:         136
        .size:           8
        .value_kind:     hidden_global_offset_z
      - .offset:         144
        .size:           2
        .value_kind:     hidden_grid_dims
    .group_segment_fixed_size: 0
    .kernarg_segment_align: 8
    .kernarg_segment_size: 336
    .language:       OpenCL C
    .language_version:
      - 2
      - 0
    .max_flat_workgroup_size: 128
    .name:           _ZL33flash_attn_stream_k_fixup_generalILi128ELi4ELi4EEvPfPK15HIP_vector_typeIfLj2EEiiiiS1_IjLj3EES5_S5_S5_
    .private_segment_fixed_size: 0
    .sgpr_count:     34
    .sgpr_spill_count: 0
    .symbol:         _ZL33flash_attn_stream_k_fixup_generalILi128ELi4ELi4EEvPfPK15HIP_vector_typeIfLj2EEiiiiS1_IjLj3EES5_S5_S5_.kd
    .uniform_work_group_size: 1
    .uses_dynamic_stack: false
    .vgpr_count:     19
    .vgpr_spill_count: 0
    .wavefront_size: 32
    .workgroup_processor_mode: 1
  - .args:
      - .address_space:  global
        .offset:         0
        .size:           8
        .value_kind:     global_buffer
      - .address_space:  global
        .offset:         8
        .size:           8
        .value_kind:     global_buffer
      - .address_space:  global
        .offset:         16
        .size:           8
        .value_kind:     global_buffer
      - .address_space:  global
        .offset:         24
        .size:           8
        .value_kind:     global_buffer
      - .address_space:  global
        .offset:         32
        .size:           8
        .value_kind:     global_buffer
      - .address_space:  global
        .offset:         40
        .size:           8
        .value_kind:     global_buffer
      - .address_space:  global
        .offset:         48
        .size:           8
        .value_kind:     global_buffer
      - .address_space:  global
        .offset:         56
        .size:           8
        .value_kind:     global_buffer
      - .offset:         64
        .size:           4
        .value_kind:     by_value
      - .offset:         68
        .size:           4
        .value_kind:     by_value
      - .offset:         72
        .size:           4
        .value_kind:     by_value
      - .offset:         76
        .size:           4
        .value_kind:     by_value
      - .offset:         80
        .size:           4
        .value_kind:     by_value
      - .offset:         84
        .size:           4
        .value_kind:     by_value
      - .offset:         88
        .size:           4
        .value_kind:     by_value
      - .offset:         92
        .size:           12
        .value_kind:     by_value
      - .offset:         104
        .size:           4
        .value_kind:     by_value
      - .offset:         108
        .size:           4
        .value_kind:     by_value
      - .offset:         112
        .size:           4
        .value_kind:     by_value
      - .offset:         116
        .size:           4
        .value_kind:     by_value
      - .offset:         120
        .size:           4
        .value_kind:     by_value
      - .offset:         124
        .size:           4
        .value_kind:     by_value
      - .offset:         128
        .size:           4
        .value_kind:     by_value
      - .offset:         132
        .size:           4
        .value_kind:     by_value
      - .offset:         136
        .size:           4
        .value_kind:     by_value
      - .offset:         140
        .size:           4
        .value_kind:     by_value
      - .offset:         144
        .size:           4
        .value_kind:     by_value
      - .offset:         152
        .size:           8
        .value_kind:     by_value
      - .offset:         160
        .size:           4
        .value_kind:     by_value
      - .offset:         164
        .size:           4
        .value_kind:     by_value
      - .offset:         168
        .size:           8
        .value_kind:     by_value
      - .offset:         176
        .size:           4
        .value_kind:     by_value
      - .offset:         180
        .size:           4
        .value_kind:     by_value
      - .offset:         184
        .size:           4
        .value_kind:     by_value
      - .offset:         188
        .size:           4
        .value_kind:     by_value
      - .offset:         192
        .size:           4
        .value_kind:     by_value
      - .offset:         200
        .size:           8
        .value_kind:     by_value
      - .offset:         208
        .size:           4
        .value_kind:     hidden_block_count_x
      - .offset:         212
        .size:           4
        .value_kind:     hidden_block_count_y
      - .offset:         216
        .size:           4
        .value_kind:     hidden_block_count_z
      - .offset:         220
        .size:           2
        .value_kind:     hidden_group_size_x
      - .offset:         222
        .size:           2
        .value_kind:     hidden_group_size_y
      - .offset:         224
        .size:           2
        .value_kind:     hidden_group_size_z
      - .offset:         226
        .size:           2
        .value_kind:     hidden_remainder_x
      - .offset:         228
        .size:           2
        .value_kind:     hidden_remainder_y
      - .offset:         230
        .size:           2
        .value_kind:     hidden_remainder_z
      - .offset:         248
        .size:           8
        .value_kind:     hidden_global_offset_x
      - .offset:         256
        .size:           8
        .value_kind:     hidden_global_offset_y
      - .offset:         264
        .size:           8
        .value_kind:     hidden_global_offset_z
      - .offset:         272
        .size:           2
        .value_kind:     hidden_grid_dims
    .group_segment_fixed_size: 12288
    .kernarg_segment_align: 8
    .kernarg_segment_size: 464
    .language:       OpenCL C
    .language_version:
      - 2
      - 0
    .max_flat_workgroup_size: 128
    .name:           _ZL15flash_attn_tileILi128ELi128ELi2ELi4ELb0EEvPKcS1_S1_S1_S1_PKiPfP15HIP_vector_typeIfLj2EEffffjfiS5_IjLj3EEiiiiiiiiiiiliiliiiiil
    .private_segment_fixed_size: 0
    .sgpr_count:     44
    .sgpr_spill_count: 0
    .symbol:         _ZL15flash_attn_tileILi128ELi128ELi2ELi4ELb0EEvPKcS1_S1_S1_S1_PKiPfP15HIP_vector_typeIfLj2EEffffjfiS5_IjLj3EEiiiiiiiiiiiliiliiiiil.kd
    .uniform_work_group_size: 1
    .uses_dynamic_stack: false
    .vgpr_count:     140
    .vgpr_spill_count: 0
    .wavefront_size: 32
    .workgroup_processor_mode: 1
  - .args:
      - .address_space:  global
        .offset:         0
        .size:           8
        .value_kind:     global_buffer
      - .address_space:  global
        .offset:         8
        .size:           8
        .value_kind:     global_buffer
      - .offset:         16
        .size:           4
        .value_kind:     by_value
      - .offset:         20
        .size:           4
        .value_kind:     by_value
      - .offset:         24
        .size:           4
        .value_kind:     by_value
      - .offset:         28
        .size:           4
        .value_kind:     by_value
      - .offset:         32
        .size:           4
        .value_kind:     by_value
      - .offset:         36
        .size:           4
        .value_kind:     by_value
      - .offset:         40
        .size:           12
        .value_kind:     by_value
      - .offset:         52
        .size:           12
        .value_kind:     by_value
      - .offset:         64
        .size:           12
        .value_kind:     by_value
    .group_segment_fixed_size: 0
    .kernarg_segment_align: 8
    .kernarg_segment_size: 76
    .language:       OpenCL C
    .language_version:
      - 2
      - 0
    .max_flat_workgroup_size: 128
    .name:           _ZL33flash_attn_stream_k_fixup_uniformILi128ELi2ELi4EEvPfPK15HIP_vector_typeIfLj2EEiiiiiiS1_IjLj3EES5_S5_
    .private_segment_fixed_size: 0
    .sgpr_count:     22
    .sgpr_spill_count: 0
    .symbol:         _ZL33flash_attn_stream_k_fixup_uniformILi128ELi2ELi4EEvPfPK15HIP_vector_typeIfLj2EEiiiiiiS1_IjLj3EES5_S5_.kd
    .uniform_work_group_size: 1
    .uses_dynamic_stack: false
    .vgpr_count:     15
    .vgpr_spill_count: 0
    .wavefront_size: 32
    .workgroup_processor_mode: 1
  - .args:
      - .address_space:  global
        .offset:         0
        .size:           8
        .value_kind:     global_buffer
      - .address_space:  global
        .offset:         8
        .size:           8
        .value_kind:     global_buffer
      - .offset:         16
        .size:           4
        .value_kind:     by_value
      - .offset:         20
        .size:           4
        .value_kind:     by_value
      - .offset:         24
        .size:           4
        .value_kind:     by_value
      - .offset:         28
        .size:           4
        .value_kind:     by_value
      - .offset:         32
        .size:           12
        .value_kind:     by_value
      - .offset:         44
        .size:           12
        .value_kind:     by_value
      - .offset:         56
        .size:           12
        .value_kind:     by_value
      - .offset:         68
        .size:           12
        .value_kind:     by_value
      - .offset:         80
        .size:           4
        .value_kind:     hidden_block_count_x
      - .offset:         84
        .size:           4
        .value_kind:     hidden_block_count_y
      - .offset:         88
        .size:           4
        .value_kind:     hidden_block_count_z
      - .offset:         92
        .size:           2
        .value_kind:     hidden_group_size_x
      - .offset:         94
        .size:           2
        .value_kind:     hidden_group_size_y
      - .offset:         96
        .size:           2
        .value_kind:     hidden_group_size_z
      - .offset:         98
        .size:           2
        .value_kind:     hidden_remainder_x
      - .offset:         100
        .size:           2
        .value_kind:     hidden_remainder_y
      - .offset:         102
        .size:           2
        .value_kind:     hidden_remainder_z
      - .offset:         120
        .size:           8
        .value_kind:     hidden_global_offset_x
      - .offset:         128
        .size:           8
        .value_kind:     hidden_global_offset_y
      - .offset:         136
        .size:           8
        .value_kind:     hidden_global_offset_z
      - .offset:         144
        .size:           2
        .value_kind:     hidden_grid_dims
    .group_segment_fixed_size: 0
    .kernarg_segment_align: 8
    .kernarg_segment_size: 336
    .language:       OpenCL C
    .language_version:
      - 2
      - 0
    .max_flat_workgroup_size: 128
    .name:           _ZL33flash_attn_stream_k_fixup_generalILi128ELi2ELi4EEvPfPK15HIP_vector_typeIfLj2EEiiiiS1_IjLj3EES5_S5_S5_
    .private_segment_fixed_size: 0
    .sgpr_count:     34
    .sgpr_spill_count: 0
    .symbol:         _ZL33flash_attn_stream_k_fixup_generalILi128ELi2ELi4EEvPfPK15HIP_vector_typeIfLj2EEiiiiS1_IjLj3EES5_S5_S5_.kd
    .uniform_work_group_size: 1
    .uses_dynamic_stack: false
    .vgpr_count:     19
    .vgpr_spill_count: 0
    .wavefront_size: 32
    .workgroup_processor_mode: 1
  - .args:
      - .address_space:  global
        .offset:         0
        .size:           8
        .value_kind:     global_buffer
      - .address_space:  global
        .offset:         8
        .size:           8
        .value_kind:     global_buffer
      - .address_space:  global
        .offset:         16
        .size:           8
        .value_kind:     global_buffer
      - .address_space:  global
        .offset:         24
        .size:           8
        .value_kind:     global_buffer
      - .address_space:  global
        .offset:         32
        .size:           8
        .value_kind:     global_buffer
      - .address_space:  global
        .offset:         40
        .size:           8
        .value_kind:     global_buffer
      - .address_space:  global
        .offset:         48
        .size:           8
        .value_kind:     global_buffer
      - .address_space:  global
        .offset:         56
        .size:           8
        .value_kind:     global_buffer
      - .offset:         64
        .size:           4
        .value_kind:     by_value
      - .offset:         68
        .size:           4
        .value_kind:     by_value
      - .offset:         72
        .size:           4
        .value_kind:     by_value
      - .offset:         76
        .size:           4
        .value_kind:     by_value
      - .offset:         80
        .size:           4
        .value_kind:     by_value
      - .offset:         84
        .size:           4
        .value_kind:     by_value
      - .offset:         88
        .size:           4
        .value_kind:     by_value
      - .offset:         92
        .size:           12
        .value_kind:     by_value
      - .offset:         104
        .size:           4
        .value_kind:     by_value
      - .offset:         108
        .size:           4
        .value_kind:     by_value
      - .offset:         112
        .size:           4
        .value_kind:     by_value
      - .offset:         116
        .size:           4
        .value_kind:     by_value
      - .offset:         120
        .size:           4
        .value_kind:     by_value
      - .offset:         124
        .size:           4
        .value_kind:     by_value
      - .offset:         128
        .size:           4
        .value_kind:     by_value
      - .offset:         132
        .size:           4
        .value_kind:     by_value
      - .offset:         136
        .size:           4
        .value_kind:     by_value
      - .offset:         140
        .size:           4
        .value_kind:     by_value
      - .offset:         144
        .size:           4
        .value_kind:     by_value
      - .offset:         152
        .size:           8
        .value_kind:     by_value
      - .offset:         160
        .size:           4
        .value_kind:     by_value
      - .offset:         164
        .size:           4
        .value_kind:     by_value
      - .offset:         168
        .size:           8
        .value_kind:     by_value
      - .offset:         176
        .size:           4
        .value_kind:     by_value
      - .offset:         180
        .size:           4
        .value_kind:     by_value
      - .offset:         184
        .size:           4
        .value_kind:     by_value
      - .offset:         188
        .size:           4
        .value_kind:     by_value
      - .offset:         192
        .size:           4
        .value_kind:     by_value
      - .offset:         200
        .size:           8
        .value_kind:     by_value
      - .offset:         208
        .size:           4
        .value_kind:     hidden_block_count_x
      - .offset:         212
        .size:           4
        .value_kind:     hidden_block_count_y
      - .offset:         216
        .size:           4
        .value_kind:     hidden_block_count_z
      - .offset:         220
        .size:           2
        .value_kind:     hidden_group_size_x
      - .offset:         222
        .size:           2
        .value_kind:     hidden_group_size_y
      - .offset:         224
        .size:           2
        .value_kind:     hidden_group_size_z
      - .offset:         226
        .size:           2
        .value_kind:     hidden_remainder_x
      - .offset:         228
        .size:           2
        .value_kind:     hidden_remainder_y
      - .offset:         230
        .size:           2
        .value_kind:     hidden_remainder_z
      - .offset:         248
        .size:           8
        .value_kind:     hidden_global_offset_x
      - .offset:         256
        .size:           8
        .value_kind:     hidden_global_offset_y
      - .offset:         264
        .size:           8
        .value_kind:     hidden_global_offset_z
      - .offset:         272
        .size:           2
        .value_kind:     hidden_grid_dims
    .group_segment_fixed_size: 10752
    .kernarg_segment_align: 8
    .kernarg_segment_size: 464
    .language:       OpenCL C
    .language_version:
      - 2
      - 0
    .max_flat_workgroup_size: 128
    .name:           _ZL15flash_attn_tileILi128ELi128ELi1ELi4ELb0EEvPKcS1_S1_S1_S1_PKiPfP15HIP_vector_typeIfLj2EEffffjfiS5_IjLj3EEiiiiiiiiiiiliiliiiiil
    .private_segment_fixed_size: 0
    .sgpr_count:     42
    .sgpr_spill_count: 0
    .symbol:         _ZL15flash_attn_tileILi128ELi128ELi1ELi4ELb0EEvPKcS1_S1_S1_S1_PKiPfP15HIP_vector_typeIfLj2EEffffjfiS5_IjLj3EEiiiiiiiiiiiliiliiiiil.kd
    .uniform_work_group_size: 1
    .uses_dynamic_stack: false
    .vgpr_count:     111
    .vgpr_spill_count: 0
    .wavefront_size: 32
    .workgroup_processor_mode: 1
  - .args:
      - .address_space:  global
        .offset:         0
        .size:           8
        .value_kind:     global_buffer
      - .address_space:  global
        .offset:         8
        .size:           8
        .value_kind:     global_buffer
      - .offset:         16
        .size:           4
        .value_kind:     by_value
      - .offset:         20
        .size:           4
        .value_kind:     by_value
      - .offset:         24
        .size:           4
        .value_kind:     by_value
      - .offset:         28
        .size:           4
        .value_kind:     by_value
      - .offset:         32
        .size:           4
        .value_kind:     by_value
      - .offset:         36
        .size:           4
        .value_kind:     by_value
      - .offset:         40
        .size:           12
        .value_kind:     by_value
      - .offset:         52
        .size:           12
        .value_kind:     by_value
      - .offset:         64
        .size:           12
        .value_kind:     by_value
    .group_segment_fixed_size: 0
    .kernarg_segment_align: 8
    .kernarg_segment_size: 76
    .language:       OpenCL C
    .language_version:
      - 2
      - 0
    .max_flat_workgroup_size: 128
    .name:           _ZL33flash_attn_stream_k_fixup_uniformILi128ELi1ELi4EEvPfPK15HIP_vector_typeIfLj2EEiiiiiiS1_IjLj3EES5_S5_
    .private_segment_fixed_size: 0
    .sgpr_count:     22
    .sgpr_spill_count: 0
    .symbol:         _ZL33flash_attn_stream_k_fixup_uniformILi128ELi1ELi4EEvPfPK15HIP_vector_typeIfLj2EEiiiiiiS1_IjLj3EES5_S5_.kd
    .uniform_work_group_size: 1
    .uses_dynamic_stack: false
    .vgpr_count:     15
    .vgpr_spill_count: 0
    .wavefront_size: 32
    .workgroup_processor_mode: 1
  - .args:
      - .address_space:  global
        .offset:         0
        .size:           8
        .value_kind:     global_buffer
      - .address_space:  global
        .offset:         8
        .size:           8
        .value_kind:     global_buffer
      - .offset:         16
        .size:           4
        .value_kind:     by_value
      - .offset:         20
        .size:           4
        .value_kind:     by_value
      - .offset:         24
        .size:           4
        .value_kind:     by_value
      - .offset:         28
        .size:           4
        .value_kind:     by_value
      - .offset:         32
        .size:           12
        .value_kind:     by_value
      - .offset:         44
        .size:           12
        .value_kind:     by_value
      - .offset:         56
        .size:           12
        .value_kind:     by_value
      - .offset:         68
        .size:           12
        .value_kind:     by_value
      - .offset:         80
        .size:           4
        .value_kind:     hidden_block_count_x
      - .offset:         84
        .size:           4
        .value_kind:     hidden_block_count_y
      - .offset:         88
        .size:           4
        .value_kind:     hidden_block_count_z
      - .offset:         92
        .size:           2
        .value_kind:     hidden_group_size_x
      - .offset:         94
        .size:           2
        .value_kind:     hidden_group_size_y
      - .offset:         96
        .size:           2
        .value_kind:     hidden_group_size_z
      - .offset:         98
        .size:           2
        .value_kind:     hidden_remainder_x
      - .offset:         100
        .size:           2
        .value_kind:     hidden_remainder_y
      - .offset:         102
        .size:           2
        .value_kind:     hidden_remainder_z
      - .offset:         120
        .size:           8
        .value_kind:     hidden_global_offset_x
      - .offset:         128
        .size:           8
        .value_kind:     hidden_global_offset_y
      - .offset:         136
        .size:           8
        .value_kind:     hidden_global_offset_z
      - .offset:         144
        .size:           2
        .value_kind:     hidden_grid_dims
    .group_segment_fixed_size: 0
    .kernarg_segment_align: 8
    .kernarg_segment_size: 336
    .language:       OpenCL C
    .language_version:
      - 2
      - 0
    .max_flat_workgroup_size: 128
    .name:           _ZL33flash_attn_stream_k_fixup_generalILi128ELi1ELi4EEvPfPK15HIP_vector_typeIfLj2EEiiiiS1_IjLj3EES5_S5_S5_
    .private_segment_fixed_size: 0
    .sgpr_count:     34
    .sgpr_spill_count: 0
    .symbol:         _ZL33flash_attn_stream_k_fixup_generalILi128ELi1ELi4EEvPfPK15HIP_vector_typeIfLj2EEiiiiS1_IjLj3EES5_S5_S5_.kd
    .uniform_work_group_size: 1
    .uses_dynamic_stack: false
    .vgpr_count:     19
    .vgpr_spill_count: 0
    .wavefront_size: 32
    .workgroup_processor_mode: 1
  - .args:
      - .address_space:  global
        .offset:         0
        .size:           8
        .value_kind:     global_buffer
      - .address_space:  global
        .offset:         8
        .size:           8
        .value_kind:     global_buffer
      - .address_space:  global
        .offset:         16
        .size:           8
        .value_kind:     global_buffer
      - .address_space:  global
        .offset:         24
        .size:           8
        .value_kind:     global_buffer
      - .address_space:  global
        .offset:         32
        .size:           8
        .value_kind:     global_buffer
      - .address_space:  global
        .offset:         40
        .size:           8
        .value_kind:     global_buffer
      - .address_space:  global
        .offset:         48
        .size:           8
        .value_kind:     global_buffer
      - .address_space:  global
        .offset:         56
        .size:           8
        .value_kind:     global_buffer
      - .offset:         64
        .size:           4
        .value_kind:     by_value
      - .offset:         68
        .size:           4
        .value_kind:     by_value
      - .offset:         72
        .size:           4
        .value_kind:     by_value
      - .offset:         76
        .size:           4
        .value_kind:     by_value
      - .offset:         80
        .size:           4
        .value_kind:     by_value
      - .offset:         84
        .size:           4
        .value_kind:     by_value
      - .offset:         88
        .size:           4
        .value_kind:     by_value
      - .offset:         92
        .size:           12
        .value_kind:     by_value
      - .offset:         104
        .size:           4
        .value_kind:     by_value
      - .offset:         108
        .size:           4
        .value_kind:     by_value
      - .offset:         112
        .size:           4
        .value_kind:     by_value
      - .offset:         116
        .size:           4
        .value_kind:     by_value
      - .offset:         120
        .size:           4
        .value_kind:     by_value
      - .offset:         124
        .size:           4
        .value_kind:     by_value
      - .offset:         128
        .size:           4
        .value_kind:     by_value
      - .offset:         132
        .size:           4
        .value_kind:     by_value
      - .offset:         136
        .size:           4
        .value_kind:     by_value
      - .offset:         140
        .size:           4
        .value_kind:     by_value
      - .offset:         144
        .size:           4
        .value_kind:     by_value
      - .offset:         152
        .size:           8
        .value_kind:     by_value
      - .offset:         160
        .size:           4
        .value_kind:     by_value
      - .offset:         164
        .size:           4
        .value_kind:     by_value
      - .offset:         168
        .size:           8
        .value_kind:     by_value
      - .offset:         176
        .size:           4
        .value_kind:     by_value
      - .offset:         180
        .size:           4
        .value_kind:     by_value
      - .offset:         184
        .size:           4
        .value_kind:     by_value
      - .offset:         188
        .size:           4
        .value_kind:     by_value
      - .offset:         192
        .size:           4
        .value_kind:     by_value
      - .offset:         200
        .size:           8
        .value_kind:     by_value
      - .offset:         208
        .size:           4
        .value_kind:     hidden_block_count_x
      - .offset:         212
        .size:           4
        .value_kind:     hidden_block_count_y
      - .offset:         216
        .size:           4
        .value_kind:     hidden_block_count_z
      - .offset:         220
        .size:           2
        .value_kind:     hidden_group_size_x
      - .offset:         222
        .size:           2
        .value_kind:     hidden_group_size_y
      - .offset:         224
        .size:           2
        .value_kind:     hidden_group_size_z
      - .offset:         226
        .size:           2
        .value_kind:     hidden_remainder_x
      - .offset:         228
        .size:           2
        .value_kind:     hidden_remainder_y
      - .offset:         230
        .size:           2
        .value_kind:     hidden_remainder_z
      - .offset:         248
        .size:           8
        .value_kind:     hidden_global_offset_x
      - .offset:         256
        .size:           8
        .value_kind:     hidden_global_offset_y
      - .offset:         264
        .size:           8
        .value_kind:     hidden_global_offset_z
      - .offset:         272
        .size:           2
        .value_kind:     hidden_grid_dims
    .group_segment_fixed_size: 33792
    .kernarg_segment_align: 8
    .kernarg_segment_size: 464
    .language:       OpenCL C
    .language_version:
      - 2
      - 0
    .max_flat_workgroup_size: 256
    .name:           _ZL15flash_attn_tileILi128ELi128ELi32ELi2ELb0EEvPKcS1_S1_S1_S1_PKiPfP15HIP_vector_typeIfLj2EEffffjfiS5_IjLj3EEiiiiiiiiiiiliiliiiiil
    .private_segment_fixed_size: 48
    .sgpr_count:     54
    .sgpr_spill_count: 0
    .symbol:         _ZL15flash_attn_tileILi128ELi128ELi32ELi2ELb0EEvPKcS1_S1_S1_S1_PKiPfP15HIP_vector_typeIfLj2EEffffjfiS5_IjLj3EEiiiiiiiiiiiliiliiiiil.kd
    .uniform_work_group_size: 1
    .uses_dynamic_stack: false
    .vgpr_count:     256
    .vgpr_spill_count: 11
    .wavefront_size: 32
    .workgroup_processor_mode: 1
  - .args:
      - .actual_access:  read_only
        .address_space:  global
        .offset:         0
        .size:           8
        .value_kind:     global_buffer
      - .actual_access:  write_only
        .address_space:  global
        .offset:         8
        .size:           8
        .value_kind:     global_buffer
      - .offset:         16
        .size:           4
        .value_kind:     by_value
      - .offset:         20
        .size:           4
        .value_kind:     by_value
      - .offset:         24
        .size:           4
        .value_kind:     by_value
      - .offset:         32
        .size:           4
        .value_kind:     hidden_block_count_x
      - .offset:         36
        .size:           4
        .value_kind:     hidden_block_count_y
      - .offset:         40
        .size:           4
        .value_kind:     hidden_block_count_z
      - .offset:         44
        .size:           2
        .value_kind:     hidden_group_size_x
      - .offset:         46
        .size:           2
        .value_kind:     hidden_group_size_y
      - .offset:         48
        .size:           2
        .value_kind:     hidden_group_size_z
      - .offset:         50
        .size:           2
        .value_kind:     hidden_remainder_x
      - .offset:         52
        .size:           2
        .value_kind:     hidden_remainder_y
      - .offset:         54
        .size:           2
        .value_kind:     hidden_remainder_z
      - .offset:         72
        .size:           8
        .value_kind:     hidden_global_offset_x
      - .offset:         80
        .size:           8
        .value_kind:     hidden_global_offset_y
      - .offset:         88
        .size:           8
        .value_kind:     hidden_global_offset_z
      - .offset:         96
        .size:           2
        .value_kind:     hidden_grid_dims
    .group_segment_fixed_size: 128
    .kernarg_segment_align: 8
    .kernarg_segment_size: 288
    .language:       OpenCL C
    .language_version:
      - 2
      - 0
    .max_flat_workgroup_size: 128
    .name:           _ZL25flash_attn_mask_to_KV_maxILi32EEvPK7__half2Piiii
    .private_segment_fixed_size: 0
    .sgpr_count:     78
    .sgpr_spill_count: 0
    .symbol:         _ZL25flash_attn_mask_to_KV_maxILi32EEvPK7__half2Piiii.kd
    .uniform_work_group_size: 1
    .uses_dynamic_stack: false
    .vgpr_count:     9
    .vgpr_spill_count: 0
    .wavefront_size: 32
    .workgroup_processor_mode: 1
  - .args:
      - .address_space:  global
        .offset:         0
        .size:           8
        .value_kind:     global_buffer
      - .address_space:  global
        .offset:         8
        .size:           8
        .value_kind:     global_buffer
      - .offset:         16
        .size:           4
        .value_kind:     by_value
      - .offset:         20
        .size:           4
        .value_kind:     by_value
      - .offset:         24
        .size:           4
        .value_kind:     by_value
      - .offset:         28
        .size:           4
        .value_kind:     by_value
      - .offset:         32
        .size:           4
        .value_kind:     by_value
      - .offset:         36
        .size:           4
        .value_kind:     by_value
      - .offset:         40
        .size:           12
        .value_kind:     by_value
      - .offset:         52
        .size:           12
        .value_kind:     by_value
      - .offset:         64
        .size:           12
        .value_kind:     by_value
    .group_segment_fixed_size: 0
    .kernarg_segment_align: 8
    .kernarg_segment_size: 76
    .language:       OpenCL C
    .language_version:
      - 2
      - 0
    .max_flat_workgroup_size: 128
    .name:           _ZL33flash_attn_stream_k_fixup_uniformILi128ELi32ELi2EEvPfPK15HIP_vector_typeIfLj2EEiiiiiiS1_IjLj3EES5_S5_
    .private_segment_fixed_size: 0
    .sgpr_count:     22
    .sgpr_spill_count: 0
    .symbol:         _ZL33flash_attn_stream_k_fixup_uniformILi128ELi32ELi2EEvPfPK15HIP_vector_typeIfLj2EEiiiiiiS1_IjLj3EES5_S5_.kd
    .uniform_work_group_size: 1
    .uses_dynamic_stack: false
    .vgpr_count:     15
    .vgpr_spill_count: 0
    .wavefront_size: 32
    .workgroup_processor_mode: 1
  - .args:
      - .address_space:  global
        .offset:         0
        .size:           8
        .value_kind:     global_buffer
      - .address_space:  global
        .offset:         8
        .size:           8
        .value_kind:     global_buffer
      - .offset:         16
        .size:           4
        .value_kind:     by_value
      - .offset:         20
        .size:           4
        .value_kind:     by_value
      - .offset:         24
        .size:           4
        .value_kind:     by_value
      - .offset:         28
        .size:           4
        .value_kind:     by_value
      - .offset:         32
        .size:           12
        .value_kind:     by_value
      - .offset:         44
        .size:           12
        .value_kind:     by_value
      - .offset:         56
        .size:           12
        .value_kind:     by_value
      - .offset:         68
        .size:           12
        .value_kind:     by_value
      - .offset:         80
        .size:           4
        .value_kind:     hidden_block_count_x
      - .offset:         84
        .size:           4
        .value_kind:     hidden_block_count_y
      - .offset:         88
        .size:           4
        .value_kind:     hidden_block_count_z
      - .offset:         92
        .size:           2
        .value_kind:     hidden_group_size_x
      - .offset:         94
        .size:           2
        .value_kind:     hidden_group_size_y
      - .offset:         96
        .size:           2
        .value_kind:     hidden_group_size_z
      - .offset:         98
        .size:           2
        .value_kind:     hidden_remainder_x
      - .offset:         100
        .size:           2
        .value_kind:     hidden_remainder_y
      - .offset:         102
        .size:           2
        .value_kind:     hidden_remainder_z
      - .offset:         120
        .size:           8
        .value_kind:     hidden_global_offset_x
      - .offset:         128
        .size:           8
        .value_kind:     hidden_global_offset_y
      - .offset:         136
        .size:           8
        .value_kind:     hidden_global_offset_z
      - .offset:         144
        .size:           2
        .value_kind:     hidden_grid_dims
    .group_segment_fixed_size: 0
    .kernarg_segment_align: 8
    .kernarg_segment_size: 336
    .language:       OpenCL C
    .language_version:
      - 2
      - 0
    .max_flat_workgroup_size: 128
    .name:           _ZL33flash_attn_stream_k_fixup_generalILi128ELi32ELi2EEvPfPK15HIP_vector_typeIfLj2EEiiiiS1_IjLj3EES5_S5_S5_
    .private_segment_fixed_size: 0
    .sgpr_count:     34
    .sgpr_spill_count: 0
    .symbol:         _ZL33flash_attn_stream_k_fixup_generalILi128ELi32ELi2EEvPfPK15HIP_vector_typeIfLj2EEiiiiS1_IjLj3EES5_S5_S5_.kd
    .uniform_work_group_size: 1
    .uses_dynamic_stack: false
    .vgpr_count:     19
    .vgpr_spill_count: 0
    .wavefront_size: 32
    .workgroup_processor_mode: 1
  - .args:
      - .address_space:  global
        .offset:         0
        .size:           8
        .value_kind:     global_buffer
      - .address_space:  global
        .offset:         8
        .size:           8
        .value_kind:     global_buffer
      - .address_space:  global
        .offset:         16
        .size:           8
        .value_kind:     global_buffer
      - .address_space:  global
        .offset:         24
        .size:           8
        .value_kind:     global_buffer
      - .address_space:  global
        .offset:         32
        .size:           8
        .value_kind:     global_buffer
      - .address_space:  global
        .offset:         40
        .size:           8
        .value_kind:     global_buffer
      - .address_space:  global
        .offset:         48
        .size:           8
        .value_kind:     global_buffer
      - .address_space:  global
        .offset:         56
        .size:           8
        .value_kind:     global_buffer
      - .offset:         64
        .size:           4
        .value_kind:     by_value
      - .offset:         68
        .size:           4
        .value_kind:     by_value
      - .offset:         72
        .size:           4
        .value_kind:     by_value
      - .offset:         76
        .size:           4
        .value_kind:     by_value
      - .offset:         80
        .size:           4
        .value_kind:     by_value
      - .offset:         84
        .size:           4
        .value_kind:     by_value
      - .offset:         88
        .size:           4
        .value_kind:     by_value
      - .offset:         92
        .size:           12
        .value_kind:     by_value
      - .offset:         104
        .size:           4
        .value_kind:     by_value
      - .offset:         108
        .size:           4
        .value_kind:     by_value
      - .offset:         112
        .size:           4
        .value_kind:     by_value
      - .offset:         116
        .size:           4
        .value_kind:     by_value
      - .offset:         120
        .size:           4
        .value_kind:     by_value
      - .offset:         124
        .size:           4
        .value_kind:     by_value
      - .offset:         128
        .size:           4
        .value_kind:     by_value
      - .offset:         132
        .size:           4
        .value_kind:     by_value
      - .offset:         136
        .size:           4
        .value_kind:     by_value
      - .offset:         140
        .size:           4
        .value_kind:     by_value
      - .offset:         144
        .size:           4
        .value_kind:     by_value
      - .offset:         152
        .size:           8
        .value_kind:     by_value
      - .offset:         160
        .size:           4
        .value_kind:     by_value
      - .offset:         164
        .size:           4
        .value_kind:     by_value
      - .offset:         168
        .size:           8
        .value_kind:     by_value
      - .offset:         176
        .size:           4
        .value_kind:     by_value
      - .offset:         180
        .size:           4
        .value_kind:     by_value
      - .offset:         184
        .size:           4
        .value_kind:     by_value
      - .offset:         188
        .size:           4
        .value_kind:     by_value
      - .offset:         192
        .size:           4
        .value_kind:     by_value
      - .offset:         200
        .size:           8
        .value_kind:     by_value
      - .offset:         208
        .size:           4
        .value_kind:     hidden_block_count_x
      - .offset:         212
        .size:           4
        .value_kind:     hidden_block_count_y
      - .offset:         216
        .size:           4
        .value_kind:     hidden_block_count_z
      - .offset:         220
        .size:           2
        .value_kind:     hidden_group_size_x
      - .offset:         222
        .size:           2
        .value_kind:     hidden_group_size_y
      - .offset:         224
        .size:           2
        .value_kind:     hidden_group_size_z
      - .offset:         226
        .size:           2
        .value_kind:     hidden_remainder_x
      - .offset:         228
        .size:           2
        .value_kind:     hidden_remainder_y
      - .offset:         230
        .size:           2
        .value_kind:     hidden_remainder_z
      - .offset:         248
        .size:           8
        .value_kind:     hidden_global_offset_x
      - .offset:         256
        .size:           8
        .value_kind:     hidden_global_offset_y
      - .offset:         264
        .size:           8
        .value_kind:     hidden_global_offset_z
      - .offset:         272
        .size:           2
        .value_kind:     hidden_grid_dims
    .group_segment_fixed_size: 34816
    .kernarg_segment_align: 8
    .kernarg_segment_size: 464
    .language:       OpenCL C
    .language_version:
      - 2
      - 0
    .max_flat_workgroup_size: 256
    .name:           _ZL15flash_attn_tileILi128ELi128ELi16ELi2ELb0EEvPKcS1_S1_S1_S1_PKiPfP15HIP_vector_typeIfLj2EEffffjfiS5_IjLj3EEiiiiiiiiiiiliiliiiiil
    .private_segment_fixed_size: 0
    .sgpr_count:     69
    .sgpr_spill_count: 0
    .symbol:         _ZL15flash_attn_tileILi128ELi128ELi16ELi2ELb0EEvPKcS1_S1_S1_S1_PKiPfP15HIP_vector_typeIfLj2EEffffjfiS5_IjLj3EEiiiiiiiiiiiliiliiiiil.kd
    .uniform_work_group_size: 1
    .uses_dynamic_stack: false
    .vgpr_count:     244
    .vgpr_spill_count: 0
    .wavefront_size: 32
    .workgroup_processor_mode: 1
  - .args:
      - .address_space:  global
        .offset:         0
        .size:           8
        .value_kind:     global_buffer
      - .address_space:  global
        .offset:         8
        .size:           8
        .value_kind:     global_buffer
      - .offset:         16
        .size:           4
        .value_kind:     by_value
      - .offset:         20
        .size:           4
        .value_kind:     by_value
      - .offset:         24
        .size:           4
        .value_kind:     by_value
      - .offset:         28
        .size:           4
        .value_kind:     by_value
      - .offset:         32
        .size:           4
        .value_kind:     by_value
      - .offset:         36
        .size:           4
        .value_kind:     by_value
      - .offset:         40
        .size:           12
        .value_kind:     by_value
      - .offset:         52
        .size:           12
        .value_kind:     by_value
      - .offset:         64
        .size:           12
        .value_kind:     by_value
    .group_segment_fixed_size: 0
    .kernarg_segment_align: 8
    .kernarg_segment_size: 76
    .language:       OpenCL C
    .language_version:
      - 2
      - 0
    .max_flat_workgroup_size: 128
    .name:           _ZL33flash_attn_stream_k_fixup_uniformILi128ELi16ELi2EEvPfPK15HIP_vector_typeIfLj2EEiiiiiiS1_IjLj3EES5_S5_
    .private_segment_fixed_size: 0
    .sgpr_count:     22
    .sgpr_spill_count: 0
    .symbol:         _ZL33flash_attn_stream_k_fixup_uniformILi128ELi16ELi2EEvPfPK15HIP_vector_typeIfLj2EEiiiiiiS1_IjLj3EES5_S5_.kd
    .uniform_work_group_size: 1
    .uses_dynamic_stack: false
    .vgpr_count:     15
    .vgpr_spill_count: 0
    .wavefront_size: 32
    .workgroup_processor_mode: 1
  - .args:
      - .address_space:  global
        .offset:         0
        .size:           8
        .value_kind:     global_buffer
      - .address_space:  global
        .offset:         8
        .size:           8
        .value_kind:     global_buffer
      - .offset:         16
        .size:           4
        .value_kind:     by_value
      - .offset:         20
        .size:           4
        .value_kind:     by_value
      - .offset:         24
        .size:           4
        .value_kind:     by_value
      - .offset:         28
        .size:           4
        .value_kind:     by_value
      - .offset:         32
        .size:           12
        .value_kind:     by_value
      - .offset:         44
        .size:           12
        .value_kind:     by_value
      - .offset:         56
        .size:           12
        .value_kind:     by_value
      - .offset:         68
        .size:           12
        .value_kind:     by_value
      - .offset:         80
        .size:           4
        .value_kind:     hidden_block_count_x
      - .offset:         84
        .size:           4
        .value_kind:     hidden_block_count_y
      - .offset:         88
        .size:           4
        .value_kind:     hidden_block_count_z
      - .offset:         92
        .size:           2
        .value_kind:     hidden_group_size_x
      - .offset:         94
        .size:           2
        .value_kind:     hidden_group_size_y
      - .offset:         96
        .size:           2
        .value_kind:     hidden_group_size_z
      - .offset:         98
        .size:           2
        .value_kind:     hidden_remainder_x
      - .offset:         100
        .size:           2
        .value_kind:     hidden_remainder_y
      - .offset:         102
        .size:           2
        .value_kind:     hidden_remainder_z
      - .offset:         120
        .size:           8
        .value_kind:     hidden_global_offset_x
      - .offset:         128
        .size:           8
        .value_kind:     hidden_global_offset_y
      - .offset:         136
        .size:           8
        .value_kind:     hidden_global_offset_z
      - .offset:         144
        .size:           2
        .value_kind:     hidden_grid_dims
    .group_segment_fixed_size: 0
    .kernarg_segment_align: 8
    .kernarg_segment_size: 336
    .language:       OpenCL C
    .language_version:
      - 2
      - 0
    .max_flat_workgroup_size: 128
    .name:           _ZL33flash_attn_stream_k_fixup_generalILi128ELi16ELi2EEvPfPK15HIP_vector_typeIfLj2EEiiiiS1_IjLj3EES5_S5_S5_
    .private_segment_fixed_size: 0
    .sgpr_count:     34
    .sgpr_spill_count: 0
    .symbol:         _ZL33flash_attn_stream_k_fixup_generalILi128ELi16ELi2EEvPfPK15HIP_vector_typeIfLj2EEiiiiS1_IjLj3EES5_S5_S5_.kd
    .uniform_work_group_size: 1
    .uses_dynamic_stack: false
    .vgpr_count:     19
    .vgpr_spill_count: 0
    .wavefront_size: 32
    .workgroup_processor_mode: 1
  - .args:
      - .address_space:  global
        .offset:         0
        .size:           8
        .value_kind:     global_buffer
      - .address_space:  global
        .offset:         8
        .size:           8
        .value_kind:     global_buffer
      - .address_space:  global
        .offset:         16
        .size:           8
        .value_kind:     global_buffer
      - .address_space:  global
        .offset:         24
        .size:           8
        .value_kind:     global_buffer
      - .address_space:  global
        .offset:         32
        .size:           8
        .value_kind:     global_buffer
      - .address_space:  global
        .offset:         40
        .size:           8
        .value_kind:     global_buffer
      - .address_space:  global
        .offset:         48
        .size:           8
        .value_kind:     global_buffer
      - .address_space:  global
        .offset:         56
        .size:           8
        .value_kind:     global_buffer
      - .offset:         64
        .size:           4
        .value_kind:     by_value
      - .offset:         68
        .size:           4
        .value_kind:     by_value
      - .offset:         72
        .size:           4
        .value_kind:     by_value
      - .offset:         76
        .size:           4
        .value_kind:     by_value
      - .offset:         80
        .size:           4
        .value_kind:     by_value
      - .offset:         84
        .size:           4
        .value_kind:     by_value
      - .offset:         88
        .size:           4
        .value_kind:     by_value
      - .offset:         92
        .size:           12
        .value_kind:     by_value
      - .offset:         104
        .size:           4
        .value_kind:     by_value
      - .offset:         108
        .size:           4
        .value_kind:     by_value
      - .offset:         112
        .size:           4
        .value_kind:     by_value
      - .offset:         116
        .size:           4
        .value_kind:     by_value
      - .offset:         120
        .size:           4
        .value_kind:     by_value
      - .offset:         124
        .size:           4
        .value_kind:     by_value
      - .offset:         128
        .size:           4
        .value_kind:     by_value
      - .offset:         132
        .size:           4
        .value_kind:     by_value
      - .offset:         136
        .size:           4
        .value_kind:     by_value
      - .offset:         140
        .size:           4
        .value_kind:     by_value
      - .offset:         144
        .size:           4
        .value_kind:     by_value
      - .offset:         152
        .size:           8
        .value_kind:     by_value
      - .offset:         160
        .size:           4
        .value_kind:     by_value
      - .offset:         164
        .size:           4
        .value_kind:     by_value
      - .offset:         168
        .size:           8
        .value_kind:     by_value
      - .offset:         176
        .size:           4
        .value_kind:     by_value
      - .offset:         180
        .size:           4
        .value_kind:     by_value
      - .offset:         184
        .size:           4
        .value_kind:     by_value
      - .offset:         188
        .size:           4
        .value_kind:     by_value
      - .offset:         192
        .size:           4
        .value_kind:     by_value
      - .offset:         200
        .size:           8
        .value_kind:     by_value
      - .offset:         208
        .size:           4
        .value_kind:     hidden_block_count_x
      - .offset:         212
        .size:           4
        .value_kind:     hidden_block_count_y
      - .offset:         216
        .size:           4
        .value_kind:     hidden_block_count_z
      - .offset:         220
        .size:           2
        .value_kind:     hidden_group_size_x
      - .offset:         222
        .size:           2
        .value_kind:     hidden_group_size_y
      - .offset:         224
        .size:           2
        .value_kind:     hidden_group_size_z
      - .offset:         226
        .size:           2
        .value_kind:     hidden_remainder_x
      - .offset:         228
        .size:           2
        .value_kind:     hidden_remainder_y
      - .offset:         230
        .size:           2
        .value_kind:     hidden_remainder_z
      - .offset:         248
        .size:           8
        .value_kind:     hidden_global_offset_x
      - .offset:         256
        .size:           8
        .value_kind:     hidden_global_offset_y
      - .offset:         264
        .size:           8
        .value_kind:     hidden_global_offset_z
      - .offset:         272
        .size:           2
        .value_kind:     hidden_grid_dims
    .group_segment_fixed_size: 43008
    .kernarg_segment_align: 8
    .kernarg_segment_size: 464
    .language:       OpenCL C
    .language_version:
      - 2
      - 0
    .max_flat_workgroup_size: 256
    .name:           _ZL15flash_attn_tileILi128ELi128ELi8ELi2ELb0EEvPKcS1_S1_S1_S1_PKiPfP15HIP_vector_typeIfLj2EEffffjfiS5_IjLj3EEiiiiiiiiiiiliiliiiiil
    .private_segment_fixed_size: 0
    .sgpr_count:     44
    .sgpr_spill_count: 0
    .symbol:         _ZL15flash_attn_tileILi128ELi128ELi8ELi2ELb0EEvPKcS1_S1_S1_S1_PKiPfP15HIP_vector_typeIfLj2EEffffjfiS5_IjLj3EEiiiiiiiiiiiliiliiiiil.kd
    .uniform_work_group_size: 1
    .uses_dynamic_stack: false
    .vgpr_count:     160
    .vgpr_spill_count: 0
    .wavefront_size: 32
    .workgroup_processor_mode: 1
  - .args:
      - .address_space:  global
        .offset:         0
        .size:           8
        .value_kind:     global_buffer
      - .address_space:  global
        .offset:         8
        .size:           8
        .value_kind:     global_buffer
      - .offset:         16
        .size:           4
        .value_kind:     by_value
      - .offset:         20
        .size:           4
        .value_kind:     by_value
      - .offset:         24
        .size:           4
        .value_kind:     by_value
      - .offset:         28
        .size:           4
        .value_kind:     by_value
      - .offset:         32
        .size:           4
        .value_kind:     by_value
      - .offset:         36
        .size:           4
        .value_kind:     by_value
      - .offset:         40
        .size:           12
        .value_kind:     by_value
      - .offset:         52
        .size:           12
        .value_kind:     by_value
      - .offset:         64
        .size:           12
        .value_kind:     by_value
    .group_segment_fixed_size: 0
    .kernarg_segment_align: 8
    .kernarg_segment_size: 76
    .language:       OpenCL C
    .language_version:
      - 2
      - 0
    .max_flat_workgroup_size: 128
    .name:           _ZL33flash_attn_stream_k_fixup_uniformILi128ELi8ELi2EEvPfPK15HIP_vector_typeIfLj2EEiiiiiiS1_IjLj3EES5_S5_
    .private_segment_fixed_size: 0
    .sgpr_count:     22
    .sgpr_spill_count: 0
    .symbol:         _ZL33flash_attn_stream_k_fixup_uniformILi128ELi8ELi2EEvPfPK15HIP_vector_typeIfLj2EEiiiiiiS1_IjLj3EES5_S5_.kd
    .uniform_work_group_size: 1
    .uses_dynamic_stack: false
    .vgpr_count:     15
    .vgpr_spill_count: 0
    .wavefront_size: 32
    .workgroup_processor_mode: 1
  - .args:
      - .address_space:  global
        .offset:         0
        .size:           8
        .value_kind:     global_buffer
      - .address_space:  global
        .offset:         8
        .size:           8
        .value_kind:     global_buffer
      - .offset:         16
        .size:           4
        .value_kind:     by_value
      - .offset:         20
        .size:           4
        .value_kind:     by_value
      - .offset:         24
        .size:           4
        .value_kind:     by_value
      - .offset:         28
        .size:           4
        .value_kind:     by_value
      - .offset:         32
        .size:           12
        .value_kind:     by_value
      - .offset:         44
        .size:           12
        .value_kind:     by_value
      - .offset:         56
        .size:           12
        .value_kind:     by_value
      - .offset:         68
        .size:           12
        .value_kind:     by_value
      - .offset:         80
        .size:           4
        .value_kind:     hidden_block_count_x
      - .offset:         84
        .size:           4
        .value_kind:     hidden_block_count_y
      - .offset:         88
        .size:           4
        .value_kind:     hidden_block_count_z
      - .offset:         92
        .size:           2
        .value_kind:     hidden_group_size_x
      - .offset:         94
        .size:           2
        .value_kind:     hidden_group_size_y
      - .offset:         96
        .size:           2
        .value_kind:     hidden_group_size_z
      - .offset:         98
        .size:           2
        .value_kind:     hidden_remainder_x
      - .offset:         100
        .size:           2
        .value_kind:     hidden_remainder_y
      - .offset:         102
        .size:           2
        .value_kind:     hidden_remainder_z
      - .offset:         120
        .size:           8
        .value_kind:     hidden_global_offset_x
      - .offset:         128
        .size:           8
        .value_kind:     hidden_global_offset_y
      - .offset:         136
        .size:           8
        .value_kind:     hidden_global_offset_z
      - .offset:         144
        .size:           2
        .value_kind:     hidden_grid_dims
    .group_segment_fixed_size: 0
    .kernarg_segment_align: 8
    .kernarg_segment_size: 336
    .language:       OpenCL C
    .language_version:
      - 2
      - 0
    .max_flat_workgroup_size: 128
    .name:           _ZL33flash_attn_stream_k_fixup_generalILi128ELi8ELi2EEvPfPK15HIP_vector_typeIfLj2EEiiiiS1_IjLj3EES5_S5_S5_
    .private_segment_fixed_size: 0
    .sgpr_count:     34
    .sgpr_spill_count: 0
    .symbol:         _ZL33flash_attn_stream_k_fixup_generalILi128ELi8ELi2EEvPfPK15HIP_vector_typeIfLj2EEiiiiS1_IjLj3EES5_S5_S5_.kd
    .uniform_work_group_size: 1
    .uses_dynamic_stack: false
    .vgpr_count:     19
    .vgpr_spill_count: 0
    .wavefront_size: 32
    .workgroup_processor_mode: 1
  - .args:
      - .address_space:  global
        .offset:         0
        .size:           8
        .value_kind:     global_buffer
      - .address_space:  global
        .offset:         8
        .size:           8
        .value_kind:     global_buffer
      - .address_space:  global
        .offset:         16
        .size:           8
        .value_kind:     global_buffer
      - .address_space:  global
        .offset:         24
        .size:           8
        .value_kind:     global_buffer
      - .address_space:  global
        .offset:         32
        .size:           8
        .value_kind:     global_buffer
      - .address_space:  global
        .offset:         40
        .size:           8
        .value_kind:     global_buffer
      - .address_space:  global
        .offset:         48
        .size:           8
        .value_kind:     global_buffer
      - .address_space:  global
        .offset:         56
        .size:           8
        .value_kind:     global_buffer
      - .offset:         64
        .size:           4
        .value_kind:     by_value
      - .offset:         68
        .size:           4
        .value_kind:     by_value
      - .offset:         72
        .size:           4
        .value_kind:     by_value
      - .offset:         76
        .size:           4
        .value_kind:     by_value
      - .offset:         80
        .size:           4
        .value_kind:     by_value
      - .offset:         84
        .size:           4
        .value_kind:     by_value
      - .offset:         88
        .size:           4
        .value_kind:     by_value
      - .offset:         92
        .size:           12
        .value_kind:     by_value
      - .offset:         104
        .size:           4
        .value_kind:     by_value
      - .offset:         108
        .size:           4
        .value_kind:     by_value
      - .offset:         112
        .size:           4
        .value_kind:     by_value
      - .offset:         116
        .size:           4
        .value_kind:     by_value
      - .offset:         120
        .size:           4
        .value_kind:     by_value
      - .offset:         124
        .size:           4
        .value_kind:     by_value
      - .offset:         128
        .size:           4
        .value_kind:     by_value
      - .offset:         132
        .size:           4
        .value_kind:     by_value
      - .offset:         136
        .size:           4
        .value_kind:     by_value
      - .offset:         140
        .size:           4
        .value_kind:     by_value
      - .offset:         144
        .size:           4
        .value_kind:     by_value
      - .offset:         152
        .size:           8
        .value_kind:     by_value
      - .offset:         160
        .size:           4
        .value_kind:     by_value
      - .offset:         164
        .size:           4
        .value_kind:     by_value
      - .offset:         168
        .size:           8
        .value_kind:     by_value
      - .offset:         176
        .size:           4
        .value_kind:     by_value
      - .offset:         180
        .size:           4
        .value_kind:     by_value
      - .offset:         184
        .size:           4
        .value_kind:     by_value
      - .offset:         188
        .size:           4
        .value_kind:     by_value
      - .offset:         192
        .size:           4
        .value_kind:     by_value
      - .offset:         200
        .size:           8
        .value_kind:     by_value
      - .offset:         208
        .size:           4
        .value_kind:     hidden_block_count_x
      - .offset:         212
        .size:           4
        .value_kind:     hidden_block_count_y
      - .offset:         216
        .size:           4
        .value_kind:     hidden_block_count_z
      - .offset:         220
        .size:           2
        .value_kind:     hidden_group_size_x
      - .offset:         222
        .size:           2
        .value_kind:     hidden_group_size_y
      - .offset:         224
        .size:           2
        .value_kind:     hidden_group_size_z
      - .offset:         226
        .size:           2
        .value_kind:     hidden_remainder_x
      - .offset:         228
        .size:           2
        .value_kind:     hidden_remainder_y
      - .offset:         230
        .size:           2
        .value_kind:     hidden_remainder_z
      - .offset:         248
        .size:           8
        .value_kind:     hidden_global_offset_x
      - .offset:         256
        .size:           8
        .value_kind:     hidden_global_offset_y
      - .offset:         264
        .size:           8
        .value_kind:     hidden_global_offset_z
      - .offset:         272
        .size:           2
        .value_kind:     hidden_grid_dims
    .group_segment_fixed_size: 12288
    .kernarg_segment_align: 8
    .kernarg_segment_size: 464
    .language:       OpenCL C
    .language_version:
      - 2
      - 0
    .max_flat_workgroup_size: 128
    .name:           _ZL15flash_attn_tileILi128ELi128ELi4ELi2ELb0EEvPKcS1_S1_S1_S1_PKiPfP15HIP_vector_typeIfLj2EEffffjfiS5_IjLj3EEiiiiiiiiiiiliiliiiiil
    .private_segment_fixed_size: 0
    .sgpr_count:     46
    .sgpr_spill_count: 0
    .symbol:         _ZL15flash_attn_tileILi128ELi128ELi4ELi2ELb0EEvPKcS1_S1_S1_S1_PKiPfP15HIP_vector_typeIfLj2EEffffjfiS5_IjLj3EEiiiiiiiiiiiliiliiiiil.kd
    .uniform_work_group_size: 1
    .uses_dynamic_stack: false
    .vgpr_count:     139
    .vgpr_spill_count: 0
    .wavefront_size: 32
    .workgroup_processor_mode: 1
  - .args:
      - .address_space:  global
        .offset:         0
        .size:           8
        .value_kind:     global_buffer
      - .address_space:  global
        .offset:         8
        .size:           8
        .value_kind:     global_buffer
      - .offset:         16
        .size:           4
        .value_kind:     by_value
      - .offset:         20
        .size:           4
        .value_kind:     by_value
      - .offset:         24
        .size:           4
        .value_kind:     by_value
      - .offset:         28
        .size:           4
        .value_kind:     by_value
      - .offset:         32
        .size:           4
        .value_kind:     by_value
      - .offset:         36
        .size:           4
        .value_kind:     by_value
      - .offset:         40
        .size:           12
        .value_kind:     by_value
      - .offset:         52
        .size:           12
        .value_kind:     by_value
      - .offset:         64
        .size:           12
        .value_kind:     by_value
    .group_segment_fixed_size: 0
    .kernarg_segment_align: 8
    .kernarg_segment_size: 76
    .language:       OpenCL C
    .language_version:
      - 2
      - 0
    .max_flat_workgroup_size: 128
    .name:           _ZL33flash_attn_stream_k_fixup_uniformILi128ELi4ELi2EEvPfPK15HIP_vector_typeIfLj2EEiiiiiiS1_IjLj3EES5_S5_
    .private_segment_fixed_size: 0
    .sgpr_count:     22
    .sgpr_spill_count: 0
    .symbol:         _ZL33flash_attn_stream_k_fixup_uniformILi128ELi4ELi2EEvPfPK15HIP_vector_typeIfLj2EEiiiiiiS1_IjLj3EES5_S5_.kd
    .uniform_work_group_size: 1
    .uses_dynamic_stack: false
    .vgpr_count:     15
    .vgpr_spill_count: 0
    .wavefront_size: 32
    .workgroup_processor_mode: 1
  - .args:
      - .address_space:  global
        .offset:         0
        .size:           8
        .value_kind:     global_buffer
      - .address_space:  global
        .offset:         8
        .size:           8
        .value_kind:     global_buffer
      - .offset:         16
        .size:           4
        .value_kind:     by_value
      - .offset:         20
        .size:           4
        .value_kind:     by_value
      - .offset:         24
        .size:           4
        .value_kind:     by_value
      - .offset:         28
        .size:           4
        .value_kind:     by_value
      - .offset:         32
        .size:           12
        .value_kind:     by_value
      - .offset:         44
        .size:           12
        .value_kind:     by_value
      - .offset:         56
        .size:           12
        .value_kind:     by_value
      - .offset:         68
        .size:           12
        .value_kind:     by_value
      - .offset:         80
        .size:           4
        .value_kind:     hidden_block_count_x
      - .offset:         84
        .size:           4
        .value_kind:     hidden_block_count_y
      - .offset:         88
        .size:           4
        .value_kind:     hidden_block_count_z
      - .offset:         92
        .size:           2
        .value_kind:     hidden_group_size_x
      - .offset:         94
        .size:           2
        .value_kind:     hidden_group_size_y
      - .offset:         96
        .size:           2
        .value_kind:     hidden_group_size_z
      - .offset:         98
        .size:           2
        .value_kind:     hidden_remainder_x
      - .offset:         100
        .size:           2
        .value_kind:     hidden_remainder_y
      - .offset:         102
        .size:           2
        .value_kind:     hidden_remainder_z
      - .offset:         120
        .size:           8
        .value_kind:     hidden_global_offset_x
      - .offset:         128
        .size:           8
        .value_kind:     hidden_global_offset_y
      - .offset:         136
        .size:           8
        .value_kind:     hidden_global_offset_z
      - .offset:         144
        .size:           2
        .value_kind:     hidden_grid_dims
    .group_segment_fixed_size: 0
    .kernarg_segment_align: 8
    .kernarg_segment_size: 336
    .language:       OpenCL C
    .language_version:
      - 2
      - 0
    .max_flat_workgroup_size: 128
    .name:           _ZL33flash_attn_stream_k_fixup_generalILi128ELi4ELi2EEvPfPK15HIP_vector_typeIfLj2EEiiiiS1_IjLj3EES5_S5_S5_
    .private_segment_fixed_size: 0
    .sgpr_count:     34
    .sgpr_spill_count: 0
    .symbol:         _ZL33flash_attn_stream_k_fixup_generalILi128ELi4ELi2EEvPfPK15HIP_vector_typeIfLj2EEiiiiS1_IjLj3EES5_S5_S5_.kd
    .uniform_work_group_size: 1
    .uses_dynamic_stack: false
    .vgpr_count:     19
    .vgpr_spill_count: 0
    .wavefront_size: 32
    .workgroup_processor_mode: 1
  - .args:
      - .address_space:  global
        .offset:         0
        .size:           8
        .value_kind:     global_buffer
      - .address_space:  global
        .offset:         8
        .size:           8
        .value_kind:     global_buffer
      - .address_space:  global
        .offset:         16
        .size:           8
        .value_kind:     global_buffer
      - .address_space:  global
        .offset:         24
        .size:           8
        .value_kind:     global_buffer
      - .address_space:  global
        .offset:         32
        .size:           8
        .value_kind:     global_buffer
      - .address_space:  global
        .offset:         40
        .size:           8
        .value_kind:     global_buffer
      - .address_space:  global
        .offset:         48
        .size:           8
        .value_kind:     global_buffer
      - .address_space:  global
        .offset:         56
        .size:           8
        .value_kind:     global_buffer
      - .offset:         64
        .size:           4
        .value_kind:     by_value
      - .offset:         68
        .size:           4
        .value_kind:     by_value
      - .offset:         72
        .size:           4
        .value_kind:     by_value
      - .offset:         76
        .size:           4
        .value_kind:     by_value
      - .offset:         80
        .size:           4
        .value_kind:     by_value
      - .offset:         84
        .size:           4
        .value_kind:     by_value
      - .offset:         88
        .size:           4
        .value_kind:     by_value
      - .offset:         92
        .size:           12
        .value_kind:     by_value
      - .offset:         104
        .size:           4
        .value_kind:     by_value
      - .offset:         108
        .size:           4
        .value_kind:     by_value
      - .offset:         112
        .size:           4
        .value_kind:     by_value
      - .offset:         116
        .size:           4
        .value_kind:     by_value
      - .offset:         120
        .size:           4
        .value_kind:     by_value
      - .offset:         124
        .size:           4
        .value_kind:     by_value
      - .offset:         128
        .size:           4
        .value_kind:     by_value
      - .offset:         132
        .size:           4
        .value_kind:     by_value
      - .offset:         136
        .size:           4
        .value_kind:     by_value
      - .offset:         140
        .size:           4
        .value_kind:     by_value
      - .offset:         144
        .size:           4
        .value_kind:     by_value
      - .offset:         152
        .size:           8
        .value_kind:     by_value
      - .offset:         160
        .size:           4
        .value_kind:     by_value
      - .offset:         164
        .size:           4
        .value_kind:     by_value
      - .offset:         168
        .size:           8
        .value_kind:     by_value
      - .offset:         176
        .size:           4
        .value_kind:     by_value
      - .offset:         180
        .size:           4
        .value_kind:     by_value
      - .offset:         184
        .size:           4
        .value_kind:     by_value
      - .offset:         188
        .size:           4
        .value_kind:     by_value
      - .offset:         192
        .size:           4
        .value_kind:     by_value
      - .offset:         200
        .size:           8
        .value_kind:     by_value
      - .offset:         208
        .size:           4
        .value_kind:     hidden_block_count_x
      - .offset:         212
        .size:           4
        .value_kind:     hidden_block_count_y
      - .offset:         216
        .size:           4
        .value_kind:     hidden_block_count_z
      - .offset:         220
        .size:           2
        .value_kind:     hidden_group_size_x
      - .offset:         222
        .size:           2
        .value_kind:     hidden_group_size_y
      - .offset:         224
        .size:           2
        .value_kind:     hidden_group_size_z
      - .offset:         226
        .size:           2
        .value_kind:     hidden_remainder_x
      - .offset:         228
        .size:           2
        .value_kind:     hidden_remainder_y
      - .offset:         230
        .size:           2
        .value_kind:     hidden_remainder_z
      - .offset:         248
        .size:           8
        .value_kind:     hidden_global_offset_x
      - .offset:         256
        .size:           8
        .value_kind:     hidden_global_offset_y
      - .offset:         264
        .size:           8
        .value_kind:     hidden_global_offset_z
      - .offset:         272
        .size:           2
        .value_kind:     hidden_grid_dims
    .group_segment_fixed_size: 10752
    .kernarg_segment_align: 8
    .kernarg_segment_size: 464
    .language:       OpenCL C
    .language_version:
      - 2
      - 0
    .max_flat_workgroup_size: 128
    .name:           _ZL15flash_attn_tileILi128ELi128ELi2ELi2ELb0EEvPKcS1_S1_S1_S1_PKiPfP15HIP_vector_typeIfLj2EEffffjfiS5_IjLj3EEiiiiiiiiiiiliiliiiiil
    .private_segment_fixed_size: 0
    .sgpr_count:     42
    .sgpr_spill_count: 0
    .symbol:         _ZL15flash_attn_tileILi128ELi128ELi2ELi2ELb0EEvPKcS1_S1_S1_S1_PKiPfP15HIP_vector_typeIfLj2EEffffjfiS5_IjLj3EEiiiiiiiiiiiliiliiiiil.kd
    .uniform_work_group_size: 1
    .uses_dynamic_stack: false
    .vgpr_count:     111
    .vgpr_spill_count: 0
    .wavefront_size: 32
    .workgroup_processor_mode: 1
  - .args:
      - .address_space:  global
        .offset:         0
        .size:           8
        .value_kind:     global_buffer
      - .address_space:  global
        .offset:         8
        .size:           8
        .value_kind:     global_buffer
      - .offset:         16
        .size:           4
        .value_kind:     by_value
      - .offset:         20
        .size:           4
        .value_kind:     by_value
      - .offset:         24
        .size:           4
        .value_kind:     by_value
      - .offset:         28
        .size:           4
        .value_kind:     by_value
      - .offset:         32
        .size:           4
        .value_kind:     by_value
      - .offset:         36
        .size:           4
        .value_kind:     by_value
      - .offset:         40
        .size:           12
        .value_kind:     by_value
      - .offset:         52
        .size:           12
        .value_kind:     by_value
      - .offset:         64
        .size:           12
        .value_kind:     by_value
    .group_segment_fixed_size: 0
    .kernarg_segment_align: 8
    .kernarg_segment_size: 76
    .language:       OpenCL C
    .language_version:
      - 2
      - 0
    .max_flat_workgroup_size: 128
    .name:           _ZL33flash_attn_stream_k_fixup_uniformILi128ELi2ELi2EEvPfPK15HIP_vector_typeIfLj2EEiiiiiiS1_IjLj3EES5_S5_
    .private_segment_fixed_size: 0
    .sgpr_count:     22
    .sgpr_spill_count: 0
    .symbol:         _ZL33flash_attn_stream_k_fixup_uniformILi128ELi2ELi2EEvPfPK15HIP_vector_typeIfLj2EEiiiiiiS1_IjLj3EES5_S5_.kd
    .uniform_work_group_size: 1
    .uses_dynamic_stack: false
    .vgpr_count:     15
    .vgpr_spill_count: 0
    .wavefront_size: 32
    .workgroup_processor_mode: 1
  - .args:
      - .address_space:  global
        .offset:         0
        .size:           8
        .value_kind:     global_buffer
      - .address_space:  global
        .offset:         8
        .size:           8
        .value_kind:     global_buffer
      - .offset:         16
        .size:           4
        .value_kind:     by_value
      - .offset:         20
        .size:           4
        .value_kind:     by_value
      - .offset:         24
        .size:           4
        .value_kind:     by_value
      - .offset:         28
        .size:           4
        .value_kind:     by_value
      - .offset:         32
        .size:           12
        .value_kind:     by_value
      - .offset:         44
        .size:           12
        .value_kind:     by_value
      - .offset:         56
        .size:           12
        .value_kind:     by_value
      - .offset:         68
        .size:           12
        .value_kind:     by_value
      - .offset:         80
        .size:           4
        .value_kind:     hidden_block_count_x
      - .offset:         84
        .size:           4
        .value_kind:     hidden_block_count_y
      - .offset:         88
        .size:           4
        .value_kind:     hidden_block_count_z
      - .offset:         92
        .size:           2
        .value_kind:     hidden_group_size_x
      - .offset:         94
        .size:           2
        .value_kind:     hidden_group_size_y
      - .offset:         96
        .size:           2
        .value_kind:     hidden_group_size_z
      - .offset:         98
        .size:           2
        .value_kind:     hidden_remainder_x
      - .offset:         100
        .size:           2
        .value_kind:     hidden_remainder_y
      - .offset:         102
        .size:           2
        .value_kind:     hidden_remainder_z
      - .offset:         120
        .size:           8
        .value_kind:     hidden_global_offset_x
      - .offset:         128
        .size:           8
        .value_kind:     hidden_global_offset_y
      - .offset:         136
        .size:           8
        .value_kind:     hidden_global_offset_z
      - .offset:         144
        .size:           2
        .value_kind:     hidden_grid_dims
    .group_segment_fixed_size: 0
    .kernarg_segment_align: 8
    .kernarg_segment_size: 336
    .language:       OpenCL C
    .language_version:
      - 2
      - 0
    .max_flat_workgroup_size: 128
    .name:           _ZL33flash_attn_stream_k_fixup_generalILi128ELi2ELi2EEvPfPK15HIP_vector_typeIfLj2EEiiiiS1_IjLj3EES5_S5_S5_
    .private_segment_fixed_size: 0
    .sgpr_count:     34
    .sgpr_spill_count: 0
    .symbol:         _ZL33flash_attn_stream_k_fixup_generalILi128ELi2ELi2EEvPfPK15HIP_vector_typeIfLj2EEiiiiS1_IjLj3EES5_S5_S5_.kd
    .uniform_work_group_size: 1
    .uses_dynamic_stack: false
    .vgpr_count:     19
    .vgpr_spill_count: 0
    .wavefront_size: 32
    .workgroup_processor_mode: 1
  - .args:
      - .address_space:  global
        .offset:         0
        .size:           8
        .value_kind:     global_buffer
      - .address_space:  global
        .offset:         8
        .size:           8
        .value_kind:     global_buffer
      - .address_space:  global
        .offset:         16
        .size:           8
        .value_kind:     global_buffer
      - .address_space:  global
        .offset:         24
        .size:           8
        .value_kind:     global_buffer
      - .address_space:  global
        .offset:         32
        .size:           8
        .value_kind:     global_buffer
      - .address_space:  global
        .offset:         40
        .size:           8
        .value_kind:     global_buffer
      - .address_space:  global
        .offset:         48
        .size:           8
        .value_kind:     global_buffer
      - .address_space:  global
        .offset:         56
        .size:           8
        .value_kind:     global_buffer
      - .offset:         64
        .size:           4
        .value_kind:     by_value
      - .offset:         68
        .size:           4
        .value_kind:     by_value
      - .offset:         72
        .size:           4
        .value_kind:     by_value
      - .offset:         76
        .size:           4
        .value_kind:     by_value
      - .offset:         80
        .size:           4
        .value_kind:     by_value
      - .offset:         84
        .size:           4
        .value_kind:     by_value
      - .offset:         88
        .size:           4
        .value_kind:     by_value
      - .offset:         92
        .size:           12
        .value_kind:     by_value
      - .offset:         104
        .size:           4
        .value_kind:     by_value
      - .offset:         108
        .size:           4
        .value_kind:     by_value
      - .offset:         112
        .size:           4
        .value_kind:     by_value
      - .offset:         116
        .size:           4
        .value_kind:     by_value
      - .offset:         120
        .size:           4
        .value_kind:     by_value
      - .offset:         124
        .size:           4
        .value_kind:     by_value
      - .offset:         128
        .size:           4
        .value_kind:     by_value
      - .offset:         132
        .size:           4
        .value_kind:     by_value
      - .offset:         136
        .size:           4
        .value_kind:     by_value
      - .offset:         140
        .size:           4
        .value_kind:     by_value
      - .offset:         144
        .size:           4
        .value_kind:     by_value
      - .offset:         152
        .size:           8
        .value_kind:     by_value
      - .offset:         160
        .size:           4
        .value_kind:     by_value
      - .offset:         164
        .size:           4
        .value_kind:     by_value
      - .offset:         168
        .size:           8
        .value_kind:     by_value
      - .offset:         176
        .size:           4
        .value_kind:     by_value
      - .offset:         180
        .size:           4
        .value_kind:     by_value
      - .offset:         184
        .size:           4
        .value_kind:     by_value
      - .offset:         188
        .size:           4
        .value_kind:     by_value
      - .offset:         192
        .size:           4
        .value_kind:     by_value
      - .offset:         200
        .size:           8
        .value_kind:     by_value
      - .offset:         208
        .size:           4
        .value_kind:     hidden_block_count_x
      - .offset:         212
        .size:           4
        .value_kind:     hidden_block_count_y
      - .offset:         216
        .size:           4
        .value_kind:     hidden_block_count_z
      - .offset:         220
        .size:           2
        .value_kind:     hidden_group_size_x
      - .offset:         222
        .size:           2
        .value_kind:     hidden_group_size_y
      - .offset:         224
        .size:           2
        .value_kind:     hidden_group_size_z
      - .offset:         226
        .size:           2
        .value_kind:     hidden_remainder_x
      - .offset:         228
        .size:           2
        .value_kind:     hidden_remainder_y
      - .offset:         230
        .size:           2
        .value_kind:     hidden_remainder_z
      - .offset:         248
        .size:           8
        .value_kind:     hidden_global_offset_x
      - .offset:         256
        .size:           8
        .value_kind:     hidden_global_offset_y
      - .offset:         264
        .size:           8
        .value_kind:     hidden_global_offset_z
      - .offset:         272
        .size:           2
        .value_kind:     hidden_grid_dims
    .group_segment_fixed_size: 5248
    .kernarg_segment_align: 8
    .kernarg_segment_size: 464
    .language:       OpenCL C
    .language_version:
      - 2
      - 0
    .max_flat_workgroup_size: 64
    .name:           _ZL15flash_attn_tileILi128ELi128ELi1ELi2ELb0EEvPKcS1_S1_S1_S1_PKiPfP15HIP_vector_typeIfLj2EEffffjfiS5_IjLj3EEiiiiiiiiiiiliiliiiiil
    .private_segment_fixed_size: 0
    .sgpr_count:     43
    .sgpr_spill_count: 0
    .symbol:         _ZL15flash_attn_tileILi128ELi128ELi1ELi2ELb0EEvPKcS1_S1_S1_S1_PKiPfP15HIP_vector_typeIfLj2EEffffjfiS5_IjLj3EEiiiiiiiiiiiliiliiiiil.kd
    .uniform_work_group_size: 1
    .uses_dynamic_stack: false
    .vgpr_count:     109
    .vgpr_spill_count: 0
    .wavefront_size: 32
    .workgroup_processor_mode: 1
  - .args:
      - .address_space:  global
        .offset:         0
        .size:           8
        .value_kind:     global_buffer
      - .address_space:  global
        .offset:         8
        .size:           8
        .value_kind:     global_buffer
      - .offset:         16
        .size:           4
        .value_kind:     by_value
      - .offset:         20
        .size:           4
        .value_kind:     by_value
      - .offset:         24
        .size:           4
        .value_kind:     by_value
      - .offset:         28
        .size:           4
        .value_kind:     by_value
      - .offset:         32
        .size:           4
        .value_kind:     by_value
      - .offset:         36
        .size:           4
        .value_kind:     by_value
      - .offset:         40
        .size:           12
        .value_kind:     by_value
      - .offset:         52
        .size:           12
        .value_kind:     by_value
      - .offset:         64
        .size:           12
        .value_kind:     by_value
    .group_segment_fixed_size: 0
    .kernarg_segment_align: 8
    .kernarg_segment_size: 76
    .language:       OpenCL C
    .language_version:
      - 2
      - 0
    .max_flat_workgroup_size: 128
    .name:           _ZL33flash_attn_stream_k_fixup_uniformILi128ELi1ELi2EEvPfPK15HIP_vector_typeIfLj2EEiiiiiiS1_IjLj3EES5_S5_
    .private_segment_fixed_size: 0
    .sgpr_count:     22
    .sgpr_spill_count: 0
    .symbol:         _ZL33flash_attn_stream_k_fixup_uniformILi128ELi1ELi2EEvPfPK15HIP_vector_typeIfLj2EEiiiiiiS1_IjLj3EES5_S5_.kd
    .uniform_work_group_size: 1
    .uses_dynamic_stack: false
    .vgpr_count:     15
    .vgpr_spill_count: 0
    .wavefront_size: 32
    .workgroup_processor_mode: 1
  - .args:
      - .address_space:  global
        .offset:         0
        .size:           8
        .value_kind:     global_buffer
      - .address_space:  global
        .offset:         8
        .size:           8
        .value_kind:     global_buffer
      - .offset:         16
        .size:           4
        .value_kind:     by_value
      - .offset:         20
        .size:           4
        .value_kind:     by_value
      - .offset:         24
        .size:           4
        .value_kind:     by_value
      - .offset:         28
        .size:           4
        .value_kind:     by_value
      - .offset:         32
        .size:           12
        .value_kind:     by_value
      - .offset:         44
        .size:           12
        .value_kind:     by_value
      - .offset:         56
        .size:           12
        .value_kind:     by_value
      - .offset:         68
        .size:           12
        .value_kind:     by_value
      - .offset:         80
        .size:           4
        .value_kind:     hidden_block_count_x
      - .offset:         84
        .size:           4
        .value_kind:     hidden_block_count_y
      - .offset:         88
        .size:           4
        .value_kind:     hidden_block_count_z
      - .offset:         92
        .size:           2
        .value_kind:     hidden_group_size_x
      - .offset:         94
        .size:           2
        .value_kind:     hidden_group_size_y
      - .offset:         96
        .size:           2
        .value_kind:     hidden_group_size_z
      - .offset:         98
        .size:           2
        .value_kind:     hidden_remainder_x
      - .offset:         100
        .size:           2
        .value_kind:     hidden_remainder_y
      - .offset:         102
        .size:           2
        .value_kind:     hidden_remainder_z
      - .offset:         120
        .size:           8
        .value_kind:     hidden_global_offset_x
      - .offset:         128
        .size:           8
        .value_kind:     hidden_global_offset_y
      - .offset:         136
        .size:           8
        .value_kind:     hidden_global_offset_z
      - .offset:         144
        .size:           2
        .value_kind:     hidden_grid_dims
    .group_segment_fixed_size: 0
    .kernarg_segment_align: 8
    .kernarg_segment_size: 336
    .language:       OpenCL C
    .language_version:
      - 2
      - 0
    .max_flat_workgroup_size: 128
    .name:           _ZL33flash_attn_stream_k_fixup_generalILi128ELi1ELi2EEvPfPK15HIP_vector_typeIfLj2EEiiiiS1_IjLj3EES5_S5_S5_
    .private_segment_fixed_size: 0
    .sgpr_count:     34
    .sgpr_spill_count: 0
    .symbol:         _ZL33flash_attn_stream_k_fixup_generalILi128ELi1ELi2EEvPfPK15HIP_vector_typeIfLj2EEiiiiS1_IjLj3EES5_S5_S5_.kd
    .uniform_work_group_size: 1
    .uses_dynamic_stack: false
    .vgpr_count:     19
    .vgpr_spill_count: 0
    .wavefront_size: 32
    .workgroup_processor_mode: 1
  - .args:
      - .address_space:  global
        .offset:         0
        .size:           8
        .value_kind:     global_buffer
      - .address_space:  global
        .offset:         8
        .size:           8
        .value_kind:     global_buffer
      - .address_space:  global
        .offset:         16
        .size:           8
        .value_kind:     global_buffer
      - .address_space:  global
        .offset:         24
        .size:           8
        .value_kind:     global_buffer
      - .address_space:  global
        .offset:         32
        .size:           8
        .value_kind:     global_buffer
      - .address_space:  global
        .offset:         40
        .size:           8
        .value_kind:     global_buffer
      - .address_space:  global
        .offset:         48
        .size:           8
        .value_kind:     global_buffer
      - .address_space:  global
        .offset:         56
        .size:           8
        .value_kind:     global_buffer
      - .offset:         64
        .size:           4
        .value_kind:     by_value
      - .offset:         68
        .size:           4
        .value_kind:     by_value
      - .offset:         72
        .size:           4
        .value_kind:     by_value
      - .offset:         76
        .size:           4
        .value_kind:     by_value
      - .offset:         80
        .size:           4
        .value_kind:     by_value
      - .offset:         84
        .size:           4
        .value_kind:     by_value
      - .offset:         88
        .size:           4
        .value_kind:     by_value
      - .offset:         92
        .size:           12
        .value_kind:     by_value
      - .offset:         104
        .size:           4
        .value_kind:     by_value
      - .offset:         108
        .size:           4
        .value_kind:     by_value
      - .offset:         112
        .size:           4
        .value_kind:     by_value
      - .offset:         116
        .size:           4
        .value_kind:     by_value
      - .offset:         120
        .size:           4
        .value_kind:     by_value
      - .offset:         124
        .size:           4
        .value_kind:     by_value
      - .offset:         128
        .size:           4
        .value_kind:     by_value
      - .offset:         132
        .size:           4
        .value_kind:     by_value
      - .offset:         136
        .size:           4
        .value_kind:     by_value
      - .offset:         140
        .size:           4
        .value_kind:     by_value
      - .offset:         144
        .size:           4
        .value_kind:     by_value
      - .offset:         152
        .size:           8
        .value_kind:     by_value
      - .offset:         160
        .size:           4
        .value_kind:     by_value
      - .offset:         164
        .size:           4
        .value_kind:     by_value
      - .offset:         168
        .size:           8
        .value_kind:     by_value
      - .offset:         176
        .size:           4
        .value_kind:     by_value
      - .offset:         180
        .size:           4
        .value_kind:     by_value
      - .offset:         184
        .size:           4
        .value_kind:     by_value
      - .offset:         188
        .size:           4
        .value_kind:     by_value
      - .offset:         192
        .size:           4
        .value_kind:     by_value
      - .offset:         200
        .size:           8
        .value_kind:     by_value
      - .offset:         208
        .size:           4
        .value_kind:     hidden_block_count_x
      - .offset:         212
        .size:           4
        .value_kind:     hidden_block_count_y
      - .offset:         216
        .size:           4
        .value_kind:     hidden_block_count_z
      - .offset:         220
        .size:           2
        .value_kind:     hidden_group_size_x
      - .offset:         222
        .size:           2
        .value_kind:     hidden_group_size_y
      - .offset:         224
        .size:           2
        .value_kind:     hidden_group_size_z
      - .offset:         226
        .size:           2
        .value_kind:     hidden_remainder_x
      - .offset:         228
        .size:           2
        .value_kind:     hidden_remainder_y
      - .offset:         230
        .size:           2
        .value_kind:     hidden_remainder_z
      - .offset:         248
        .size:           8
        .value_kind:     hidden_global_offset_x
      - .offset:         256
        .size:           8
        .value_kind:     hidden_global_offset_y
      - .offset:         264
        .size:           8
        .value_kind:     hidden_global_offset_z
      - .offset:         272
        .size:           2
        .value_kind:     hidden_grid_dims
    .group_segment_fixed_size: 41984
    .kernarg_segment_align: 8
    .kernarg_segment_size: 464
    .language:       OpenCL C
    .language_version:
      - 2
      - 0
    .max_flat_workgroup_size: 256
    .name:           _ZL15flash_attn_tileILi128ELi128ELi64ELi1ELb0EEvPKcS1_S1_S1_S1_PKiPfP15HIP_vector_typeIfLj2EEffffjfiS5_IjLj3EEiiiiiiiiiiiliiliiiiil
    .private_segment_fixed_size: 0
    .sgpr_count:     52
    .sgpr_spill_count: 0
    .symbol:         _ZL15flash_attn_tileILi128ELi128ELi64ELi1ELb0EEvPKcS1_S1_S1_S1_PKiPfP15HIP_vector_typeIfLj2EEffffjfiS5_IjLj3EEiiiiiiiiiiiliiliiiiil.kd
    .uniform_work_group_size: 1
    .uses_dynamic_stack: false
    .vgpr_count:     234
    .vgpr_spill_count: 0
    .wavefront_size: 32
    .workgroup_processor_mode: 1
  - .args:
      - .actual_access:  read_only
        .address_space:  global
        .offset:         0
        .size:           8
        .value_kind:     global_buffer
      - .actual_access:  write_only
        .address_space:  global
        .offset:         8
        .size:           8
        .value_kind:     global_buffer
      - .offset:         16
        .size:           4
        .value_kind:     by_value
      - .offset:         20
        .size:           4
        .value_kind:     by_value
      - .offset:         24
        .size:           4
        .value_kind:     by_value
      - .offset:         32
        .size:           4
        .value_kind:     hidden_block_count_x
      - .offset:         36
        .size:           4
        .value_kind:     hidden_block_count_y
      - .offset:         40
        .size:           4
        .value_kind:     hidden_block_count_z
      - .offset:         44
        .size:           2
        .value_kind:     hidden_group_size_x
      - .offset:         46
        .size:           2
        .value_kind:     hidden_group_size_y
      - .offset:         48
        .size:           2
        .value_kind:     hidden_group_size_z
      - .offset:         50
        .size:           2
        .value_kind:     hidden_remainder_x
      - .offset:         52
        .size:           2
        .value_kind:     hidden_remainder_y
      - .offset:         54
        .size:           2
        .value_kind:     hidden_remainder_z
      - .offset:         72
        .size:           8
        .value_kind:     hidden_global_offset_x
      - .offset:         80
        .size:           8
        .value_kind:     hidden_global_offset_y
      - .offset:         88
        .size:           8
        .value_kind:     hidden_global_offset_z
      - .offset:         96
        .size:           2
        .value_kind:     hidden_grid_dims
    .group_segment_fixed_size: 128
    .kernarg_segment_align: 8
    .kernarg_segment_size: 288
    .language:       OpenCL C
    .language_version:
      - 2
      - 0
    .max_flat_workgroup_size: 128
    .name:           _ZL25flash_attn_mask_to_KV_maxILi64EEvPK7__half2Piiii
    .private_segment_fixed_size: 0
    .sgpr_count:     107
    .sgpr_spill_count: 33
    .symbol:         _ZL25flash_attn_mask_to_KV_maxILi64EEvPK7__half2Piiii.kd
    .uniform_work_group_size: 1
    .uses_dynamic_stack: false
    .vgpr_count:     11
    .vgpr_spill_count: 0
    .wavefront_size: 32
    .workgroup_processor_mode: 1
  - .args:
      - .address_space:  global
        .offset:         0
        .size:           8
        .value_kind:     global_buffer
      - .address_space:  global
        .offset:         8
        .size:           8
        .value_kind:     global_buffer
      - .offset:         16
        .size:           4
        .value_kind:     by_value
      - .offset:         20
        .size:           4
        .value_kind:     by_value
      - .offset:         24
        .size:           4
        .value_kind:     by_value
      - .offset:         28
        .size:           4
        .value_kind:     by_value
      - .offset:         32
        .size:           4
        .value_kind:     by_value
      - .offset:         36
        .size:           4
        .value_kind:     by_value
      - .offset:         40
        .size:           12
        .value_kind:     by_value
      - .offset:         52
        .size:           12
        .value_kind:     by_value
      - .offset:         64
        .size:           12
        .value_kind:     by_value
    .group_segment_fixed_size: 0
    .kernarg_segment_align: 8
    .kernarg_segment_size: 76
    .language:       OpenCL C
    .language_version:
      - 2
      - 0
    .max_flat_workgroup_size: 128
    .name:           _ZL33flash_attn_stream_k_fixup_uniformILi128ELi64ELi1EEvPfPK15HIP_vector_typeIfLj2EEiiiiiiS1_IjLj3EES5_S5_
    .private_segment_fixed_size: 0
    .sgpr_count:     22
    .sgpr_spill_count: 0
    .symbol:         _ZL33flash_attn_stream_k_fixup_uniformILi128ELi64ELi1EEvPfPK15HIP_vector_typeIfLj2EEiiiiiiS1_IjLj3EES5_S5_.kd
    .uniform_work_group_size: 1
    .uses_dynamic_stack: false
    .vgpr_count:     15
    .vgpr_spill_count: 0
    .wavefront_size: 32
    .workgroup_processor_mode: 1
  - .args:
      - .address_space:  global
        .offset:         0
        .size:           8
        .value_kind:     global_buffer
      - .address_space:  global
        .offset:         8
        .size:           8
        .value_kind:     global_buffer
      - .offset:         16
        .size:           4
        .value_kind:     by_value
      - .offset:         20
        .size:           4
        .value_kind:     by_value
      - .offset:         24
        .size:           4
        .value_kind:     by_value
      - .offset:         28
        .size:           4
        .value_kind:     by_value
      - .offset:         32
        .size:           12
        .value_kind:     by_value
      - .offset:         44
        .size:           12
        .value_kind:     by_value
      - .offset:         56
        .size:           12
        .value_kind:     by_value
      - .offset:         68
        .size:           12
        .value_kind:     by_value
      - .offset:         80
        .size:           4
        .value_kind:     hidden_block_count_x
      - .offset:         84
        .size:           4
        .value_kind:     hidden_block_count_y
      - .offset:         88
        .size:           4
        .value_kind:     hidden_block_count_z
      - .offset:         92
        .size:           2
        .value_kind:     hidden_group_size_x
      - .offset:         94
        .size:           2
        .value_kind:     hidden_group_size_y
      - .offset:         96
        .size:           2
        .value_kind:     hidden_group_size_z
      - .offset:         98
        .size:           2
        .value_kind:     hidden_remainder_x
      - .offset:         100
        .size:           2
        .value_kind:     hidden_remainder_y
      - .offset:         102
        .size:           2
        .value_kind:     hidden_remainder_z
      - .offset:         120
        .size:           8
        .value_kind:     hidden_global_offset_x
      - .offset:         128
        .size:           8
        .value_kind:     hidden_global_offset_y
      - .offset:         136
        .size:           8
        .value_kind:     hidden_global_offset_z
      - .offset:         144
        .size:           2
        .value_kind:     hidden_grid_dims
    .group_segment_fixed_size: 0
    .kernarg_segment_align: 8
    .kernarg_segment_size: 336
    .language:       OpenCL C
    .language_version:
      - 2
      - 0
    .max_flat_workgroup_size: 128
    .name:           _ZL33flash_attn_stream_k_fixup_generalILi128ELi64ELi1EEvPfPK15HIP_vector_typeIfLj2EEiiiiS1_IjLj3EES5_S5_S5_
    .private_segment_fixed_size: 0
    .sgpr_count:     34
    .sgpr_spill_count: 0
    .symbol:         _ZL33flash_attn_stream_k_fixup_generalILi128ELi64ELi1EEvPfPK15HIP_vector_typeIfLj2EEiiiiS1_IjLj3EES5_S5_S5_.kd
    .uniform_work_group_size: 1
    .uses_dynamic_stack: false
    .vgpr_count:     19
    .vgpr_spill_count: 0
    .wavefront_size: 32
    .workgroup_processor_mode: 1
  - .args:
      - .address_space:  global
        .offset:         0
        .size:           8
        .value_kind:     global_buffer
      - .address_space:  global
        .offset:         8
        .size:           8
        .value_kind:     global_buffer
      - .address_space:  global
        .offset:         16
        .size:           8
        .value_kind:     global_buffer
      - .address_space:  global
        .offset:         24
        .size:           8
        .value_kind:     global_buffer
      - .address_space:  global
        .offset:         32
        .size:           8
        .value_kind:     global_buffer
      - .address_space:  global
        .offset:         40
        .size:           8
        .value_kind:     global_buffer
      - .address_space:  global
        .offset:         48
        .size:           8
        .value_kind:     global_buffer
      - .address_space:  global
        .offset:         56
        .size:           8
        .value_kind:     global_buffer
      - .offset:         64
        .size:           4
        .value_kind:     by_value
      - .offset:         68
        .size:           4
        .value_kind:     by_value
      - .offset:         72
        .size:           4
        .value_kind:     by_value
      - .offset:         76
        .size:           4
        .value_kind:     by_value
      - .offset:         80
        .size:           4
        .value_kind:     by_value
      - .offset:         84
        .size:           4
        .value_kind:     by_value
      - .offset:         88
        .size:           4
        .value_kind:     by_value
      - .offset:         92
        .size:           12
        .value_kind:     by_value
      - .offset:         104
        .size:           4
        .value_kind:     by_value
      - .offset:         108
        .size:           4
        .value_kind:     by_value
      - .offset:         112
        .size:           4
        .value_kind:     by_value
      - .offset:         116
        .size:           4
        .value_kind:     by_value
      - .offset:         120
        .size:           4
        .value_kind:     by_value
      - .offset:         124
        .size:           4
        .value_kind:     by_value
      - .offset:         128
        .size:           4
        .value_kind:     by_value
      - .offset:         132
        .size:           4
        .value_kind:     by_value
      - .offset:         136
        .size:           4
        .value_kind:     by_value
      - .offset:         140
        .size:           4
        .value_kind:     by_value
      - .offset:         144
        .size:           4
        .value_kind:     by_value
      - .offset:         152
        .size:           8
        .value_kind:     by_value
      - .offset:         160
        .size:           4
        .value_kind:     by_value
      - .offset:         164
        .size:           4
        .value_kind:     by_value
      - .offset:         168
        .size:           8
        .value_kind:     by_value
      - .offset:         176
        .size:           4
        .value_kind:     by_value
      - .offset:         180
        .size:           4
        .value_kind:     by_value
      - .offset:         184
        .size:           4
        .value_kind:     by_value
      - .offset:         188
        .size:           4
        .value_kind:     by_value
      - .offset:         192
        .size:           4
        .value_kind:     by_value
      - .offset:         200
        .size:           8
        .value_kind:     by_value
      - .offset:         208
        .size:           4
        .value_kind:     hidden_block_count_x
      - .offset:         212
        .size:           4
        .value_kind:     hidden_block_count_y
      - .offset:         216
        .size:           4
        .value_kind:     hidden_block_count_z
      - .offset:         220
        .size:           2
        .value_kind:     hidden_group_size_x
      - .offset:         222
        .size:           2
        .value_kind:     hidden_group_size_y
      - .offset:         224
        .size:           2
        .value_kind:     hidden_group_size_z
      - .offset:         226
        .size:           2
        .value_kind:     hidden_remainder_x
      - .offset:         228
        .size:           2
        .value_kind:     hidden_remainder_y
      - .offset:         230
        .size:           2
        .value_kind:     hidden_remainder_z
      - .offset:         248
        .size:           8
        .value_kind:     hidden_global_offset_x
      - .offset:         256
        .size:           8
        .value_kind:     hidden_global_offset_y
      - .offset:         264
        .size:           8
        .value_kind:     hidden_global_offset_z
      - .offset:         272
        .size:           2
        .value_kind:     hidden_grid_dims
    .group_segment_fixed_size: 43008
    .kernarg_segment_align: 8
    .kernarg_segment_size: 464
    .language:       OpenCL C
    .language_version:
      - 2
      - 0
    .max_flat_workgroup_size: 256
    .name:           _ZL15flash_attn_tileILi128ELi128ELi32ELi1ELb0EEvPKcS1_S1_S1_S1_PKiPfP15HIP_vector_typeIfLj2EEffffjfiS5_IjLj3EEiiiiiiiiiiiliiliiiiil
    .private_segment_fixed_size: 0
    .sgpr_count:     50
    .sgpr_spill_count: 0
    .symbol:         _ZL15flash_attn_tileILi128ELi128ELi32ELi1ELb0EEvPKcS1_S1_S1_S1_PKiPfP15HIP_vector_typeIfLj2EEffffjfiS5_IjLj3EEiiiiiiiiiiiliiliiiiil.kd
    .uniform_work_group_size: 1
    .uses_dynamic_stack: false
    .vgpr_count:     130
    .vgpr_spill_count: 0
    .wavefront_size: 32
    .workgroup_processor_mode: 1
  - .args:
      - .address_space:  global
        .offset:         0
        .size:           8
        .value_kind:     global_buffer
      - .address_space:  global
        .offset:         8
        .size:           8
        .value_kind:     global_buffer
      - .offset:         16
        .size:           4
        .value_kind:     by_value
      - .offset:         20
        .size:           4
        .value_kind:     by_value
      - .offset:         24
        .size:           4
        .value_kind:     by_value
      - .offset:         28
        .size:           4
        .value_kind:     by_value
      - .offset:         32
        .size:           4
        .value_kind:     by_value
      - .offset:         36
        .size:           4
        .value_kind:     by_value
      - .offset:         40
        .size:           12
        .value_kind:     by_value
      - .offset:         52
        .size:           12
        .value_kind:     by_value
      - .offset:         64
        .size:           12
        .value_kind:     by_value
    .group_segment_fixed_size: 0
    .kernarg_segment_align: 8
    .kernarg_segment_size: 76
    .language:       OpenCL C
    .language_version:
      - 2
      - 0
    .max_flat_workgroup_size: 128
    .name:           _ZL33flash_attn_stream_k_fixup_uniformILi128ELi32ELi1EEvPfPK15HIP_vector_typeIfLj2EEiiiiiiS1_IjLj3EES5_S5_
    .private_segment_fixed_size: 0
    .sgpr_count:     22
    .sgpr_spill_count: 0
    .symbol:         _ZL33flash_attn_stream_k_fixup_uniformILi128ELi32ELi1EEvPfPK15HIP_vector_typeIfLj2EEiiiiiiS1_IjLj3EES5_S5_.kd
    .uniform_work_group_size: 1
    .uses_dynamic_stack: false
    .vgpr_count:     15
    .vgpr_spill_count: 0
    .wavefront_size: 32
    .workgroup_processor_mode: 1
  - .args:
      - .address_space:  global
        .offset:         0
        .size:           8
        .value_kind:     global_buffer
      - .address_space:  global
        .offset:         8
        .size:           8
        .value_kind:     global_buffer
      - .offset:         16
        .size:           4
        .value_kind:     by_value
      - .offset:         20
        .size:           4
        .value_kind:     by_value
      - .offset:         24
        .size:           4
        .value_kind:     by_value
      - .offset:         28
        .size:           4
        .value_kind:     by_value
      - .offset:         32
        .size:           12
        .value_kind:     by_value
      - .offset:         44
        .size:           12
        .value_kind:     by_value
      - .offset:         56
        .size:           12
        .value_kind:     by_value
      - .offset:         68
        .size:           12
        .value_kind:     by_value
      - .offset:         80
        .size:           4
        .value_kind:     hidden_block_count_x
      - .offset:         84
        .size:           4
        .value_kind:     hidden_block_count_y
      - .offset:         88
        .size:           4
        .value_kind:     hidden_block_count_z
      - .offset:         92
        .size:           2
        .value_kind:     hidden_group_size_x
      - .offset:         94
        .size:           2
        .value_kind:     hidden_group_size_y
      - .offset:         96
        .size:           2
        .value_kind:     hidden_group_size_z
      - .offset:         98
        .size:           2
        .value_kind:     hidden_remainder_x
      - .offset:         100
        .size:           2
        .value_kind:     hidden_remainder_y
      - .offset:         102
        .size:           2
        .value_kind:     hidden_remainder_z
      - .offset:         120
        .size:           8
        .value_kind:     hidden_global_offset_x
      - .offset:         128
        .size:           8
        .value_kind:     hidden_global_offset_y
      - .offset:         136
        .size:           8
        .value_kind:     hidden_global_offset_z
      - .offset:         144
        .size:           2
        .value_kind:     hidden_grid_dims
    .group_segment_fixed_size: 0
    .kernarg_segment_align: 8
    .kernarg_segment_size: 336
    .language:       OpenCL C
    .language_version:
      - 2
      - 0
    .max_flat_workgroup_size: 128
    .name:           _ZL33flash_attn_stream_k_fixup_generalILi128ELi32ELi1EEvPfPK15HIP_vector_typeIfLj2EEiiiiS1_IjLj3EES5_S5_S5_
    .private_segment_fixed_size: 0
    .sgpr_count:     34
    .sgpr_spill_count: 0
    .symbol:         _ZL33flash_attn_stream_k_fixup_generalILi128ELi32ELi1EEvPfPK15HIP_vector_typeIfLj2EEiiiiS1_IjLj3EES5_S5_S5_.kd
    .uniform_work_group_size: 1
    .uses_dynamic_stack: false
    .vgpr_count:     19
    .vgpr_spill_count: 0
    .wavefront_size: 32
    .workgroup_processor_mode: 1
  - .args:
      - .address_space:  global
        .offset:         0
        .size:           8
        .value_kind:     global_buffer
      - .address_space:  global
        .offset:         8
        .size:           8
        .value_kind:     global_buffer
      - .address_space:  global
        .offset:         16
        .size:           8
        .value_kind:     global_buffer
      - .address_space:  global
        .offset:         24
        .size:           8
        .value_kind:     global_buffer
      - .address_space:  global
        .offset:         32
        .size:           8
        .value_kind:     global_buffer
      - .address_space:  global
        .offset:         40
        .size:           8
        .value_kind:     global_buffer
      - .address_space:  global
        .offset:         48
        .size:           8
        .value_kind:     global_buffer
      - .address_space:  global
        .offset:         56
        .size:           8
        .value_kind:     global_buffer
      - .offset:         64
        .size:           4
        .value_kind:     by_value
      - .offset:         68
        .size:           4
        .value_kind:     by_value
      - .offset:         72
        .size:           4
        .value_kind:     by_value
      - .offset:         76
        .size:           4
        .value_kind:     by_value
      - .offset:         80
        .size:           4
        .value_kind:     by_value
      - .offset:         84
        .size:           4
        .value_kind:     by_value
      - .offset:         88
        .size:           4
        .value_kind:     by_value
      - .offset:         92
        .size:           12
        .value_kind:     by_value
      - .offset:         104
        .size:           4
        .value_kind:     by_value
      - .offset:         108
        .size:           4
        .value_kind:     by_value
      - .offset:         112
        .size:           4
        .value_kind:     by_value
      - .offset:         116
        .size:           4
        .value_kind:     by_value
      - .offset:         120
        .size:           4
        .value_kind:     by_value
      - .offset:         124
        .size:           4
        .value_kind:     by_value
      - .offset:         128
        .size:           4
        .value_kind:     by_value
      - .offset:         132
        .size:           4
        .value_kind:     by_value
      - .offset:         136
        .size:           4
        .value_kind:     by_value
      - .offset:         140
        .size:           4
        .value_kind:     by_value
      - .offset:         144
        .size:           4
        .value_kind:     by_value
      - .offset:         152
        .size:           8
        .value_kind:     by_value
      - .offset:         160
        .size:           4
        .value_kind:     by_value
      - .offset:         164
        .size:           4
        .value_kind:     by_value
      - .offset:         168
        .size:           8
        .value_kind:     by_value
      - .offset:         176
        .size:           4
        .value_kind:     by_value
      - .offset:         180
        .size:           4
        .value_kind:     by_value
      - .offset:         184
        .size:           4
        .value_kind:     by_value
      - .offset:         188
        .size:           4
        .value_kind:     by_value
      - .offset:         192
        .size:           4
        .value_kind:     by_value
      - .offset:         200
        .size:           8
        .value_kind:     by_value
      - .offset:         208
        .size:           4
        .value_kind:     hidden_block_count_x
      - .offset:         212
        .size:           4
        .value_kind:     hidden_block_count_y
      - .offset:         216
        .size:           4
        .value_kind:     hidden_block_count_z
      - .offset:         220
        .size:           2
        .value_kind:     hidden_group_size_x
      - .offset:         222
        .size:           2
        .value_kind:     hidden_group_size_y
      - .offset:         224
        .size:           2
        .value_kind:     hidden_group_size_z
      - .offset:         226
        .size:           2
        .value_kind:     hidden_remainder_x
      - .offset:         228
        .size:           2
        .value_kind:     hidden_remainder_y
      - .offset:         230
        .size:           2
        .value_kind:     hidden_remainder_z
      - .offset:         248
        .size:           8
        .value_kind:     hidden_global_offset_x
      - .offset:         256
        .size:           8
        .value_kind:     hidden_global_offset_y
      - .offset:         264
        .size:           8
        .value_kind:     hidden_global_offset_z
      - .offset:         272
        .size:           2
        .value_kind:     hidden_grid_dims
    .group_segment_fixed_size: 43008
    .kernarg_segment_align: 8
    .kernarg_segment_size: 464
    .language:       OpenCL C
    .language_version:
      - 2
      - 0
    .max_flat_workgroup_size: 256
    .name:           _ZL15flash_attn_tileILi128ELi128ELi16ELi1ELb0EEvPKcS1_S1_S1_S1_PKiPfP15HIP_vector_typeIfLj2EEffffjfiS5_IjLj3EEiiiiiiiiiiiliiliiiiil
    .private_segment_fixed_size: 32
    .sgpr_count:     49
    .sgpr_spill_count: 0
    .symbol:         _ZL15flash_attn_tileILi128ELi128ELi16ELi1ELb0EEvPKcS1_S1_S1_S1_PKiPfP15HIP_vector_typeIfLj2EEffffjfiS5_IjLj3EEiiiiiiiiiiiliiliiiiil.kd
    .uniform_work_group_size: 1
    .uses_dynamic_stack: false
    .vgpr_count:     141
    .vgpr_spill_count: 0
    .wavefront_size: 32
    .workgroup_processor_mode: 1
  - .args:
      - .address_space:  global
        .offset:         0
        .size:           8
        .value_kind:     global_buffer
      - .address_space:  global
        .offset:         8
        .size:           8
        .value_kind:     global_buffer
      - .offset:         16
        .size:           4
        .value_kind:     by_value
      - .offset:         20
        .size:           4
        .value_kind:     by_value
      - .offset:         24
        .size:           4
        .value_kind:     by_value
      - .offset:         28
        .size:           4
        .value_kind:     by_value
      - .offset:         32
        .size:           4
        .value_kind:     by_value
      - .offset:         36
        .size:           4
        .value_kind:     by_value
      - .offset:         40
        .size:           12
        .value_kind:     by_value
      - .offset:         52
        .size:           12
        .value_kind:     by_value
      - .offset:         64
        .size:           12
        .value_kind:     by_value
    .group_segment_fixed_size: 0
    .kernarg_segment_align: 8
    .kernarg_segment_size: 76
    .language:       OpenCL C
    .language_version:
      - 2
      - 0
    .max_flat_workgroup_size: 128
    .name:           _ZL33flash_attn_stream_k_fixup_uniformILi128ELi16ELi1EEvPfPK15HIP_vector_typeIfLj2EEiiiiiiS1_IjLj3EES5_S5_
    .private_segment_fixed_size: 0
    .sgpr_count:     22
    .sgpr_spill_count: 0
    .symbol:         _ZL33flash_attn_stream_k_fixup_uniformILi128ELi16ELi1EEvPfPK15HIP_vector_typeIfLj2EEiiiiiiS1_IjLj3EES5_S5_.kd
    .uniform_work_group_size: 1
    .uses_dynamic_stack: false
    .vgpr_count:     15
    .vgpr_spill_count: 0
    .wavefront_size: 32
    .workgroup_processor_mode: 1
  - .args:
      - .address_space:  global
        .offset:         0
        .size:           8
        .value_kind:     global_buffer
      - .address_space:  global
        .offset:         8
        .size:           8
        .value_kind:     global_buffer
      - .offset:         16
        .size:           4
        .value_kind:     by_value
      - .offset:         20
        .size:           4
        .value_kind:     by_value
      - .offset:         24
        .size:           4
        .value_kind:     by_value
      - .offset:         28
        .size:           4
        .value_kind:     by_value
      - .offset:         32
        .size:           12
        .value_kind:     by_value
      - .offset:         44
        .size:           12
        .value_kind:     by_value
      - .offset:         56
        .size:           12
        .value_kind:     by_value
      - .offset:         68
        .size:           12
        .value_kind:     by_value
      - .offset:         80
        .size:           4
        .value_kind:     hidden_block_count_x
      - .offset:         84
        .size:           4
        .value_kind:     hidden_block_count_y
      - .offset:         88
        .size:           4
        .value_kind:     hidden_block_count_z
      - .offset:         92
        .size:           2
        .value_kind:     hidden_group_size_x
      - .offset:         94
        .size:           2
        .value_kind:     hidden_group_size_y
      - .offset:         96
        .size:           2
        .value_kind:     hidden_group_size_z
      - .offset:         98
        .size:           2
        .value_kind:     hidden_remainder_x
      - .offset:         100
        .size:           2
        .value_kind:     hidden_remainder_y
      - .offset:         102
        .size:           2
        .value_kind:     hidden_remainder_z
      - .offset:         120
        .size:           8
        .value_kind:     hidden_global_offset_x
      - .offset:         128
        .size:           8
        .value_kind:     hidden_global_offset_y
      - .offset:         136
        .size:           8
        .value_kind:     hidden_global_offset_z
      - .offset:         144
        .size:           2
        .value_kind:     hidden_grid_dims
    .group_segment_fixed_size: 0
    .kernarg_segment_align: 8
    .kernarg_segment_size: 336
    .language:       OpenCL C
    .language_version:
      - 2
      - 0
    .max_flat_workgroup_size: 128
    .name:           _ZL33flash_attn_stream_k_fixup_generalILi128ELi16ELi1EEvPfPK15HIP_vector_typeIfLj2EEiiiiS1_IjLj3EES5_S5_S5_
    .private_segment_fixed_size: 0
    .sgpr_count:     34
    .sgpr_spill_count: 0
    .symbol:         _ZL33flash_attn_stream_k_fixup_generalILi128ELi16ELi1EEvPfPK15HIP_vector_typeIfLj2EEiiiiS1_IjLj3EES5_S5_S5_.kd
    .uniform_work_group_size: 1
    .uses_dynamic_stack: false
    .vgpr_count:     19
    .vgpr_spill_count: 0
    .wavefront_size: 32
    .workgroup_processor_mode: 1
  - .args:
      - .address_space:  global
        .offset:         0
        .size:           8
        .value_kind:     global_buffer
      - .address_space:  global
        .offset:         8
        .size:           8
        .value_kind:     global_buffer
      - .address_space:  global
        .offset:         16
        .size:           8
        .value_kind:     global_buffer
      - .address_space:  global
        .offset:         24
        .size:           8
        .value_kind:     global_buffer
      - .address_space:  global
        .offset:         32
        .size:           8
        .value_kind:     global_buffer
      - .address_space:  global
        .offset:         40
        .size:           8
        .value_kind:     global_buffer
      - .address_space:  global
        .offset:         48
        .size:           8
        .value_kind:     global_buffer
      - .address_space:  global
        .offset:         56
        .size:           8
        .value_kind:     global_buffer
      - .offset:         64
        .size:           4
        .value_kind:     by_value
      - .offset:         68
        .size:           4
        .value_kind:     by_value
      - .offset:         72
        .size:           4
        .value_kind:     by_value
      - .offset:         76
        .size:           4
        .value_kind:     by_value
      - .offset:         80
        .size:           4
        .value_kind:     by_value
      - .offset:         84
        .size:           4
        .value_kind:     by_value
      - .offset:         88
        .size:           4
        .value_kind:     by_value
      - .offset:         92
        .size:           12
        .value_kind:     by_value
      - .offset:         104
        .size:           4
        .value_kind:     by_value
      - .offset:         108
        .size:           4
        .value_kind:     by_value
      - .offset:         112
        .size:           4
        .value_kind:     by_value
      - .offset:         116
        .size:           4
        .value_kind:     by_value
      - .offset:         120
        .size:           4
        .value_kind:     by_value
      - .offset:         124
        .size:           4
        .value_kind:     by_value
      - .offset:         128
        .size:           4
        .value_kind:     by_value
      - .offset:         132
        .size:           4
        .value_kind:     by_value
      - .offset:         136
        .size:           4
        .value_kind:     by_value
      - .offset:         140
        .size:           4
        .value_kind:     by_value
      - .offset:         144
        .size:           4
        .value_kind:     by_value
      - .offset:         152
        .size:           8
        .value_kind:     by_value
      - .offset:         160
        .size:           4
        .value_kind:     by_value
      - .offset:         164
        .size:           4
        .value_kind:     by_value
      - .offset:         168
        .size:           8
        .value_kind:     by_value
      - .offset:         176
        .size:           4
        .value_kind:     by_value
      - .offset:         180
        .size:           4
        .value_kind:     by_value
      - .offset:         184
        .size:           4
        .value_kind:     by_value
      - .offset:         188
        .size:           4
        .value_kind:     by_value
      - .offset:         192
        .size:           4
        .value_kind:     by_value
      - .offset:         200
        .size:           8
        .value_kind:     by_value
      - .offset:         208
        .size:           4
        .value_kind:     hidden_block_count_x
      - .offset:         212
        .size:           4
        .value_kind:     hidden_block_count_y
      - .offset:         216
        .size:           4
        .value_kind:     hidden_block_count_z
      - .offset:         220
        .size:           2
        .value_kind:     hidden_group_size_x
      - .offset:         222
        .size:           2
        .value_kind:     hidden_group_size_y
      - .offset:         224
        .size:           2
        .value_kind:     hidden_group_size_z
      - .offset:         226
        .size:           2
        .value_kind:     hidden_remainder_x
      - .offset:         228
        .size:           2
        .value_kind:     hidden_remainder_y
      - .offset:         230
        .size:           2
        .value_kind:     hidden_remainder_z
      - .offset:         248
        .size:           8
        .value_kind:     hidden_global_offset_x
      - .offset:         256
        .size:           8
        .value_kind:     hidden_global_offset_y
      - .offset:         264
        .size:           8
        .value_kind:     hidden_global_offset_z
      - .offset:         272
        .size:           2
        .value_kind:     hidden_grid_dims
    .group_segment_fixed_size: 12288
    .kernarg_segment_align: 8
    .kernarg_segment_size: 464
    .language:       OpenCL C
    .language_version:
      - 2
      - 0
    .max_flat_workgroup_size: 128
    .name:           _ZL15flash_attn_tileILi128ELi128ELi8ELi1ELb0EEvPKcS1_S1_S1_S1_PKiPfP15HIP_vector_typeIfLj2EEffffjfiS5_IjLj3EEiiiiiiiiiiiliiliiiiil
    .private_segment_fixed_size: 32
    .sgpr_count:     49
    .sgpr_spill_count: 0
    .symbol:         _ZL15flash_attn_tileILi128ELi128ELi8ELi1ELb0EEvPKcS1_S1_S1_S1_PKiPfP15HIP_vector_typeIfLj2EEffffjfiS5_IjLj3EEiiiiiiiiiiiliiliiiiil.kd
    .uniform_work_group_size: 1
    .uses_dynamic_stack: false
    .vgpr_count:     183
    .vgpr_spill_count: 0
    .wavefront_size: 32
    .workgroup_processor_mode: 1
  - .args:
      - .address_space:  global
        .offset:         0
        .size:           8
        .value_kind:     global_buffer
      - .address_space:  global
        .offset:         8
        .size:           8
        .value_kind:     global_buffer
      - .offset:         16
        .size:           4
        .value_kind:     by_value
      - .offset:         20
        .size:           4
        .value_kind:     by_value
      - .offset:         24
        .size:           4
        .value_kind:     by_value
      - .offset:         28
        .size:           4
        .value_kind:     by_value
      - .offset:         32
        .size:           4
        .value_kind:     by_value
      - .offset:         36
        .size:           4
        .value_kind:     by_value
      - .offset:         40
        .size:           12
        .value_kind:     by_value
      - .offset:         52
        .size:           12
        .value_kind:     by_value
      - .offset:         64
        .size:           12
        .value_kind:     by_value
    .group_segment_fixed_size: 0
    .kernarg_segment_align: 8
    .kernarg_segment_size: 76
    .language:       OpenCL C
    .language_version:
      - 2
      - 0
    .max_flat_workgroup_size: 128
    .name:           _ZL33flash_attn_stream_k_fixup_uniformILi128ELi8ELi1EEvPfPK15HIP_vector_typeIfLj2EEiiiiiiS1_IjLj3EES5_S5_
    .private_segment_fixed_size: 0
    .sgpr_count:     22
    .sgpr_spill_count: 0
    .symbol:         _ZL33flash_attn_stream_k_fixup_uniformILi128ELi8ELi1EEvPfPK15HIP_vector_typeIfLj2EEiiiiiiS1_IjLj3EES5_S5_.kd
    .uniform_work_group_size: 1
    .uses_dynamic_stack: false
    .vgpr_count:     15
    .vgpr_spill_count: 0
    .wavefront_size: 32
    .workgroup_processor_mode: 1
  - .args:
      - .address_space:  global
        .offset:         0
        .size:           8
        .value_kind:     global_buffer
      - .address_space:  global
        .offset:         8
        .size:           8
        .value_kind:     global_buffer
      - .offset:         16
        .size:           4
        .value_kind:     by_value
      - .offset:         20
        .size:           4
        .value_kind:     by_value
      - .offset:         24
        .size:           4
        .value_kind:     by_value
      - .offset:         28
        .size:           4
        .value_kind:     by_value
      - .offset:         32
        .size:           12
        .value_kind:     by_value
      - .offset:         44
        .size:           12
        .value_kind:     by_value
      - .offset:         56
        .size:           12
        .value_kind:     by_value
      - .offset:         68
        .size:           12
        .value_kind:     by_value
      - .offset:         80
        .size:           4
        .value_kind:     hidden_block_count_x
      - .offset:         84
        .size:           4
        .value_kind:     hidden_block_count_y
      - .offset:         88
        .size:           4
        .value_kind:     hidden_block_count_z
      - .offset:         92
        .size:           2
        .value_kind:     hidden_group_size_x
      - .offset:         94
        .size:           2
        .value_kind:     hidden_group_size_y
      - .offset:         96
        .size:           2
        .value_kind:     hidden_group_size_z
      - .offset:         98
        .size:           2
        .value_kind:     hidden_remainder_x
      - .offset:         100
        .size:           2
        .value_kind:     hidden_remainder_y
      - .offset:         102
        .size:           2
        .value_kind:     hidden_remainder_z
      - .offset:         120
        .size:           8
        .value_kind:     hidden_global_offset_x
      - .offset:         128
        .size:           8
        .value_kind:     hidden_global_offset_y
      - .offset:         136
        .size:           8
        .value_kind:     hidden_global_offset_z
      - .offset:         144
        .size:           2
        .value_kind:     hidden_grid_dims
    .group_segment_fixed_size: 0
    .kernarg_segment_align: 8
    .kernarg_segment_size: 336
    .language:       OpenCL C
    .language_version:
      - 2
      - 0
    .max_flat_workgroup_size: 128
    .name:           _ZL33flash_attn_stream_k_fixup_generalILi128ELi8ELi1EEvPfPK15HIP_vector_typeIfLj2EEiiiiS1_IjLj3EES5_S5_S5_
    .private_segment_fixed_size: 0
    .sgpr_count:     34
    .sgpr_spill_count: 0
    .symbol:         _ZL33flash_attn_stream_k_fixup_generalILi128ELi8ELi1EEvPfPK15HIP_vector_typeIfLj2EEiiiiS1_IjLj3EES5_S5_S5_.kd
    .uniform_work_group_size: 1
    .uses_dynamic_stack: false
    .vgpr_count:     19
    .vgpr_spill_count: 0
    .wavefront_size: 32
    .workgroup_processor_mode: 1
  - .args:
      - .address_space:  global
        .offset:         0
        .size:           8
        .value_kind:     global_buffer
      - .address_space:  global
        .offset:         8
        .size:           8
        .value_kind:     global_buffer
      - .address_space:  global
        .offset:         16
        .size:           8
        .value_kind:     global_buffer
      - .address_space:  global
        .offset:         24
        .size:           8
        .value_kind:     global_buffer
      - .address_space:  global
        .offset:         32
        .size:           8
        .value_kind:     global_buffer
      - .address_space:  global
        .offset:         40
        .size:           8
        .value_kind:     global_buffer
      - .address_space:  global
        .offset:         48
        .size:           8
        .value_kind:     global_buffer
      - .address_space:  global
        .offset:         56
        .size:           8
        .value_kind:     global_buffer
      - .offset:         64
        .size:           4
        .value_kind:     by_value
      - .offset:         68
        .size:           4
        .value_kind:     by_value
      - .offset:         72
        .size:           4
        .value_kind:     by_value
      - .offset:         76
        .size:           4
        .value_kind:     by_value
      - .offset:         80
        .size:           4
        .value_kind:     by_value
      - .offset:         84
        .size:           4
        .value_kind:     by_value
      - .offset:         88
        .size:           4
        .value_kind:     by_value
      - .offset:         92
        .size:           12
        .value_kind:     by_value
      - .offset:         104
        .size:           4
        .value_kind:     by_value
      - .offset:         108
        .size:           4
        .value_kind:     by_value
      - .offset:         112
        .size:           4
        .value_kind:     by_value
      - .offset:         116
        .size:           4
        .value_kind:     by_value
      - .offset:         120
        .size:           4
        .value_kind:     by_value
      - .offset:         124
        .size:           4
        .value_kind:     by_value
      - .offset:         128
        .size:           4
        .value_kind:     by_value
      - .offset:         132
        .size:           4
        .value_kind:     by_value
      - .offset:         136
        .size:           4
        .value_kind:     by_value
      - .offset:         140
        .size:           4
        .value_kind:     by_value
      - .offset:         144
        .size:           4
        .value_kind:     by_value
      - .offset:         152
        .size:           8
        .value_kind:     by_value
      - .offset:         160
        .size:           4
        .value_kind:     by_value
      - .offset:         164
        .size:           4
        .value_kind:     by_value
      - .offset:         168
        .size:           8
        .value_kind:     by_value
      - .offset:         176
        .size:           4
        .value_kind:     by_value
      - .offset:         180
        .size:           4
        .value_kind:     by_value
      - .offset:         184
        .size:           4
        .value_kind:     by_value
      - .offset:         188
        .size:           4
        .value_kind:     by_value
      - .offset:         192
        .size:           4
        .value_kind:     by_value
      - .offset:         200
        .size:           8
        .value_kind:     by_value
      - .offset:         208
        .size:           4
        .value_kind:     hidden_block_count_x
      - .offset:         212
        .size:           4
        .value_kind:     hidden_block_count_y
      - .offset:         216
        .size:           4
        .value_kind:     hidden_block_count_z
      - .offset:         220
        .size:           2
        .value_kind:     hidden_group_size_x
      - .offset:         222
        .size:           2
        .value_kind:     hidden_group_size_y
      - .offset:         224
        .size:           2
        .value_kind:     hidden_group_size_z
      - .offset:         226
        .size:           2
        .value_kind:     hidden_remainder_x
      - .offset:         228
        .size:           2
        .value_kind:     hidden_remainder_y
      - .offset:         230
        .size:           2
        .value_kind:     hidden_remainder_z
      - .offset:         248
        .size:           8
        .value_kind:     hidden_global_offset_x
      - .offset:         256
        .size:           8
        .value_kind:     hidden_global_offset_y
      - .offset:         264
        .size:           8
        .value_kind:     hidden_global_offset_z
      - .offset:         272
        .size:           2
        .value_kind:     hidden_grid_dims
    .group_segment_fixed_size: 10752
    .kernarg_segment_align: 8
    .kernarg_segment_size: 464
    .language:       OpenCL C
    .language_version:
      - 2
      - 0
    .max_flat_workgroup_size: 128
    .name:           _ZL15flash_attn_tileILi128ELi128ELi4ELi1ELb0EEvPKcS1_S1_S1_S1_PKiPfP15HIP_vector_typeIfLj2EEffffjfiS5_IjLj3EEiiiiiiiiiiiliiliiiiil
    .private_segment_fixed_size: 32
    .sgpr_count:     54
    .sgpr_spill_count: 0
    .symbol:         _ZL15flash_attn_tileILi128ELi128ELi4ELi1ELb0EEvPKcS1_S1_S1_S1_PKiPfP15HIP_vector_typeIfLj2EEffffjfiS5_IjLj3EEiiiiiiiiiiiliiliiiiil.kd
    .uniform_work_group_size: 1
    .uses_dynamic_stack: false
    .vgpr_count:     154
    .vgpr_spill_count: 0
    .wavefront_size: 32
    .workgroup_processor_mode: 1
  - .args:
      - .address_space:  global
        .offset:         0
        .size:           8
        .value_kind:     global_buffer
      - .address_space:  global
        .offset:         8
        .size:           8
        .value_kind:     global_buffer
      - .offset:         16
        .size:           4
        .value_kind:     by_value
      - .offset:         20
        .size:           4
        .value_kind:     by_value
      - .offset:         24
        .size:           4
        .value_kind:     by_value
      - .offset:         28
        .size:           4
        .value_kind:     by_value
      - .offset:         32
        .size:           4
        .value_kind:     by_value
      - .offset:         36
        .size:           4
        .value_kind:     by_value
      - .offset:         40
        .size:           12
        .value_kind:     by_value
      - .offset:         52
        .size:           12
        .value_kind:     by_value
      - .offset:         64
        .size:           12
        .value_kind:     by_value
    .group_segment_fixed_size: 0
    .kernarg_segment_align: 8
    .kernarg_segment_size: 76
    .language:       OpenCL C
    .language_version:
      - 2
      - 0
    .max_flat_workgroup_size: 128
    .name:           _ZL33flash_attn_stream_k_fixup_uniformILi128ELi4ELi1EEvPfPK15HIP_vector_typeIfLj2EEiiiiiiS1_IjLj3EES5_S5_
    .private_segment_fixed_size: 0
    .sgpr_count:     22
    .sgpr_spill_count: 0
    .symbol:         _ZL33flash_attn_stream_k_fixup_uniformILi128ELi4ELi1EEvPfPK15HIP_vector_typeIfLj2EEiiiiiiS1_IjLj3EES5_S5_.kd
    .uniform_work_group_size: 1
    .uses_dynamic_stack: false
    .vgpr_count:     15
    .vgpr_spill_count: 0
    .wavefront_size: 32
    .workgroup_processor_mode: 1
  - .args:
      - .address_space:  global
        .offset:         0
        .size:           8
        .value_kind:     global_buffer
      - .address_space:  global
        .offset:         8
        .size:           8
        .value_kind:     global_buffer
      - .offset:         16
        .size:           4
        .value_kind:     by_value
      - .offset:         20
        .size:           4
        .value_kind:     by_value
      - .offset:         24
        .size:           4
        .value_kind:     by_value
      - .offset:         28
        .size:           4
        .value_kind:     by_value
      - .offset:         32
        .size:           12
        .value_kind:     by_value
      - .offset:         44
        .size:           12
        .value_kind:     by_value
      - .offset:         56
        .size:           12
        .value_kind:     by_value
      - .offset:         68
        .size:           12
        .value_kind:     by_value
      - .offset:         80
        .size:           4
        .value_kind:     hidden_block_count_x
      - .offset:         84
        .size:           4
        .value_kind:     hidden_block_count_y
      - .offset:         88
        .size:           4
        .value_kind:     hidden_block_count_z
      - .offset:         92
        .size:           2
        .value_kind:     hidden_group_size_x
      - .offset:         94
        .size:           2
        .value_kind:     hidden_group_size_y
      - .offset:         96
        .size:           2
        .value_kind:     hidden_group_size_z
      - .offset:         98
        .size:           2
        .value_kind:     hidden_remainder_x
      - .offset:         100
        .size:           2
        .value_kind:     hidden_remainder_y
      - .offset:         102
        .size:           2
        .value_kind:     hidden_remainder_z
      - .offset:         120
        .size:           8
        .value_kind:     hidden_global_offset_x
      - .offset:         128
        .size:           8
        .value_kind:     hidden_global_offset_y
      - .offset:         136
        .size:           8
        .value_kind:     hidden_global_offset_z
      - .offset:         144
        .size:           2
        .value_kind:     hidden_grid_dims
    .group_segment_fixed_size: 0
    .kernarg_segment_align: 8
    .kernarg_segment_size: 336
    .language:       OpenCL C
    .language_version:
      - 2
      - 0
    .max_flat_workgroup_size: 128
    .name:           _ZL33flash_attn_stream_k_fixup_generalILi128ELi4ELi1EEvPfPK15HIP_vector_typeIfLj2EEiiiiS1_IjLj3EES5_S5_S5_
    .private_segment_fixed_size: 0
    .sgpr_count:     34
    .sgpr_spill_count: 0
    .symbol:         _ZL33flash_attn_stream_k_fixup_generalILi128ELi4ELi1EEvPfPK15HIP_vector_typeIfLj2EEiiiiS1_IjLj3EES5_S5_S5_.kd
    .uniform_work_group_size: 1
    .uses_dynamic_stack: false
    .vgpr_count:     19
    .vgpr_spill_count: 0
    .wavefront_size: 32
    .workgroup_processor_mode: 1
  - .args:
      - .address_space:  global
        .offset:         0
        .size:           8
        .value_kind:     global_buffer
      - .address_space:  global
        .offset:         8
        .size:           8
        .value_kind:     global_buffer
      - .address_space:  global
        .offset:         16
        .size:           8
        .value_kind:     global_buffer
      - .address_space:  global
        .offset:         24
        .size:           8
        .value_kind:     global_buffer
      - .address_space:  global
        .offset:         32
        .size:           8
        .value_kind:     global_buffer
      - .address_space:  global
        .offset:         40
        .size:           8
        .value_kind:     global_buffer
      - .address_space:  global
        .offset:         48
        .size:           8
        .value_kind:     global_buffer
      - .address_space:  global
        .offset:         56
        .size:           8
        .value_kind:     global_buffer
      - .offset:         64
        .size:           4
        .value_kind:     by_value
      - .offset:         68
        .size:           4
        .value_kind:     by_value
      - .offset:         72
        .size:           4
        .value_kind:     by_value
      - .offset:         76
        .size:           4
        .value_kind:     by_value
      - .offset:         80
        .size:           4
        .value_kind:     by_value
      - .offset:         84
        .size:           4
        .value_kind:     by_value
      - .offset:         88
        .size:           4
        .value_kind:     by_value
      - .offset:         92
        .size:           12
        .value_kind:     by_value
      - .offset:         104
        .size:           4
        .value_kind:     by_value
      - .offset:         108
        .size:           4
        .value_kind:     by_value
      - .offset:         112
        .size:           4
        .value_kind:     by_value
      - .offset:         116
        .size:           4
        .value_kind:     by_value
      - .offset:         120
        .size:           4
        .value_kind:     by_value
      - .offset:         124
        .size:           4
        .value_kind:     by_value
      - .offset:         128
        .size:           4
        .value_kind:     by_value
      - .offset:         132
        .size:           4
        .value_kind:     by_value
      - .offset:         136
        .size:           4
        .value_kind:     by_value
      - .offset:         140
        .size:           4
        .value_kind:     by_value
      - .offset:         144
        .size:           4
        .value_kind:     by_value
      - .offset:         152
        .size:           8
        .value_kind:     by_value
      - .offset:         160
        .size:           4
        .value_kind:     by_value
      - .offset:         164
        .size:           4
        .value_kind:     by_value
      - .offset:         168
        .size:           8
        .value_kind:     by_value
      - .offset:         176
        .size:           4
        .value_kind:     by_value
      - .offset:         180
        .size:           4
        .value_kind:     by_value
      - .offset:         184
        .size:           4
        .value_kind:     by_value
      - .offset:         188
        .size:           4
        .value_kind:     by_value
      - .offset:         192
        .size:           4
        .value_kind:     by_value
      - .offset:         200
        .size:           8
        .value_kind:     by_value
      - .offset:         208
        .size:           4
        .value_kind:     hidden_block_count_x
      - .offset:         212
        .size:           4
        .value_kind:     hidden_block_count_y
      - .offset:         216
        .size:           4
        .value_kind:     hidden_block_count_z
      - .offset:         220
        .size:           2
        .value_kind:     hidden_group_size_x
      - .offset:         222
        .size:           2
        .value_kind:     hidden_group_size_y
      - .offset:         224
        .size:           2
        .value_kind:     hidden_group_size_z
      - .offset:         226
        .size:           2
        .value_kind:     hidden_remainder_x
      - .offset:         228
        .size:           2
        .value_kind:     hidden_remainder_y
      - .offset:         230
        .size:           2
        .value_kind:     hidden_remainder_z
      - .offset:         248
        .size:           8
        .value_kind:     hidden_global_offset_x
      - .offset:         256
        .size:           8
        .value_kind:     hidden_global_offset_y
      - .offset:         264
        .size:           8
        .value_kind:     hidden_global_offset_z
      - .offset:         272
        .size:           2
        .value_kind:     hidden_grid_dims
    .group_segment_fixed_size: 5248
    .kernarg_segment_align: 8
    .kernarg_segment_size: 464
    .language:       OpenCL C
    .language_version:
      - 2
      - 0
    .max_flat_workgroup_size: 64
    .name:           _ZL15flash_attn_tileILi128ELi128ELi2ELi1ELb0EEvPKcS1_S1_S1_S1_PKiPfP15HIP_vector_typeIfLj2EEffffjfiS5_IjLj3EEiiiiiiiiiiiliiliiiiil
    .private_segment_fixed_size: 32
    .sgpr_count:     54
    .sgpr_spill_count: 0
    .symbol:         _ZL15flash_attn_tileILi128ELi128ELi2ELi1ELb0EEvPKcS1_S1_S1_S1_PKiPfP15HIP_vector_typeIfLj2EEffffjfiS5_IjLj3EEiiiiiiiiiiiliiliiiiil.kd
    .uniform_work_group_size: 1
    .uses_dynamic_stack: false
    .vgpr_count:     112
    .vgpr_spill_count: 0
    .wavefront_size: 32
    .workgroup_processor_mode: 1
  - .args:
      - .address_space:  global
        .offset:         0
        .size:           8
        .value_kind:     global_buffer
      - .address_space:  global
        .offset:         8
        .size:           8
        .value_kind:     global_buffer
      - .offset:         16
        .size:           4
        .value_kind:     by_value
      - .offset:         20
        .size:           4
        .value_kind:     by_value
      - .offset:         24
        .size:           4
        .value_kind:     by_value
      - .offset:         28
        .size:           4
        .value_kind:     by_value
      - .offset:         32
        .size:           4
        .value_kind:     by_value
      - .offset:         36
        .size:           4
        .value_kind:     by_value
      - .offset:         40
        .size:           12
        .value_kind:     by_value
      - .offset:         52
        .size:           12
        .value_kind:     by_value
      - .offset:         64
        .size:           12
        .value_kind:     by_value
    .group_segment_fixed_size: 0
    .kernarg_segment_align: 8
    .kernarg_segment_size: 76
    .language:       OpenCL C
    .language_version:
      - 2
      - 0
    .max_flat_workgroup_size: 128
    .name:           _ZL33flash_attn_stream_k_fixup_uniformILi128ELi2ELi1EEvPfPK15HIP_vector_typeIfLj2EEiiiiiiS1_IjLj3EES5_S5_
    .private_segment_fixed_size: 0
    .sgpr_count:     22
    .sgpr_spill_count: 0
    .symbol:         _ZL33flash_attn_stream_k_fixup_uniformILi128ELi2ELi1EEvPfPK15HIP_vector_typeIfLj2EEiiiiiiS1_IjLj3EES5_S5_.kd
    .uniform_work_group_size: 1
    .uses_dynamic_stack: false
    .vgpr_count:     15
    .vgpr_spill_count: 0
    .wavefront_size: 32
    .workgroup_processor_mode: 1
  - .args:
      - .address_space:  global
        .offset:         0
        .size:           8
        .value_kind:     global_buffer
      - .address_space:  global
        .offset:         8
        .size:           8
        .value_kind:     global_buffer
      - .offset:         16
        .size:           4
        .value_kind:     by_value
      - .offset:         20
        .size:           4
        .value_kind:     by_value
      - .offset:         24
        .size:           4
        .value_kind:     by_value
      - .offset:         28
        .size:           4
        .value_kind:     by_value
      - .offset:         32
        .size:           12
        .value_kind:     by_value
      - .offset:         44
        .size:           12
        .value_kind:     by_value
      - .offset:         56
        .size:           12
        .value_kind:     by_value
      - .offset:         68
        .size:           12
        .value_kind:     by_value
      - .offset:         80
        .size:           4
        .value_kind:     hidden_block_count_x
      - .offset:         84
        .size:           4
        .value_kind:     hidden_block_count_y
      - .offset:         88
        .size:           4
        .value_kind:     hidden_block_count_z
      - .offset:         92
        .size:           2
        .value_kind:     hidden_group_size_x
      - .offset:         94
        .size:           2
        .value_kind:     hidden_group_size_y
      - .offset:         96
        .size:           2
        .value_kind:     hidden_group_size_z
      - .offset:         98
        .size:           2
        .value_kind:     hidden_remainder_x
      - .offset:         100
        .size:           2
        .value_kind:     hidden_remainder_y
      - .offset:         102
        .size:           2
        .value_kind:     hidden_remainder_z
      - .offset:         120
        .size:           8
        .value_kind:     hidden_global_offset_x
      - .offset:         128
        .size:           8
        .value_kind:     hidden_global_offset_y
      - .offset:         136
        .size:           8
        .value_kind:     hidden_global_offset_z
      - .offset:         144
        .size:           2
        .value_kind:     hidden_grid_dims
    .group_segment_fixed_size: 0
    .kernarg_segment_align: 8
    .kernarg_segment_size: 336
    .language:       OpenCL C
    .language_version:
      - 2
      - 0
    .max_flat_workgroup_size: 128
    .name:           _ZL33flash_attn_stream_k_fixup_generalILi128ELi2ELi1EEvPfPK15HIP_vector_typeIfLj2EEiiiiS1_IjLj3EES5_S5_S5_
    .private_segment_fixed_size: 0
    .sgpr_count:     34
    .sgpr_spill_count: 0
    .symbol:         _ZL33flash_attn_stream_k_fixup_generalILi128ELi2ELi1EEvPfPK15HIP_vector_typeIfLj2EEiiiiS1_IjLj3EES5_S5_S5_.kd
    .uniform_work_group_size: 1
    .uses_dynamic_stack: false
    .vgpr_count:     19
    .vgpr_spill_count: 0
    .wavefront_size: 32
    .workgroup_processor_mode: 1
  - .args:
      - .address_space:  global
        .offset:         0
        .size:           8
        .value_kind:     global_buffer
      - .address_space:  global
        .offset:         8
        .size:           8
        .value_kind:     global_buffer
      - .address_space:  global
        .offset:         16
        .size:           8
        .value_kind:     global_buffer
      - .address_space:  global
        .offset:         24
        .size:           8
        .value_kind:     global_buffer
      - .address_space:  global
        .offset:         32
        .size:           8
        .value_kind:     global_buffer
      - .address_space:  global
        .offset:         40
        .size:           8
        .value_kind:     global_buffer
      - .address_space:  global
        .offset:         48
        .size:           8
        .value_kind:     global_buffer
      - .address_space:  global
        .offset:         56
        .size:           8
        .value_kind:     global_buffer
      - .offset:         64
        .size:           4
        .value_kind:     by_value
      - .offset:         68
        .size:           4
        .value_kind:     by_value
      - .offset:         72
        .size:           4
        .value_kind:     by_value
      - .offset:         76
        .size:           4
        .value_kind:     by_value
      - .offset:         80
        .size:           4
        .value_kind:     by_value
      - .offset:         84
        .size:           4
        .value_kind:     by_value
      - .offset:         88
        .size:           4
        .value_kind:     by_value
      - .offset:         92
        .size:           12
        .value_kind:     by_value
      - .offset:         104
        .size:           4
        .value_kind:     by_value
      - .offset:         108
        .size:           4
        .value_kind:     by_value
      - .offset:         112
        .size:           4
        .value_kind:     by_value
      - .offset:         116
        .size:           4
        .value_kind:     by_value
      - .offset:         120
        .size:           4
        .value_kind:     by_value
      - .offset:         124
        .size:           4
        .value_kind:     by_value
      - .offset:         128
        .size:           4
        .value_kind:     by_value
      - .offset:         132
        .size:           4
        .value_kind:     by_value
      - .offset:         136
        .size:           4
        .value_kind:     by_value
      - .offset:         140
        .size:           4
        .value_kind:     by_value
      - .offset:         144
        .size:           4
        .value_kind:     by_value
      - .offset:         152
        .size:           8
        .value_kind:     by_value
      - .offset:         160
        .size:           4
        .value_kind:     by_value
      - .offset:         164
        .size:           4
        .value_kind:     by_value
      - .offset:         168
        .size:           8
        .value_kind:     by_value
      - .offset:         176
        .size:           4
        .value_kind:     by_value
      - .offset:         180
        .size:           4
        .value_kind:     by_value
      - .offset:         184
        .size:           4
        .value_kind:     by_value
      - .offset:         188
        .size:           4
        .value_kind:     by_value
      - .offset:         192
        .size:           4
        .value_kind:     by_value
      - .offset:         200
        .size:           8
        .value_kind:     by_value
      - .offset:         208
        .size:           4
        .value_kind:     hidden_block_count_x
      - .offset:         212
        .size:           4
        .value_kind:     hidden_block_count_y
      - .offset:         216
        .size:           4
        .value_kind:     hidden_block_count_z
      - .offset:         220
        .size:           2
        .value_kind:     hidden_group_size_x
      - .offset:         222
        .size:           2
        .value_kind:     hidden_group_size_y
      - .offset:         224
        .size:           2
        .value_kind:     hidden_group_size_z
      - .offset:         226
        .size:           2
        .value_kind:     hidden_remainder_x
      - .offset:         228
        .size:           2
        .value_kind:     hidden_remainder_y
      - .offset:         230
        .size:           2
        .value_kind:     hidden_remainder_z
      - .offset:         248
        .size:           8
        .value_kind:     hidden_global_offset_x
      - .offset:         256
        .size:           8
        .value_kind:     hidden_global_offset_y
      - .offset:         264
        .size:           8
        .value_kind:     hidden_global_offset_z
      - .offset:         272
        .size:           2
        .value_kind:     hidden_grid_dims
    .group_segment_fixed_size: 33792
    .kernarg_segment_align: 8
    .kernarg_segment_size: 464
    .language:       OpenCL C
    .language_version:
      - 2
      - 0
    .max_flat_workgroup_size: 256
    .name:           _ZL15flash_attn_tileILi128ELi128ELi8ELi8ELb1EEvPKcS1_S1_S1_S1_PKiPfP15HIP_vector_typeIfLj2EEffffjfiS5_IjLj3EEiiiiiiiiiiiliiliiiiil
    .private_segment_fixed_size: 0
    .sgpr_count:     42
    .sgpr_spill_count: 0
    .symbol:         _ZL15flash_attn_tileILi128ELi128ELi8ELi8ELb1EEvPKcS1_S1_S1_S1_PKiPfP15HIP_vector_typeIfLj2EEffffjfiS5_IjLj3EEiiiiiiiiiiiliiliiiiil.kd
    .uniform_work_group_size: 1
    .uses_dynamic_stack: false
    .vgpr_count:     201
    .vgpr_spill_count: 0
    .wavefront_size: 32
    .workgroup_processor_mode: 1
  - .args:
      - .address_space:  global
        .offset:         0
        .size:           8
        .value_kind:     global_buffer
      - .address_space:  global
        .offset:         8
        .size:           8
        .value_kind:     global_buffer
      - .address_space:  global
        .offset:         16
        .size:           8
        .value_kind:     global_buffer
      - .address_space:  global
        .offset:         24
        .size:           8
        .value_kind:     global_buffer
      - .address_space:  global
        .offset:         32
        .size:           8
        .value_kind:     global_buffer
      - .address_space:  global
        .offset:         40
        .size:           8
        .value_kind:     global_buffer
      - .address_space:  global
        .offset:         48
        .size:           8
        .value_kind:     global_buffer
      - .address_space:  global
        .offset:         56
        .size:           8
        .value_kind:     global_buffer
      - .offset:         64
        .size:           4
        .value_kind:     by_value
      - .offset:         68
        .size:           4
        .value_kind:     by_value
      - .offset:         72
        .size:           4
        .value_kind:     by_value
      - .offset:         76
        .size:           4
        .value_kind:     by_value
      - .offset:         80
        .size:           4
        .value_kind:     by_value
      - .offset:         84
        .size:           4
        .value_kind:     by_value
      - .offset:         88
        .size:           4
        .value_kind:     by_value
      - .offset:         92
        .size:           12
        .value_kind:     by_value
      - .offset:         104
        .size:           4
        .value_kind:     by_value
      - .offset:         108
        .size:           4
        .value_kind:     by_value
      - .offset:         112
        .size:           4
        .value_kind:     by_value
      - .offset:         116
        .size:           4
        .value_kind:     by_value
      - .offset:         120
        .size:           4
        .value_kind:     by_value
      - .offset:         124
        .size:           4
        .value_kind:     by_value
      - .offset:         128
        .size:           4
        .value_kind:     by_value
      - .offset:         132
        .size:           4
        .value_kind:     by_value
      - .offset:         136
        .size:           4
        .value_kind:     by_value
      - .offset:         140
        .size:           4
        .value_kind:     by_value
      - .offset:         144
        .size:           4
        .value_kind:     by_value
      - .offset:         152
        .size:           8
        .value_kind:     by_value
      - .offset:         160
        .size:           4
        .value_kind:     by_value
      - .offset:         164
        .size:           4
        .value_kind:     by_value
      - .offset:         168
        .size:           8
        .value_kind:     by_value
      - .offset:         176
        .size:           4
        .value_kind:     by_value
      - .offset:         180
        .size:           4
        .value_kind:     by_value
      - .offset:         184
        .size:           4
        .value_kind:     by_value
      - .offset:         188
        .size:           4
        .value_kind:     by_value
      - .offset:         192
        .size:           4
        .value_kind:     by_value
      - .offset:         200
        .size:           8
        .value_kind:     by_value
      - .offset:         208
        .size:           4
        .value_kind:     hidden_block_count_x
      - .offset:         212
        .size:           4
        .value_kind:     hidden_block_count_y
      - .offset:         216
        .size:           4
        .value_kind:     hidden_block_count_z
      - .offset:         220
        .size:           2
        .value_kind:     hidden_group_size_x
      - .offset:         222
        .size:           2
        .value_kind:     hidden_group_size_y
      - .offset:         224
        .size:           2
        .value_kind:     hidden_group_size_z
      - .offset:         226
        .size:           2
        .value_kind:     hidden_remainder_x
      - .offset:         228
        .size:           2
        .value_kind:     hidden_remainder_y
      - .offset:         230
        .size:           2
        .value_kind:     hidden_remainder_z
      - .offset:         248
        .size:           8
        .value_kind:     hidden_global_offset_x
      - .offset:         256
        .size:           8
        .value_kind:     hidden_global_offset_y
      - .offset:         264
        .size:           8
        .value_kind:     hidden_global_offset_z
      - .offset:         272
        .size:           2
        .value_kind:     hidden_grid_dims
    .group_segment_fixed_size: 34816
    .kernarg_segment_align: 8
    .kernarg_segment_size: 464
    .language:       OpenCL C
    .language_version:
      - 2
      - 0
    .max_flat_workgroup_size: 256
    .name:           _ZL15flash_attn_tileILi128ELi128ELi4ELi8ELb1EEvPKcS1_S1_S1_S1_PKiPfP15HIP_vector_typeIfLj2EEffffjfiS5_IjLj3EEiiiiiiiiiiiliiliiiiil
    .private_segment_fixed_size: 0
    .sgpr_count:     42
    .sgpr_spill_count: 0
    .symbol:         _ZL15flash_attn_tileILi128ELi128ELi4ELi8ELb1EEvPKcS1_S1_S1_S1_PKiPfP15HIP_vector_typeIfLj2EEffffjfiS5_IjLj3EEiiiiiiiiiiiliiliiiiil.kd
    .uniform_work_group_size: 1
    .uses_dynamic_stack: false
    .vgpr_count:     250
    .vgpr_spill_count: 0
    .wavefront_size: 32
    .workgroup_processor_mode: 1
  - .args:
      - .address_space:  global
        .offset:         0
        .size:           8
        .value_kind:     global_buffer
      - .address_space:  global
        .offset:         8
        .size:           8
        .value_kind:     global_buffer
      - .address_space:  global
        .offset:         16
        .size:           8
        .value_kind:     global_buffer
      - .address_space:  global
        .offset:         24
        .size:           8
        .value_kind:     global_buffer
      - .address_space:  global
        .offset:         32
        .size:           8
        .value_kind:     global_buffer
      - .address_space:  global
        .offset:         40
        .size:           8
        .value_kind:     global_buffer
      - .address_space:  global
        .offset:         48
        .size:           8
        .value_kind:     global_buffer
      - .address_space:  global
        .offset:         56
        .size:           8
        .value_kind:     global_buffer
      - .offset:         64
        .size:           4
        .value_kind:     by_value
      - .offset:         68
        .size:           4
        .value_kind:     by_value
      - .offset:         72
        .size:           4
        .value_kind:     by_value
      - .offset:         76
        .size:           4
        .value_kind:     by_value
      - .offset:         80
        .size:           4
        .value_kind:     by_value
      - .offset:         84
        .size:           4
        .value_kind:     by_value
      - .offset:         88
        .size:           4
        .value_kind:     by_value
      - .offset:         92
        .size:           12
        .value_kind:     by_value
      - .offset:         104
        .size:           4
        .value_kind:     by_value
      - .offset:         108
        .size:           4
        .value_kind:     by_value
      - .offset:         112
        .size:           4
        .value_kind:     by_value
      - .offset:         116
        .size:           4
        .value_kind:     by_value
      - .offset:         120
        .size:           4
        .value_kind:     by_value
      - .offset:         124
        .size:           4
        .value_kind:     by_value
      - .offset:         128
        .size:           4
        .value_kind:     by_value
      - .offset:         132
        .size:           4
        .value_kind:     by_value
      - .offset:         136
        .size:           4
        .value_kind:     by_value
      - .offset:         140
        .size:           4
        .value_kind:     by_value
      - .offset:         144
        .size:           4
        .value_kind:     by_value
      - .offset:         152
        .size:           8
        .value_kind:     by_value
      - .offset:         160
        .size:           4
        .value_kind:     by_value
      - .offset:         164
        .size:           4
        .value_kind:     by_value
      - .offset:         168
        .size:           8
        .value_kind:     by_value
      - .offset:         176
        .size:           4
        .value_kind:     by_value
      - .offset:         180
        .size:           4
        .value_kind:     by_value
      - .offset:         184
        .size:           4
        .value_kind:     by_value
      - .offset:         188
        .size:           4
        .value_kind:     by_value
      - .offset:         192
        .size:           4
        .value_kind:     by_value
      - .offset:         200
        .size:           8
        .value_kind:     by_value
      - .offset:         208
        .size:           4
        .value_kind:     hidden_block_count_x
      - .offset:         212
        .size:           4
        .value_kind:     hidden_block_count_y
      - .offset:         216
        .size:           4
        .value_kind:     hidden_block_count_z
      - .offset:         220
        .size:           2
        .value_kind:     hidden_group_size_x
      - .offset:         222
        .size:           2
        .value_kind:     hidden_group_size_y
      - .offset:         224
        .size:           2
        .value_kind:     hidden_group_size_z
      - .offset:         226
        .size:           2
        .value_kind:     hidden_remainder_x
      - .offset:         228
        .size:           2
        .value_kind:     hidden_remainder_y
      - .offset:         230
        .size:           2
        .value_kind:     hidden_remainder_z
      - .offset:         248
        .size:           8
        .value_kind:     hidden_global_offset_x
      - .offset:         256
        .size:           8
        .value_kind:     hidden_global_offset_y
      - .offset:         264
        .size:           8
        .value_kind:     hidden_global_offset_z
      - .offset:         272
        .size:           2
        .value_kind:     hidden_grid_dims
    .group_segment_fixed_size: 43008
    .kernarg_segment_align: 8
    .kernarg_segment_size: 464
    .language:       OpenCL C
    .language_version:
      - 2
      - 0
    .max_flat_workgroup_size: 256
    .name:           _ZL15flash_attn_tileILi128ELi128ELi2ELi8ELb1EEvPKcS1_S1_S1_S1_PKiPfP15HIP_vector_typeIfLj2EEffffjfiS5_IjLj3EEiiiiiiiiiiiliiliiiiil
    .private_segment_fixed_size: 0
    .sgpr_count:     42
    .sgpr_spill_count: 0
    .symbol:         _ZL15flash_attn_tileILi128ELi128ELi2ELi8ELb1EEvPKcS1_S1_S1_S1_PKiPfP15HIP_vector_typeIfLj2EEffffjfiS5_IjLj3EEiiiiiiiiiiiliiliiiiil.kd
    .uniform_work_group_size: 1
    .uses_dynamic_stack: false
    .vgpr_count:     137
    .vgpr_spill_count: 0
    .wavefront_size: 32
    .workgroup_processor_mode: 1
  - .args:
      - .address_space:  global
        .offset:         0
        .size:           8
        .value_kind:     global_buffer
      - .address_space:  global
        .offset:         8
        .size:           8
        .value_kind:     global_buffer
      - .address_space:  global
        .offset:         16
        .size:           8
        .value_kind:     global_buffer
      - .address_space:  global
        .offset:         24
        .size:           8
        .value_kind:     global_buffer
      - .address_space:  global
        .offset:         32
        .size:           8
        .value_kind:     global_buffer
      - .address_space:  global
        .offset:         40
        .size:           8
        .value_kind:     global_buffer
      - .address_space:  global
        .offset:         48
        .size:           8
        .value_kind:     global_buffer
      - .address_space:  global
        .offset:         56
        .size:           8
        .value_kind:     global_buffer
      - .offset:         64
        .size:           4
        .value_kind:     by_value
      - .offset:         68
        .size:           4
        .value_kind:     by_value
      - .offset:         72
        .size:           4
        .value_kind:     by_value
      - .offset:         76
        .size:           4
        .value_kind:     by_value
      - .offset:         80
        .size:           4
        .value_kind:     by_value
      - .offset:         84
        .size:           4
        .value_kind:     by_value
      - .offset:         88
        .size:           4
        .value_kind:     by_value
      - .offset:         92
        .size:           12
        .value_kind:     by_value
      - .offset:         104
        .size:           4
        .value_kind:     by_value
      - .offset:         108
        .size:           4
        .value_kind:     by_value
      - .offset:         112
        .size:           4
        .value_kind:     by_value
      - .offset:         116
        .size:           4
        .value_kind:     by_value
      - .offset:         120
        .size:           4
        .value_kind:     by_value
      - .offset:         124
        .size:           4
        .value_kind:     by_value
      - .offset:         128
        .size:           4
        .value_kind:     by_value
      - .offset:         132
        .size:           4
        .value_kind:     by_value
      - .offset:         136
        .size:           4
        .value_kind:     by_value
      - .offset:         140
        .size:           4
        .value_kind:     by_value
      - .offset:         144
        .size:           4
        .value_kind:     by_value
      - .offset:         152
        .size:           8
        .value_kind:     by_value
      - .offset:         160
        .size:           4
        .value_kind:     by_value
      - .offset:         164
        .size:           4
        .value_kind:     by_value
      - .offset:         168
        .size:           8
        .value_kind:     by_value
      - .offset:         176
        .size:           4
        .value_kind:     by_value
      - .offset:         180
        .size:           4
        .value_kind:     by_value
      - .offset:         184
        .size:           4
        .value_kind:     by_value
      - .offset:         188
        .size:           4
        .value_kind:     by_value
      - .offset:         192
        .size:           4
        .value_kind:     by_value
      - .offset:         200
        .size:           8
        .value_kind:     by_value
      - .offset:         208
        .size:           4
        .value_kind:     hidden_block_count_x
      - .offset:         212
        .size:           4
        .value_kind:     hidden_block_count_y
      - .offset:         216
        .size:           4
        .value_kind:     hidden_block_count_z
      - .offset:         220
        .size:           2
        .value_kind:     hidden_group_size_x
      - .offset:         222
        .size:           2
        .value_kind:     hidden_group_size_y
      - .offset:         224
        .size:           2
        .value_kind:     hidden_group_size_z
      - .offset:         226
        .size:           2
        .value_kind:     hidden_remainder_x
      - .offset:         228
        .size:           2
        .value_kind:     hidden_remainder_y
      - .offset:         230
        .size:           2
        .value_kind:     hidden_remainder_z
      - .offset:         248
        .size:           8
        .value_kind:     hidden_global_offset_x
      - .offset:         256
        .size:           8
        .value_kind:     hidden_global_offset_y
      - .offset:         264
        .size:           8
        .value_kind:     hidden_global_offset_z
      - .offset:         272
        .size:           2
        .value_kind:     hidden_grid_dims
    .group_segment_fixed_size: 12288
    .kernarg_segment_align: 8
    .kernarg_segment_size: 464
    .language:       OpenCL C
    .language_version:
      - 2
      - 0
    .max_flat_workgroup_size: 128
    .name:           _ZL15flash_attn_tileILi128ELi128ELi1ELi8ELb1EEvPKcS1_S1_S1_S1_PKiPfP15HIP_vector_typeIfLj2EEffffjfiS5_IjLj3EEiiiiiiiiiiiliiliiiiil
    .private_segment_fixed_size: 0
    .sgpr_count:     42
    .sgpr_spill_count: 0
    .symbol:         _ZL15flash_attn_tileILi128ELi128ELi1ELi8ELb1EEvPKcS1_S1_S1_S1_PKiPfP15HIP_vector_typeIfLj2EEffffjfiS5_IjLj3EEiiiiiiiiiiiliiliiiiil.kd
    .uniform_work_group_size: 1
    .uses_dynamic_stack: false
    .vgpr_count:     177
    .vgpr_spill_count: 0
    .wavefront_size: 32
    .workgroup_processor_mode: 1
  - .args:
      - .address_space:  global
        .offset:         0
        .size:           8
        .value_kind:     global_buffer
      - .address_space:  global
        .offset:         8
        .size:           8
        .value_kind:     global_buffer
      - .address_space:  global
        .offset:         16
        .size:           8
        .value_kind:     global_buffer
      - .address_space:  global
        .offset:         24
        .size:           8
        .value_kind:     global_buffer
      - .address_space:  global
        .offset:         32
        .size:           8
        .value_kind:     global_buffer
      - .address_space:  global
        .offset:         40
        .size:           8
        .value_kind:     global_buffer
      - .address_space:  global
        .offset:         48
        .size:           8
        .value_kind:     global_buffer
      - .address_space:  global
        .offset:         56
        .size:           8
        .value_kind:     global_buffer
      - .offset:         64
        .size:           4
        .value_kind:     by_value
      - .offset:         68
        .size:           4
        .value_kind:     by_value
      - .offset:         72
        .size:           4
        .value_kind:     by_value
      - .offset:         76
        .size:           4
        .value_kind:     by_value
      - .offset:         80
        .size:           4
        .value_kind:     by_value
      - .offset:         84
        .size:           4
        .value_kind:     by_value
      - .offset:         88
        .size:           4
        .value_kind:     by_value
      - .offset:         92
        .size:           12
        .value_kind:     by_value
      - .offset:         104
        .size:           4
        .value_kind:     by_value
      - .offset:         108
        .size:           4
        .value_kind:     by_value
      - .offset:         112
        .size:           4
        .value_kind:     by_value
      - .offset:         116
        .size:           4
        .value_kind:     by_value
      - .offset:         120
        .size:           4
        .value_kind:     by_value
      - .offset:         124
        .size:           4
        .value_kind:     by_value
      - .offset:         128
        .size:           4
        .value_kind:     by_value
      - .offset:         132
        .size:           4
        .value_kind:     by_value
      - .offset:         136
        .size:           4
        .value_kind:     by_value
      - .offset:         140
        .size:           4
        .value_kind:     by_value
      - .offset:         144
        .size:           4
        .value_kind:     by_value
      - .offset:         152
        .size:           8
        .value_kind:     by_value
      - .offset:         160
        .size:           4
        .value_kind:     by_value
      - .offset:         164
        .size:           4
        .value_kind:     by_value
      - .offset:         168
        .size:           8
        .value_kind:     by_value
      - .offset:         176
        .size:           4
        .value_kind:     by_value
      - .offset:         180
        .size:           4
        .value_kind:     by_value
      - .offset:         184
        .size:           4
        .value_kind:     by_value
      - .offset:         188
        .size:           4
        .value_kind:     by_value
      - .offset:         192
        .size:           4
        .value_kind:     by_value
      - .offset:         200
        .size:           8
        .value_kind:     by_value
      - .offset:         208
        .size:           4
        .value_kind:     hidden_block_count_x
      - .offset:         212
        .size:           4
        .value_kind:     hidden_block_count_y
      - .offset:         216
        .size:           4
        .value_kind:     hidden_block_count_z
      - .offset:         220
        .size:           2
        .value_kind:     hidden_group_size_x
      - .offset:         222
        .size:           2
        .value_kind:     hidden_group_size_y
      - .offset:         224
        .size:           2
        .value_kind:     hidden_group_size_z
      - .offset:         226
        .size:           2
        .value_kind:     hidden_remainder_x
      - .offset:         228
        .size:           2
        .value_kind:     hidden_remainder_y
      - .offset:         230
        .size:           2
        .value_kind:     hidden_remainder_z
      - .offset:         248
        .size:           8
        .value_kind:     hidden_global_offset_x
      - .offset:         256
        .size:           8
        .value_kind:     hidden_global_offset_y
      - .offset:         264
        .size:           8
        .value_kind:     hidden_global_offset_z
      - .offset:         272
        .size:           2
        .value_kind:     hidden_grid_dims
    .group_segment_fixed_size: 33792
    .kernarg_segment_align: 8
    .kernarg_segment_size: 464
    .language:       OpenCL C
    .language_version:
      - 2
      - 0
    .max_flat_workgroup_size: 256
    .name:           _ZL15flash_attn_tileILi128ELi128ELi16ELi4ELb1EEvPKcS1_S1_S1_S1_PKiPfP15HIP_vector_typeIfLj2EEffffjfiS5_IjLj3EEiiiiiiiiiiiliiliiiiil
    .private_segment_fixed_size: 0
    .sgpr_count:     45
    .sgpr_spill_count: 0
    .symbol:         _ZL15flash_attn_tileILi128ELi128ELi16ELi4ELb1EEvPKcS1_S1_S1_S1_PKiPfP15HIP_vector_typeIfLj2EEffffjfiS5_IjLj3EEiiiiiiiiiiiliiliiiiil.kd
    .uniform_work_group_size: 1
    .uses_dynamic_stack: false
    .vgpr_count:     211
    .vgpr_spill_count: 0
    .wavefront_size: 32
    .workgroup_processor_mode: 1
  - .args:
      - .address_space:  global
        .offset:         0
        .size:           8
        .value_kind:     global_buffer
      - .address_space:  global
        .offset:         8
        .size:           8
        .value_kind:     global_buffer
      - .address_space:  global
        .offset:         16
        .size:           8
        .value_kind:     global_buffer
      - .address_space:  global
        .offset:         24
        .size:           8
        .value_kind:     global_buffer
      - .address_space:  global
        .offset:         32
        .size:           8
        .value_kind:     global_buffer
      - .address_space:  global
        .offset:         40
        .size:           8
        .value_kind:     global_buffer
      - .address_space:  global
        .offset:         48
        .size:           8
        .value_kind:     global_buffer
      - .address_space:  global
        .offset:         56
        .size:           8
        .value_kind:     global_buffer
      - .offset:         64
        .size:           4
        .value_kind:     by_value
      - .offset:         68
        .size:           4
        .value_kind:     by_value
      - .offset:         72
        .size:           4
        .value_kind:     by_value
      - .offset:         76
        .size:           4
        .value_kind:     by_value
      - .offset:         80
        .size:           4
        .value_kind:     by_value
      - .offset:         84
        .size:           4
        .value_kind:     by_value
      - .offset:         88
        .size:           4
        .value_kind:     by_value
      - .offset:         92
        .size:           12
        .value_kind:     by_value
      - .offset:         104
        .size:           4
        .value_kind:     by_value
      - .offset:         108
        .size:           4
        .value_kind:     by_value
      - .offset:         112
        .size:           4
        .value_kind:     by_value
      - .offset:         116
        .size:           4
        .value_kind:     by_value
      - .offset:         120
        .size:           4
        .value_kind:     by_value
      - .offset:         124
        .size:           4
        .value_kind:     by_value
      - .offset:         128
        .size:           4
        .value_kind:     by_value
      - .offset:         132
        .size:           4
        .value_kind:     by_value
      - .offset:         136
        .size:           4
        .value_kind:     by_value
      - .offset:         140
        .size:           4
        .value_kind:     by_value
      - .offset:         144
        .size:           4
        .value_kind:     by_value
      - .offset:         152
        .size:           8
        .value_kind:     by_value
      - .offset:         160
        .size:           4
        .value_kind:     by_value
      - .offset:         164
        .size:           4
        .value_kind:     by_value
      - .offset:         168
        .size:           8
        .value_kind:     by_value
      - .offset:         176
        .size:           4
        .value_kind:     by_value
      - .offset:         180
        .size:           4
        .value_kind:     by_value
      - .offset:         184
        .size:           4
        .value_kind:     by_value
      - .offset:         188
        .size:           4
        .value_kind:     by_value
      - .offset:         192
        .size:           4
        .value_kind:     by_value
      - .offset:         200
        .size:           8
        .value_kind:     by_value
      - .offset:         208
        .size:           4
        .value_kind:     hidden_block_count_x
      - .offset:         212
        .size:           4
        .value_kind:     hidden_block_count_y
      - .offset:         216
        .size:           4
        .value_kind:     hidden_block_count_z
      - .offset:         220
        .size:           2
        .value_kind:     hidden_group_size_x
      - .offset:         222
        .size:           2
        .value_kind:     hidden_group_size_y
      - .offset:         224
        .size:           2
        .value_kind:     hidden_group_size_z
      - .offset:         226
        .size:           2
        .value_kind:     hidden_remainder_x
      - .offset:         228
        .size:           2
        .value_kind:     hidden_remainder_y
      - .offset:         230
        .size:           2
        .value_kind:     hidden_remainder_z
      - .offset:         248
        .size:           8
        .value_kind:     hidden_global_offset_x
      - .offset:         256
        .size:           8
        .value_kind:     hidden_global_offset_y
      - .offset:         264
        .size:           8
        .value_kind:     hidden_global_offset_z
      - .offset:         272
        .size:           2
        .value_kind:     hidden_grid_dims
    .group_segment_fixed_size: 34816
    .kernarg_segment_align: 8
    .kernarg_segment_size: 464
    .language:       OpenCL C
    .language_version:
      - 2
      - 0
    .max_flat_workgroup_size: 256
    .name:           _ZL15flash_attn_tileILi128ELi128ELi8ELi4ELb1EEvPKcS1_S1_S1_S1_PKiPfP15HIP_vector_typeIfLj2EEffffjfiS5_IjLj3EEiiiiiiiiiiiliiliiiiil
    .private_segment_fixed_size: 0
    .sgpr_count:     42
    .sgpr_spill_count: 0
    .symbol:         _ZL15flash_attn_tileILi128ELi128ELi8ELi4ELb1EEvPKcS1_S1_S1_S1_PKiPfP15HIP_vector_typeIfLj2EEffffjfiS5_IjLj3EEiiiiiiiiiiiliiliiiiil.kd
    .uniform_work_group_size: 1
    .uses_dynamic_stack: false
    .vgpr_count:     249
    .vgpr_spill_count: 0
    .wavefront_size: 32
    .workgroup_processor_mode: 1
  - .args:
      - .address_space:  global
        .offset:         0
        .size:           8
        .value_kind:     global_buffer
      - .address_space:  global
        .offset:         8
        .size:           8
        .value_kind:     global_buffer
      - .address_space:  global
        .offset:         16
        .size:           8
        .value_kind:     global_buffer
      - .address_space:  global
        .offset:         24
        .size:           8
        .value_kind:     global_buffer
      - .address_space:  global
        .offset:         32
        .size:           8
        .value_kind:     global_buffer
      - .address_space:  global
        .offset:         40
        .size:           8
        .value_kind:     global_buffer
      - .address_space:  global
        .offset:         48
        .size:           8
        .value_kind:     global_buffer
      - .address_space:  global
        .offset:         56
        .size:           8
        .value_kind:     global_buffer
      - .offset:         64
        .size:           4
        .value_kind:     by_value
      - .offset:         68
        .size:           4
        .value_kind:     by_value
      - .offset:         72
        .size:           4
        .value_kind:     by_value
      - .offset:         76
        .size:           4
        .value_kind:     by_value
      - .offset:         80
        .size:           4
        .value_kind:     by_value
      - .offset:         84
        .size:           4
        .value_kind:     by_value
      - .offset:         88
        .size:           4
        .value_kind:     by_value
      - .offset:         92
        .size:           12
        .value_kind:     by_value
      - .offset:         104
        .size:           4
        .value_kind:     by_value
      - .offset:         108
        .size:           4
        .value_kind:     by_value
      - .offset:         112
        .size:           4
        .value_kind:     by_value
      - .offset:         116
        .size:           4
        .value_kind:     by_value
      - .offset:         120
        .size:           4
        .value_kind:     by_value
      - .offset:         124
        .size:           4
        .value_kind:     by_value
      - .offset:         128
        .size:           4
        .value_kind:     by_value
      - .offset:         132
        .size:           4
        .value_kind:     by_value
      - .offset:         136
        .size:           4
        .value_kind:     by_value
      - .offset:         140
        .size:           4
        .value_kind:     by_value
      - .offset:         144
        .size:           4
        .value_kind:     by_value
      - .offset:         152
        .size:           8
        .value_kind:     by_value
      - .offset:         160
        .size:           4
        .value_kind:     by_value
      - .offset:         164
        .size:           4
        .value_kind:     by_value
      - .offset:         168
        .size:           8
        .value_kind:     by_value
      - .offset:         176
        .size:           4
        .value_kind:     by_value
      - .offset:         180
        .size:           4
        .value_kind:     by_value
      - .offset:         184
        .size:           4
        .value_kind:     by_value
      - .offset:         188
        .size:           4
        .value_kind:     by_value
      - .offset:         192
        .size:           4
        .value_kind:     by_value
      - .offset:         200
        .size:           8
        .value_kind:     by_value
      - .offset:         208
        .size:           4
        .value_kind:     hidden_block_count_x
      - .offset:         212
        .size:           4
        .value_kind:     hidden_block_count_y
      - .offset:         216
        .size:           4
        .value_kind:     hidden_block_count_z
      - .offset:         220
        .size:           2
        .value_kind:     hidden_group_size_x
      - .offset:         222
        .size:           2
        .value_kind:     hidden_group_size_y
      - .offset:         224
        .size:           2
        .value_kind:     hidden_group_size_z
      - .offset:         226
        .size:           2
        .value_kind:     hidden_remainder_x
      - .offset:         228
        .size:           2
        .value_kind:     hidden_remainder_y
      - .offset:         230
        .size:           2
        .value_kind:     hidden_remainder_z
      - .offset:         248
        .size:           8
        .value_kind:     hidden_global_offset_x
      - .offset:         256
        .size:           8
        .value_kind:     hidden_global_offset_y
      - .offset:         264
        .size:           8
        .value_kind:     hidden_global_offset_z
      - .offset:         272
        .size:           2
        .value_kind:     hidden_grid_dims
    .group_segment_fixed_size: 43008
    .kernarg_segment_align: 8
    .kernarg_segment_size: 464
    .language:       OpenCL C
    .language_version:
      - 2
      - 0
    .max_flat_workgroup_size: 256
    .name:           _ZL15flash_attn_tileILi128ELi128ELi4ELi4ELb1EEvPKcS1_S1_S1_S1_PKiPfP15HIP_vector_typeIfLj2EEffffjfiS5_IjLj3EEiiiiiiiiiiiliiliiiiil
    .private_segment_fixed_size: 0
    .sgpr_count:     42
    .sgpr_spill_count: 0
    .symbol:         _ZL15flash_attn_tileILi128ELi128ELi4ELi4ELb1EEvPKcS1_S1_S1_S1_PKiPfP15HIP_vector_typeIfLj2EEffffjfiS5_IjLj3EEiiiiiiiiiiiliiliiiiil.kd
    .uniform_work_group_size: 1
    .uses_dynamic_stack: false
    .vgpr_count:     137
    .vgpr_spill_count: 0
    .wavefront_size: 32
    .workgroup_processor_mode: 1
  - .args:
      - .address_space:  global
        .offset:         0
        .size:           8
        .value_kind:     global_buffer
      - .address_space:  global
        .offset:         8
        .size:           8
        .value_kind:     global_buffer
      - .address_space:  global
        .offset:         16
        .size:           8
        .value_kind:     global_buffer
      - .address_space:  global
        .offset:         24
        .size:           8
        .value_kind:     global_buffer
      - .address_space:  global
        .offset:         32
        .size:           8
        .value_kind:     global_buffer
      - .address_space:  global
        .offset:         40
        .size:           8
        .value_kind:     global_buffer
      - .address_space:  global
        .offset:         48
        .size:           8
        .value_kind:     global_buffer
      - .address_space:  global
        .offset:         56
        .size:           8
        .value_kind:     global_buffer
      - .offset:         64
        .size:           4
        .value_kind:     by_value
      - .offset:         68
        .size:           4
        .value_kind:     by_value
      - .offset:         72
        .size:           4
        .value_kind:     by_value
      - .offset:         76
        .size:           4
        .value_kind:     by_value
      - .offset:         80
        .size:           4
        .value_kind:     by_value
      - .offset:         84
        .size:           4
        .value_kind:     by_value
      - .offset:         88
        .size:           4
        .value_kind:     by_value
      - .offset:         92
        .size:           12
        .value_kind:     by_value
      - .offset:         104
        .size:           4
        .value_kind:     by_value
      - .offset:         108
        .size:           4
        .value_kind:     by_value
      - .offset:         112
        .size:           4
        .value_kind:     by_value
      - .offset:         116
        .size:           4
        .value_kind:     by_value
      - .offset:         120
        .size:           4
        .value_kind:     by_value
      - .offset:         124
        .size:           4
        .value_kind:     by_value
      - .offset:         128
        .size:           4
        .value_kind:     by_value
      - .offset:         132
        .size:           4
        .value_kind:     by_value
      - .offset:         136
        .size:           4
        .value_kind:     by_value
      - .offset:         140
        .size:           4
        .value_kind:     by_value
      - .offset:         144
        .size:           4
        .value_kind:     by_value
      - .offset:         152
        .size:           8
        .value_kind:     by_value
      - .offset:         160
        .size:           4
        .value_kind:     by_value
      - .offset:         164
        .size:           4
        .value_kind:     by_value
      - .offset:         168
        .size:           8
        .value_kind:     by_value
      - .offset:         176
        .size:           4
        .value_kind:     by_value
      - .offset:         180
        .size:           4
        .value_kind:     by_value
      - .offset:         184
        .size:           4
        .value_kind:     by_value
      - .offset:         188
        .size:           4
        .value_kind:     by_value
      - .offset:         192
        .size:           4
        .value_kind:     by_value
      - .offset:         200
        .size:           8
        .value_kind:     by_value
      - .offset:         208
        .size:           4
        .value_kind:     hidden_block_count_x
      - .offset:         212
        .size:           4
        .value_kind:     hidden_block_count_y
      - .offset:         216
        .size:           4
        .value_kind:     hidden_block_count_z
      - .offset:         220
        .size:           2
        .value_kind:     hidden_group_size_x
      - .offset:         222
        .size:           2
        .value_kind:     hidden_group_size_y
      - .offset:         224
        .size:           2
        .value_kind:     hidden_group_size_z
      - .offset:         226
        .size:           2
        .value_kind:     hidden_remainder_x
      - .offset:         228
        .size:           2
        .value_kind:     hidden_remainder_y
      - .offset:         230
        .size:           2
        .value_kind:     hidden_remainder_z
      - .offset:         248
        .size:           8
        .value_kind:     hidden_global_offset_x
      - .offset:         256
        .size:           8
        .value_kind:     hidden_global_offset_y
      - .offset:         264
        .size:           8
        .value_kind:     hidden_global_offset_z
      - .offset:         272
        .size:           2
        .value_kind:     hidden_grid_dims
    .group_segment_fixed_size: 12288
    .kernarg_segment_align: 8
    .kernarg_segment_size: 464
    .language:       OpenCL C
    .language_version:
      - 2
      - 0
    .max_flat_workgroup_size: 128
    .name:           _ZL15flash_attn_tileILi128ELi128ELi2ELi4ELb1EEvPKcS1_S1_S1_S1_PKiPfP15HIP_vector_typeIfLj2EEffffjfiS5_IjLj3EEiiiiiiiiiiiliiliiiiil
    .private_segment_fixed_size: 0
    .sgpr_count:     42
    .sgpr_spill_count: 0
    .symbol:         _ZL15flash_attn_tileILi128ELi128ELi2ELi4ELb1EEvPKcS1_S1_S1_S1_PKiPfP15HIP_vector_typeIfLj2EEffffjfiS5_IjLj3EEiiiiiiiiiiiliiliiiiil.kd
    .uniform_work_group_size: 1
    .uses_dynamic_stack: false
    .vgpr_count:     177
    .vgpr_spill_count: 0
    .wavefront_size: 32
    .workgroup_processor_mode: 1
  - .args:
      - .address_space:  global
        .offset:         0
        .size:           8
        .value_kind:     global_buffer
      - .address_space:  global
        .offset:         8
        .size:           8
        .value_kind:     global_buffer
      - .address_space:  global
        .offset:         16
        .size:           8
        .value_kind:     global_buffer
      - .address_space:  global
        .offset:         24
        .size:           8
        .value_kind:     global_buffer
      - .address_space:  global
        .offset:         32
        .size:           8
        .value_kind:     global_buffer
      - .address_space:  global
        .offset:         40
        .size:           8
        .value_kind:     global_buffer
      - .address_space:  global
        .offset:         48
        .size:           8
        .value_kind:     global_buffer
      - .address_space:  global
        .offset:         56
        .size:           8
        .value_kind:     global_buffer
      - .offset:         64
        .size:           4
        .value_kind:     by_value
      - .offset:         68
        .size:           4
        .value_kind:     by_value
      - .offset:         72
        .size:           4
        .value_kind:     by_value
      - .offset:         76
        .size:           4
        .value_kind:     by_value
      - .offset:         80
        .size:           4
        .value_kind:     by_value
      - .offset:         84
        .size:           4
        .value_kind:     by_value
      - .offset:         88
        .size:           4
        .value_kind:     by_value
      - .offset:         92
        .size:           12
        .value_kind:     by_value
      - .offset:         104
        .size:           4
        .value_kind:     by_value
      - .offset:         108
        .size:           4
        .value_kind:     by_value
      - .offset:         112
        .size:           4
        .value_kind:     by_value
      - .offset:         116
        .size:           4
        .value_kind:     by_value
      - .offset:         120
        .size:           4
        .value_kind:     by_value
      - .offset:         124
        .size:           4
        .value_kind:     by_value
      - .offset:         128
        .size:           4
        .value_kind:     by_value
      - .offset:         132
        .size:           4
        .value_kind:     by_value
      - .offset:         136
        .size:           4
        .value_kind:     by_value
      - .offset:         140
        .size:           4
        .value_kind:     by_value
      - .offset:         144
        .size:           4
        .value_kind:     by_value
      - .offset:         152
        .size:           8
        .value_kind:     by_value
      - .offset:         160
        .size:           4
        .value_kind:     by_value
      - .offset:         164
        .size:           4
        .value_kind:     by_value
      - .offset:         168
        .size:           8
        .value_kind:     by_value
      - .offset:         176
        .size:           4
        .value_kind:     by_value
      - .offset:         180
        .size:           4
        .value_kind:     by_value
      - .offset:         184
        .size:           4
        .value_kind:     by_value
      - .offset:         188
        .size:           4
        .value_kind:     by_value
      - .offset:         192
        .size:           4
        .value_kind:     by_value
      - .offset:         200
        .size:           8
        .value_kind:     by_value
      - .offset:         208
        .size:           4
        .value_kind:     hidden_block_count_x
      - .offset:         212
        .size:           4
        .value_kind:     hidden_block_count_y
      - .offset:         216
        .size:           4
        .value_kind:     hidden_block_count_z
      - .offset:         220
        .size:           2
        .value_kind:     hidden_group_size_x
      - .offset:         222
        .size:           2
        .value_kind:     hidden_group_size_y
      - .offset:         224
        .size:           2
        .value_kind:     hidden_group_size_z
      - .offset:         226
        .size:           2
        .value_kind:     hidden_remainder_x
      - .offset:         228
        .size:           2
        .value_kind:     hidden_remainder_y
      - .offset:         230
        .size:           2
        .value_kind:     hidden_remainder_z
      - .offset:         248
        .size:           8
        .value_kind:     hidden_global_offset_x
      - .offset:         256
        .size:           8
        .value_kind:     hidden_global_offset_y
      - .offset:         264
        .size:           8
        .value_kind:     hidden_global_offset_z
      - .offset:         272
        .size:           2
        .value_kind:     hidden_grid_dims
    .group_segment_fixed_size: 10752
    .kernarg_segment_align: 8
    .kernarg_segment_size: 464
    .language:       OpenCL C
    .language_version:
      - 2
      - 0
    .max_flat_workgroup_size: 128
    .name:           _ZL15flash_attn_tileILi128ELi128ELi1ELi4ELb1EEvPKcS1_S1_S1_S1_PKiPfP15HIP_vector_typeIfLj2EEffffjfiS5_IjLj3EEiiiiiiiiiiiliiliiiiil
    .private_segment_fixed_size: 0
    .sgpr_count:     42
    .sgpr_spill_count: 0
    .symbol:         _ZL15flash_attn_tileILi128ELi128ELi1ELi4ELb1EEvPKcS1_S1_S1_S1_PKiPfP15HIP_vector_typeIfLj2EEffffjfiS5_IjLj3EEiiiiiiiiiiiliiliiiiil.kd
    .uniform_work_group_size: 1
    .uses_dynamic_stack: false
    .vgpr_count:     151
    .vgpr_spill_count: 0
    .wavefront_size: 32
    .workgroup_processor_mode: 1
  - .args:
      - .address_space:  global
        .offset:         0
        .size:           8
        .value_kind:     global_buffer
      - .address_space:  global
        .offset:         8
        .size:           8
        .value_kind:     global_buffer
      - .address_space:  global
        .offset:         16
        .size:           8
        .value_kind:     global_buffer
      - .address_space:  global
        .offset:         24
        .size:           8
        .value_kind:     global_buffer
      - .address_space:  global
        .offset:         32
        .size:           8
        .value_kind:     global_buffer
      - .address_space:  global
        .offset:         40
        .size:           8
        .value_kind:     global_buffer
      - .address_space:  global
        .offset:         48
        .size:           8
        .value_kind:     global_buffer
      - .address_space:  global
        .offset:         56
        .size:           8
        .value_kind:     global_buffer
      - .offset:         64
        .size:           4
        .value_kind:     by_value
      - .offset:         68
        .size:           4
        .value_kind:     by_value
      - .offset:         72
        .size:           4
        .value_kind:     by_value
      - .offset:         76
        .size:           4
        .value_kind:     by_value
      - .offset:         80
        .size:           4
        .value_kind:     by_value
      - .offset:         84
        .size:           4
        .value_kind:     by_value
      - .offset:         88
        .size:           4
        .value_kind:     by_value
      - .offset:         92
        .size:           12
        .value_kind:     by_value
      - .offset:         104
        .size:           4
        .value_kind:     by_value
      - .offset:         108
        .size:           4
        .value_kind:     by_value
      - .offset:         112
        .size:           4
        .value_kind:     by_value
      - .offset:         116
        .size:           4
        .value_kind:     by_value
      - .offset:         120
        .size:           4
        .value_kind:     by_value
      - .offset:         124
        .size:           4
        .value_kind:     by_value
      - .offset:         128
        .size:           4
        .value_kind:     by_value
      - .offset:         132
        .size:           4
        .value_kind:     by_value
      - .offset:         136
        .size:           4
        .value_kind:     by_value
      - .offset:         140
        .size:           4
        .value_kind:     by_value
      - .offset:         144
        .size:           4
        .value_kind:     by_value
      - .offset:         152
        .size:           8
        .value_kind:     by_value
      - .offset:         160
        .size:           4
        .value_kind:     by_value
      - .offset:         164
        .size:           4
        .value_kind:     by_value
      - .offset:         168
        .size:           8
        .value_kind:     by_value
      - .offset:         176
        .size:           4
        .value_kind:     by_value
      - .offset:         180
        .size:           4
        .value_kind:     by_value
      - .offset:         184
        .size:           4
        .value_kind:     by_value
      - .offset:         188
        .size:           4
        .value_kind:     by_value
      - .offset:         192
        .size:           4
        .value_kind:     by_value
      - .offset:         200
        .size:           8
        .value_kind:     by_value
      - .offset:         208
        .size:           4
        .value_kind:     hidden_block_count_x
      - .offset:         212
        .size:           4
        .value_kind:     hidden_block_count_y
      - .offset:         216
        .size:           4
        .value_kind:     hidden_block_count_z
      - .offset:         220
        .size:           2
        .value_kind:     hidden_group_size_x
      - .offset:         222
        .size:           2
        .value_kind:     hidden_group_size_y
      - .offset:         224
        .size:           2
        .value_kind:     hidden_group_size_z
      - .offset:         226
        .size:           2
        .value_kind:     hidden_remainder_x
      - .offset:         228
        .size:           2
        .value_kind:     hidden_remainder_y
      - .offset:         230
        .size:           2
        .value_kind:     hidden_remainder_z
      - .offset:         248
        .size:           8
        .value_kind:     hidden_global_offset_x
      - .offset:         256
        .size:           8
        .value_kind:     hidden_global_offset_y
      - .offset:         264
        .size:           8
        .value_kind:     hidden_global_offset_z
      - .offset:         272
        .size:           2
        .value_kind:     hidden_grid_dims
    .group_segment_fixed_size: 33792
    .kernarg_segment_align: 8
    .kernarg_segment_size: 464
    .language:       OpenCL C
    .language_version:
      - 2
      - 0
    .max_flat_workgroup_size: 256
    .name:           _ZL15flash_attn_tileILi128ELi128ELi32ELi2ELb1EEvPKcS1_S1_S1_S1_PKiPfP15HIP_vector_typeIfLj2EEffffjfiS5_IjLj3EEiiiiiiiiiiiliiliiiiil
    .private_segment_fixed_size: 0
    .sgpr_count:     45
    .sgpr_spill_count: 0
    .symbol:         _ZL15flash_attn_tileILi128ELi128ELi32ELi2ELb1EEvPKcS1_S1_S1_S1_PKiPfP15HIP_vector_typeIfLj2EEffffjfiS5_IjLj3EEiiiiiiiiiiiliiliiiiil.kd
    .uniform_work_group_size: 1
    .uses_dynamic_stack: false
    .vgpr_count:     217
    .vgpr_spill_count: 0
    .wavefront_size: 32
    .workgroup_processor_mode: 1
  - .args:
      - .address_space:  global
        .offset:         0
        .size:           8
        .value_kind:     global_buffer
      - .address_space:  global
        .offset:         8
        .size:           8
        .value_kind:     global_buffer
      - .address_space:  global
        .offset:         16
        .size:           8
        .value_kind:     global_buffer
      - .address_space:  global
        .offset:         24
        .size:           8
        .value_kind:     global_buffer
      - .address_space:  global
        .offset:         32
        .size:           8
        .value_kind:     global_buffer
      - .address_space:  global
        .offset:         40
        .size:           8
        .value_kind:     global_buffer
      - .address_space:  global
        .offset:         48
        .size:           8
        .value_kind:     global_buffer
      - .address_space:  global
        .offset:         56
        .size:           8
        .value_kind:     global_buffer
      - .offset:         64
        .size:           4
        .value_kind:     by_value
      - .offset:         68
        .size:           4
        .value_kind:     by_value
      - .offset:         72
        .size:           4
        .value_kind:     by_value
      - .offset:         76
        .size:           4
        .value_kind:     by_value
      - .offset:         80
        .size:           4
        .value_kind:     by_value
      - .offset:         84
        .size:           4
        .value_kind:     by_value
      - .offset:         88
        .size:           4
        .value_kind:     by_value
      - .offset:         92
        .size:           12
        .value_kind:     by_value
      - .offset:         104
        .size:           4
        .value_kind:     by_value
      - .offset:         108
        .size:           4
        .value_kind:     by_value
      - .offset:         112
        .size:           4
        .value_kind:     by_value
      - .offset:         116
        .size:           4
        .value_kind:     by_value
      - .offset:         120
        .size:           4
        .value_kind:     by_value
      - .offset:         124
        .size:           4
        .value_kind:     by_value
      - .offset:         128
        .size:           4
        .value_kind:     by_value
      - .offset:         132
        .size:           4
        .value_kind:     by_value
      - .offset:         136
        .size:           4
        .value_kind:     by_value
      - .offset:         140
        .size:           4
        .value_kind:     by_value
      - .offset:         144
        .size:           4
        .value_kind:     by_value
      - .offset:         152
        .size:           8
        .value_kind:     by_value
      - .offset:         160
        .size:           4
        .value_kind:     by_value
      - .offset:         164
        .size:           4
        .value_kind:     by_value
      - .offset:         168
        .size:           8
        .value_kind:     by_value
      - .offset:         176
        .size:           4
        .value_kind:     by_value
      - .offset:         180
        .size:           4
        .value_kind:     by_value
      - .offset:         184
        .size:           4
        .value_kind:     by_value
      - .offset:         188
        .size:           4
        .value_kind:     by_value
      - .offset:         192
        .size:           4
        .value_kind:     by_value
      - .offset:         200
        .size:           8
        .value_kind:     by_value
      - .offset:         208
        .size:           4
        .value_kind:     hidden_block_count_x
      - .offset:         212
        .size:           4
        .value_kind:     hidden_block_count_y
      - .offset:         216
        .size:           4
        .value_kind:     hidden_block_count_z
      - .offset:         220
        .size:           2
        .value_kind:     hidden_group_size_x
      - .offset:         222
        .size:           2
        .value_kind:     hidden_group_size_y
      - .offset:         224
        .size:           2
        .value_kind:     hidden_group_size_z
      - .offset:         226
        .size:           2
        .value_kind:     hidden_remainder_x
      - .offset:         228
        .size:           2
        .value_kind:     hidden_remainder_y
      - .offset:         230
        .size:           2
        .value_kind:     hidden_remainder_z
      - .offset:         248
        .size:           8
        .value_kind:     hidden_global_offset_x
      - .offset:         256
        .size:           8
        .value_kind:     hidden_global_offset_y
      - .offset:         264
        .size:           8
        .value_kind:     hidden_global_offset_z
      - .offset:         272
        .size:           2
        .value_kind:     hidden_grid_dims
    .group_segment_fixed_size: 34816
    .kernarg_segment_align: 8
    .kernarg_segment_size: 464
    .language:       OpenCL C
    .language_version:
      - 2
      - 0
    .max_flat_workgroup_size: 256
    .name:           _ZL15flash_attn_tileILi128ELi128ELi16ELi2ELb1EEvPKcS1_S1_S1_S1_PKiPfP15HIP_vector_typeIfLj2EEffffjfiS5_IjLj3EEiiiiiiiiiiiliiliiiiil
    .private_segment_fixed_size: 0
    .sgpr_count:     45
    .sgpr_spill_count: 0
    .symbol:         _ZL15flash_attn_tileILi128ELi128ELi16ELi2ELb1EEvPKcS1_S1_S1_S1_PKiPfP15HIP_vector_typeIfLj2EEffffjfiS5_IjLj3EEiiiiiiiiiiiliiliiiiil.kd
    .uniform_work_group_size: 1
    .uses_dynamic_stack: false
    .vgpr_count:     255
    .vgpr_spill_count: 0
    .wavefront_size: 32
    .workgroup_processor_mode: 1
  - .args:
      - .address_space:  global
        .offset:         0
        .size:           8
        .value_kind:     global_buffer
      - .address_space:  global
        .offset:         8
        .size:           8
        .value_kind:     global_buffer
      - .address_space:  global
        .offset:         16
        .size:           8
        .value_kind:     global_buffer
      - .address_space:  global
        .offset:         24
        .size:           8
        .value_kind:     global_buffer
      - .address_space:  global
        .offset:         32
        .size:           8
        .value_kind:     global_buffer
      - .address_space:  global
        .offset:         40
        .size:           8
        .value_kind:     global_buffer
      - .address_space:  global
        .offset:         48
        .size:           8
        .value_kind:     global_buffer
      - .address_space:  global
        .offset:         56
        .size:           8
        .value_kind:     global_buffer
      - .offset:         64
        .size:           4
        .value_kind:     by_value
      - .offset:         68
        .size:           4
        .value_kind:     by_value
      - .offset:         72
        .size:           4
        .value_kind:     by_value
      - .offset:         76
        .size:           4
        .value_kind:     by_value
      - .offset:         80
        .size:           4
        .value_kind:     by_value
      - .offset:         84
        .size:           4
        .value_kind:     by_value
      - .offset:         88
        .size:           4
        .value_kind:     by_value
      - .offset:         92
        .size:           12
        .value_kind:     by_value
      - .offset:         104
        .size:           4
        .value_kind:     by_value
      - .offset:         108
        .size:           4
        .value_kind:     by_value
      - .offset:         112
        .size:           4
        .value_kind:     by_value
      - .offset:         116
        .size:           4
        .value_kind:     by_value
      - .offset:         120
        .size:           4
        .value_kind:     by_value
      - .offset:         124
        .size:           4
        .value_kind:     by_value
      - .offset:         128
        .size:           4
        .value_kind:     by_value
      - .offset:         132
        .size:           4
        .value_kind:     by_value
      - .offset:         136
        .size:           4
        .value_kind:     by_value
      - .offset:         140
        .size:           4
        .value_kind:     by_value
      - .offset:         144
        .size:           4
        .value_kind:     by_value
      - .offset:         152
        .size:           8
        .value_kind:     by_value
      - .offset:         160
        .size:           4
        .value_kind:     by_value
      - .offset:         164
        .size:           4
        .value_kind:     by_value
      - .offset:         168
        .size:           8
        .value_kind:     by_value
      - .offset:         176
        .size:           4
        .value_kind:     by_value
      - .offset:         180
        .size:           4
        .value_kind:     by_value
      - .offset:         184
        .size:           4
        .value_kind:     by_value
      - .offset:         188
        .size:           4
        .value_kind:     by_value
      - .offset:         192
        .size:           4
        .value_kind:     by_value
      - .offset:         200
        .size:           8
        .value_kind:     by_value
      - .offset:         208
        .size:           4
        .value_kind:     hidden_block_count_x
      - .offset:         212
        .size:           4
        .value_kind:     hidden_block_count_y
      - .offset:         216
        .size:           4
        .value_kind:     hidden_block_count_z
      - .offset:         220
        .size:           2
        .value_kind:     hidden_group_size_x
      - .offset:         222
        .size:           2
        .value_kind:     hidden_group_size_y
      - .offset:         224
        .size:           2
        .value_kind:     hidden_group_size_z
      - .offset:         226
        .size:           2
        .value_kind:     hidden_remainder_x
      - .offset:         228
        .size:           2
        .value_kind:     hidden_remainder_y
      - .offset:         230
        .size:           2
        .value_kind:     hidden_remainder_z
      - .offset:         248
        .size:           8
        .value_kind:     hidden_global_offset_x
      - .offset:         256
        .size:           8
        .value_kind:     hidden_global_offset_y
      - .offset:         264
        .size:           8
        .value_kind:     hidden_global_offset_z
      - .offset:         272
        .size:           2
        .value_kind:     hidden_grid_dims
    .group_segment_fixed_size: 43008
    .kernarg_segment_align: 8
    .kernarg_segment_size: 464
    .language:       OpenCL C
    .language_version:
      - 2
      - 0
    .max_flat_workgroup_size: 256
    .name:           _ZL15flash_attn_tileILi128ELi128ELi8ELi2ELb1EEvPKcS1_S1_S1_S1_PKiPfP15HIP_vector_typeIfLj2EEffffjfiS5_IjLj3EEiiiiiiiiiiiliiliiiiil
    .private_segment_fixed_size: 0
    .sgpr_count:     42
    .sgpr_spill_count: 0
    .symbol:         _ZL15flash_attn_tileILi128ELi128ELi8ELi2ELb1EEvPKcS1_S1_S1_S1_PKiPfP15HIP_vector_typeIfLj2EEffffjfiS5_IjLj3EEiiiiiiiiiiiliiliiiiil.kd
    .uniform_work_group_size: 1
    .uses_dynamic_stack: false
    .vgpr_count:     136
    .vgpr_spill_count: 0
    .wavefront_size: 32
    .workgroup_processor_mode: 1
  - .args:
      - .address_space:  global
        .offset:         0
        .size:           8
        .value_kind:     global_buffer
      - .address_space:  global
        .offset:         8
        .size:           8
        .value_kind:     global_buffer
      - .address_space:  global
        .offset:         16
        .size:           8
        .value_kind:     global_buffer
      - .address_space:  global
        .offset:         24
        .size:           8
        .value_kind:     global_buffer
      - .address_space:  global
        .offset:         32
        .size:           8
        .value_kind:     global_buffer
      - .address_space:  global
        .offset:         40
        .size:           8
        .value_kind:     global_buffer
      - .address_space:  global
        .offset:         48
        .size:           8
        .value_kind:     global_buffer
      - .address_space:  global
        .offset:         56
        .size:           8
        .value_kind:     global_buffer
      - .offset:         64
        .size:           4
        .value_kind:     by_value
      - .offset:         68
        .size:           4
        .value_kind:     by_value
      - .offset:         72
        .size:           4
        .value_kind:     by_value
      - .offset:         76
        .size:           4
        .value_kind:     by_value
      - .offset:         80
        .size:           4
        .value_kind:     by_value
      - .offset:         84
        .size:           4
        .value_kind:     by_value
      - .offset:         88
        .size:           4
        .value_kind:     by_value
      - .offset:         92
        .size:           12
        .value_kind:     by_value
      - .offset:         104
        .size:           4
        .value_kind:     by_value
      - .offset:         108
        .size:           4
        .value_kind:     by_value
      - .offset:         112
        .size:           4
        .value_kind:     by_value
      - .offset:         116
        .size:           4
        .value_kind:     by_value
      - .offset:         120
        .size:           4
        .value_kind:     by_value
      - .offset:         124
        .size:           4
        .value_kind:     by_value
      - .offset:         128
        .size:           4
        .value_kind:     by_value
      - .offset:         132
        .size:           4
        .value_kind:     by_value
      - .offset:         136
        .size:           4
        .value_kind:     by_value
      - .offset:         140
        .size:           4
        .value_kind:     by_value
      - .offset:         144
        .size:           4
        .value_kind:     by_value
      - .offset:         152
        .size:           8
        .value_kind:     by_value
      - .offset:         160
        .size:           4
        .value_kind:     by_value
      - .offset:         164
        .size:           4
        .value_kind:     by_value
      - .offset:         168
        .size:           8
        .value_kind:     by_value
      - .offset:         176
        .size:           4
        .value_kind:     by_value
      - .offset:         180
        .size:           4
        .value_kind:     by_value
      - .offset:         184
        .size:           4
        .value_kind:     by_value
      - .offset:         188
        .size:           4
        .value_kind:     by_value
      - .offset:         192
        .size:           4
        .value_kind:     by_value
      - .offset:         200
        .size:           8
        .value_kind:     by_value
      - .offset:         208
        .size:           4
        .value_kind:     hidden_block_count_x
      - .offset:         212
        .size:           4
        .value_kind:     hidden_block_count_y
      - .offset:         216
        .size:           4
        .value_kind:     hidden_block_count_z
      - .offset:         220
        .size:           2
        .value_kind:     hidden_group_size_x
      - .offset:         222
        .size:           2
        .value_kind:     hidden_group_size_y
      - .offset:         224
        .size:           2
        .value_kind:     hidden_group_size_z
      - .offset:         226
        .size:           2
        .value_kind:     hidden_remainder_x
      - .offset:         228
        .size:           2
        .value_kind:     hidden_remainder_y
      - .offset:         230
        .size:           2
        .value_kind:     hidden_remainder_z
      - .offset:         248
        .size:           8
        .value_kind:     hidden_global_offset_x
      - .offset:         256
        .size:           8
        .value_kind:     hidden_global_offset_y
      - .offset:         264
        .size:           8
        .value_kind:     hidden_global_offset_z
      - .offset:         272
        .size:           2
        .value_kind:     hidden_grid_dims
    .group_segment_fixed_size: 12288
    .kernarg_segment_align: 8
    .kernarg_segment_size: 464
    .language:       OpenCL C
    .language_version:
      - 2
      - 0
    .max_flat_workgroup_size: 128
    .name:           _ZL15flash_attn_tileILi128ELi128ELi4ELi2ELb1EEvPKcS1_S1_S1_S1_PKiPfP15HIP_vector_typeIfLj2EEffffjfiS5_IjLj3EEiiiiiiiiiiiliiliiiiil
    .private_segment_fixed_size: 0
    .sgpr_count:     42
    .sgpr_spill_count: 0
    .symbol:         _ZL15flash_attn_tileILi128ELi128ELi4ELi2ELb1EEvPKcS1_S1_S1_S1_PKiPfP15HIP_vector_typeIfLj2EEffffjfiS5_IjLj3EEiiiiiiiiiiiliiliiiiil.kd
    .uniform_work_group_size: 1
    .uses_dynamic_stack: false
    .vgpr_count:     176
    .vgpr_spill_count: 0
    .wavefront_size: 32
    .workgroup_processor_mode: 1
  - .args:
      - .address_space:  global
        .offset:         0
        .size:           8
        .value_kind:     global_buffer
      - .address_space:  global
        .offset:         8
        .size:           8
        .value_kind:     global_buffer
      - .address_space:  global
        .offset:         16
        .size:           8
        .value_kind:     global_buffer
      - .address_space:  global
        .offset:         24
        .size:           8
        .value_kind:     global_buffer
      - .address_space:  global
        .offset:         32
        .size:           8
        .value_kind:     global_buffer
      - .address_space:  global
        .offset:         40
        .size:           8
        .value_kind:     global_buffer
      - .address_space:  global
        .offset:         48
        .size:           8
        .value_kind:     global_buffer
      - .address_space:  global
        .offset:         56
        .size:           8
        .value_kind:     global_buffer
      - .offset:         64
        .size:           4
        .value_kind:     by_value
      - .offset:         68
        .size:           4
        .value_kind:     by_value
      - .offset:         72
        .size:           4
        .value_kind:     by_value
      - .offset:         76
        .size:           4
        .value_kind:     by_value
      - .offset:         80
        .size:           4
        .value_kind:     by_value
      - .offset:         84
        .size:           4
        .value_kind:     by_value
      - .offset:         88
        .size:           4
        .value_kind:     by_value
      - .offset:         92
        .size:           12
        .value_kind:     by_value
      - .offset:         104
        .size:           4
        .value_kind:     by_value
      - .offset:         108
        .size:           4
        .value_kind:     by_value
      - .offset:         112
        .size:           4
        .value_kind:     by_value
      - .offset:         116
        .size:           4
        .value_kind:     by_value
      - .offset:         120
        .size:           4
        .value_kind:     by_value
      - .offset:         124
        .size:           4
        .value_kind:     by_value
      - .offset:         128
        .size:           4
        .value_kind:     by_value
      - .offset:         132
        .size:           4
        .value_kind:     by_value
      - .offset:         136
        .size:           4
        .value_kind:     by_value
      - .offset:         140
        .size:           4
        .value_kind:     by_value
      - .offset:         144
        .size:           4
        .value_kind:     by_value
      - .offset:         152
        .size:           8
        .value_kind:     by_value
      - .offset:         160
        .size:           4
        .value_kind:     by_value
      - .offset:         164
        .size:           4
        .value_kind:     by_value
      - .offset:         168
        .size:           8
        .value_kind:     by_value
      - .offset:         176
        .size:           4
        .value_kind:     by_value
      - .offset:         180
        .size:           4
        .value_kind:     by_value
      - .offset:         184
        .size:           4
        .value_kind:     by_value
      - .offset:         188
        .size:           4
        .value_kind:     by_value
      - .offset:         192
        .size:           4
        .value_kind:     by_value
      - .offset:         200
        .size:           8
        .value_kind:     by_value
      - .offset:         208
        .size:           4
        .value_kind:     hidden_block_count_x
      - .offset:         212
        .size:           4
        .value_kind:     hidden_block_count_y
      - .offset:         216
        .size:           4
        .value_kind:     hidden_block_count_z
      - .offset:         220
        .size:           2
        .value_kind:     hidden_group_size_x
      - .offset:         222
        .size:           2
        .value_kind:     hidden_group_size_y
      - .offset:         224
        .size:           2
        .value_kind:     hidden_group_size_z
      - .offset:         226
        .size:           2
        .value_kind:     hidden_remainder_x
      - .offset:         228
        .size:           2
        .value_kind:     hidden_remainder_y
      - .offset:         230
        .size:           2
        .value_kind:     hidden_remainder_z
      - .offset:         248
        .size:           8
        .value_kind:     hidden_global_offset_x
      - .offset:         256
        .size:           8
        .value_kind:     hidden_global_offset_y
      - .offset:         264
        .size:           8
        .value_kind:     hidden_global_offset_z
      - .offset:         272
        .size:           2
        .value_kind:     hidden_grid_dims
    .group_segment_fixed_size: 10752
    .kernarg_segment_align: 8
    .kernarg_segment_size: 464
    .language:       OpenCL C
    .language_version:
      - 2
      - 0
    .max_flat_workgroup_size: 128
    .name:           _ZL15flash_attn_tileILi128ELi128ELi2ELi2ELb1EEvPKcS1_S1_S1_S1_PKiPfP15HIP_vector_typeIfLj2EEffffjfiS5_IjLj3EEiiiiiiiiiiiliiliiiiil
    .private_segment_fixed_size: 0
    .sgpr_count:     42
    .sgpr_spill_count: 0
    .symbol:         _ZL15flash_attn_tileILi128ELi128ELi2ELi2ELb1EEvPKcS1_S1_S1_S1_PKiPfP15HIP_vector_typeIfLj2EEffffjfiS5_IjLj3EEiiiiiiiiiiiliiliiiiil.kd
    .uniform_work_group_size: 1
    .uses_dynamic_stack: false
    .vgpr_count:     151
    .vgpr_spill_count: 0
    .wavefront_size: 32
    .workgroup_processor_mode: 1
  - .args:
      - .address_space:  global
        .offset:         0
        .size:           8
        .value_kind:     global_buffer
      - .address_space:  global
        .offset:         8
        .size:           8
        .value_kind:     global_buffer
      - .address_space:  global
        .offset:         16
        .size:           8
        .value_kind:     global_buffer
      - .address_space:  global
        .offset:         24
        .size:           8
        .value_kind:     global_buffer
      - .address_space:  global
        .offset:         32
        .size:           8
        .value_kind:     global_buffer
      - .address_space:  global
        .offset:         40
        .size:           8
        .value_kind:     global_buffer
      - .address_space:  global
        .offset:         48
        .size:           8
        .value_kind:     global_buffer
      - .address_space:  global
        .offset:         56
        .size:           8
        .value_kind:     global_buffer
      - .offset:         64
        .size:           4
        .value_kind:     by_value
      - .offset:         68
        .size:           4
        .value_kind:     by_value
      - .offset:         72
        .size:           4
        .value_kind:     by_value
      - .offset:         76
        .size:           4
        .value_kind:     by_value
      - .offset:         80
        .size:           4
        .value_kind:     by_value
      - .offset:         84
        .size:           4
        .value_kind:     by_value
      - .offset:         88
        .size:           4
        .value_kind:     by_value
      - .offset:         92
        .size:           12
        .value_kind:     by_value
      - .offset:         104
        .size:           4
        .value_kind:     by_value
      - .offset:         108
        .size:           4
        .value_kind:     by_value
      - .offset:         112
        .size:           4
        .value_kind:     by_value
      - .offset:         116
        .size:           4
        .value_kind:     by_value
      - .offset:         120
        .size:           4
        .value_kind:     by_value
      - .offset:         124
        .size:           4
        .value_kind:     by_value
      - .offset:         128
        .size:           4
        .value_kind:     by_value
      - .offset:         132
        .size:           4
        .value_kind:     by_value
      - .offset:         136
        .size:           4
        .value_kind:     by_value
      - .offset:         140
        .size:           4
        .value_kind:     by_value
      - .offset:         144
        .size:           4
        .value_kind:     by_value
      - .offset:         152
        .size:           8
        .value_kind:     by_value
      - .offset:         160
        .size:           4
        .value_kind:     by_value
      - .offset:         164
        .size:           4
        .value_kind:     by_value
      - .offset:         168
        .size:           8
        .value_kind:     by_value
      - .offset:         176
        .size:           4
        .value_kind:     by_value
      - .offset:         180
        .size:           4
        .value_kind:     by_value
      - .offset:         184
        .size:           4
        .value_kind:     by_value
      - .offset:         188
        .size:           4
        .value_kind:     by_value
      - .offset:         192
        .size:           4
        .value_kind:     by_value
      - .offset:         200
        .size:           8
        .value_kind:     by_value
      - .offset:         208
        .size:           4
        .value_kind:     hidden_block_count_x
      - .offset:         212
        .size:           4
        .value_kind:     hidden_block_count_y
      - .offset:         216
        .size:           4
        .value_kind:     hidden_block_count_z
      - .offset:         220
        .size:           2
        .value_kind:     hidden_group_size_x
      - .offset:         222
        .size:           2
        .value_kind:     hidden_group_size_y
      - .offset:         224
        .size:           2
        .value_kind:     hidden_group_size_z
      - .offset:         226
        .size:           2
        .value_kind:     hidden_remainder_x
      - .offset:         228
        .size:           2
        .value_kind:     hidden_remainder_y
      - .offset:         230
        .size:           2
        .value_kind:     hidden_remainder_z
      - .offset:         248
        .size:           8
        .value_kind:     hidden_global_offset_x
      - .offset:         256
        .size:           8
        .value_kind:     hidden_global_offset_y
      - .offset:         264
        .size:           8
        .value_kind:     hidden_global_offset_z
      - .offset:         272
        .size:           2
        .value_kind:     hidden_grid_dims
    .group_segment_fixed_size: 5248
    .kernarg_segment_align: 8
    .kernarg_segment_size: 464
    .language:       OpenCL C
    .language_version:
      - 2
      - 0
    .max_flat_workgroup_size: 64
    .name:           _ZL15flash_attn_tileILi128ELi128ELi1ELi2ELb1EEvPKcS1_S1_S1_S1_PKiPfP15HIP_vector_typeIfLj2EEffffjfiS5_IjLj3EEiiiiiiiiiiiliiliiiiil
    .private_segment_fixed_size: 0
    .sgpr_count:     43
    .sgpr_spill_count: 0
    .symbol:         _ZL15flash_attn_tileILi128ELi128ELi1ELi2ELb1EEvPKcS1_S1_S1_S1_PKiPfP15HIP_vector_typeIfLj2EEffffjfiS5_IjLj3EEiiiiiiiiiiiliiliiiiil.kd
    .uniform_work_group_size: 1
    .uses_dynamic_stack: false
    .vgpr_count:     109
    .vgpr_spill_count: 0
    .wavefront_size: 32
    .workgroup_processor_mode: 1
  - .args:
      - .address_space:  global
        .offset:         0
        .size:           8
        .value_kind:     global_buffer
      - .address_space:  global
        .offset:         8
        .size:           8
        .value_kind:     global_buffer
      - .address_space:  global
        .offset:         16
        .size:           8
        .value_kind:     global_buffer
      - .address_space:  global
        .offset:         24
        .size:           8
        .value_kind:     global_buffer
      - .address_space:  global
        .offset:         32
        .size:           8
        .value_kind:     global_buffer
      - .address_space:  global
        .offset:         40
        .size:           8
        .value_kind:     global_buffer
      - .address_space:  global
        .offset:         48
        .size:           8
        .value_kind:     global_buffer
      - .address_space:  global
        .offset:         56
        .size:           8
        .value_kind:     global_buffer
      - .offset:         64
        .size:           4
        .value_kind:     by_value
      - .offset:         68
        .size:           4
        .value_kind:     by_value
      - .offset:         72
        .size:           4
        .value_kind:     by_value
      - .offset:         76
        .size:           4
        .value_kind:     by_value
      - .offset:         80
        .size:           4
        .value_kind:     by_value
      - .offset:         84
        .size:           4
        .value_kind:     by_value
      - .offset:         88
        .size:           4
        .value_kind:     by_value
      - .offset:         92
        .size:           12
        .value_kind:     by_value
      - .offset:         104
        .size:           4
        .value_kind:     by_value
      - .offset:         108
        .size:           4
        .value_kind:     by_value
      - .offset:         112
        .size:           4
        .value_kind:     by_value
      - .offset:         116
        .size:           4
        .value_kind:     by_value
      - .offset:         120
        .size:           4
        .value_kind:     by_value
      - .offset:         124
        .size:           4
        .value_kind:     by_value
      - .offset:         128
        .size:           4
        .value_kind:     by_value
      - .offset:         132
        .size:           4
        .value_kind:     by_value
      - .offset:         136
        .size:           4
        .value_kind:     by_value
      - .offset:         140
        .size:           4
        .value_kind:     by_value
      - .offset:         144
        .size:           4
        .value_kind:     by_value
      - .offset:         152
        .size:           8
        .value_kind:     by_value
      - .offset:         160
        .size:           4
        .value_kind:     by_value
      - .offset:         164
        .size:           4
        .value_kind:     by_value
      - .offset:         168
        .size:           8
        .value_kind:     by_value
      - .offset:         176
        .size:           4
        .value_kind:     by_value
      - .offset:         180
        .size:           4
        .value_kind:     by_value
      - .offset:         184
        .size:           4
        .value_kind:     by_value
      - .offset:         188
        .size:           4
        .value_kind:     by_value
      - .offset:         192
        .size:           4
        .value_kind:     by_value
      - .offset:         200
        .size:           8
        .value_kind:     by_value
      - .offset:         208
        .size:           4
        .value_kind:     hidden_block_count_x
      - .offset:         212
        .size:           4
        .value_kind:     hidden_block_count_y
      - .offset:         216
        .size:           4
        .value_kind:     hidden_block_count_z
      - .offset:         220
        .size:           2
        .value_kind:     hidden_group_size_x
      - .offset:         222
        .size:           2
        .value_kind:     hidden_group_size_y
      - .offset:         224
        .size:           2
        .value_kind:     hidden_group_size_z
      - .offset:         226
        .size:           2
        .value_kind:     hidden_remainder_x
      - .offset:         228
        .size:           2
        .value_kind:     hidden_remainder_y
      - .offset:         230
        .size:           2
        .value_kind:     hidden_remainder_z
      - .offset:         248
        .size:           8
        .value_kind:     hidden_global_offset_x
      - .offset:         256
        .size:           8
        .value_kind:     hidden_global_offset_y
      - .offset:         264
        .size:           8
        .value_kind:     hidden_global_offset_z
      - .offset:         272
        .size:           2
        .value_kind:     hidden_grid_dims
    .group_segment_fixed_size: 41984
    .kernarg_segment_align: 8
    .kernarg_segment_size: 464
    .language:       OpenCL C
    .language_version:
      - 2
      - 0
    .max_flat_workgroup_size: 256
    .name:           _ZL15flash_attn_tileILi128ELi128ELi64ELi1ELb1EEvPKcS1_S1_S1_S1_PKiPfP15HIP_vector_typeIfLj2EEffffjfiS5_IjLj3EEiiiiiiiiiiiliiliiiiil
    .private_segment_fixed_size: 0
    .sgpr_count:     52
    .sgpr_spill_count: 0
    .symbol:         _ZL15flash_attn_tileILi128ELi128ELi64ELi1ELb1EEvPKcS1_S1_S1_S1_PKiPfP15HIP_vector_typeIfLj2EEffffjfiS5_IjLj3EEiiiiiiiiiiiliiliiiiil.kd
    .uniform_work_group_size: 1
    .uses_dynamic_stack: false
    .vgpr_count:     234
    .vgpr_spill_count: 0
    .wavefront_size: 32
    .workgroup_processor_mode: 1
  - .args:
      - .address_space:  global
        .offset:         0
        .size:           8
        .value_kind:     global_buffer
      - .address_space:  global
        .offset:         8
        .size:           8
        .value_kind:     global_buffer
      - .address_space:  global
        .offset:         16
        .size:           8
        .value_kind:     global_buffer
      - .address_space:  global
        .offset:         24
        .size:           8
        .value_kind:     global_buffer
      - .address_space:  global
        .offset:         32
        .size:           8
        .value_kind:     global_buffer
      - .address_space:  global
        .offset:         40
        .size:           8
        .value_kind:     global_buffer
      - .address_space:  global
        .offset:         48
        .size:           8
        .value_kind:     global_buffer
      - .address_space:  global
        .offset:         56
        .size:           8
        .value_kind:     global_buffer
      - .offset:         64
        .size:           4
        .value_kind:     by_value
      - .offset:         68
        .size:           4
        .value_kind:     by_value
      - .offset:         72
        .size:           4
        .value_kind:     by_value
      - .offset:         76
        .size:           4
        .value_kind:     by_value
      - .offset:         80
        .size:           4
        .value_kind:     by_value
      - .offset:         84
        .size:           4
        .value_kind:     by_value
      - .offset:         88
        .size:           4
        .value_kind:     by_value
      - .offset:         92
        .size:           12
        .value_kind:     by_value
      - .offset:         104
        .size:           4
        .value_kind:     by_value
      - .offset:         108
        .size:           4
        .value_kind:     by_value
      - .offset:         112
        .size:           4
        .value_kind:     by_value
      - .offset:         116
        .size:           4
        .value_kind:     by_value
      - .offset:         120
        .size:           4
        .value_kind:     by_value
      - .offset:         124
        .size:           4
        .value_kind:     by_value
      - .offset:         128
        .size:           4
        .value_kind:     by_value
      - .offset:         132
        .size:           4
        .value_kind:     by_value
      - .offset:         136
        .size:           4
        .value_kind:     by_value
      - .offset:         140
        .size:           4
        .value_kind:     by_value
      - .offset:         144
        .size:           4
        .value_kind:     by_value
      - .offset:         152
        .size:           8
        .value_kind:     by_value
      - .offset:         160
        .size:           4
        .value_kind:     by_value
      - .offset:         164
        .size:           4
        .value_kind:     by_value
      - .offset:         168
        .size:           8
        .value_kind:     by_value
      - .offset:         176
        .size:           4
        .value_kind:     by_value
      - .offset:         180
        .size:           4
        .value_kind:     by_value
      - .offset:         184
        .size:           4
        .value_kind:     by_value
      - .offset:         188
        .size:           4
        .value_kind:     by_value
      - .offset:         192
        .size:           4
        .value_kind:     by_value
      - .offset:         200
        .size:           8
        .value_kind:     by_value
      - .offset:         208
        .size:           4
        .value_kind:     hidden_block_count_x
      - .offset:         212
        .size:           4
        .value_kind:     hidden_block_count_y
      - .offset:         216
        .size:           4
        .value_kind:     hidden_block_count_z
      - .offset:         220
        .size:           2
        .value_kind:     hidden_group_size_x
      - .offset:         222
        .size:           2
        .value_kind:     hidden_group_size_y
      - .offset:         224
        .size:           2
        .value_kind:     hidden_group_size_z
      - .offset:         226
        .size:           2
        .value_kind:     hidden_remainder_x
      - .offset:         228
        .size:           2
        .value_kind:     hidden_remainder_y
      - .offset:         230
        .size:           2
        .value_kind:     hidden_remainder_z
      - .offset:         248
        .size:           8
        .value_kind:     hidden_global_offset_x
      - .offset:         256
        .size:           8
        .value_kind:     hidden_global_offset_y
      - .offset:         264
        .size:           8
        .value_kind:     hidden_global_offset_z
      - .offset:         272
        .size:           2
        .value_kind:     hidden_grid_dims
    .group_segment_fixed_size: 43008
    .kernarg_segment_align: 8
    .kernarg_segment_size: 464
    .language:       OpenCL C
    .language_version:
      - 2
      - 0
    .max_flat_workgroup_size: 256
    .name:           _ZL15flash_attn_tileILi128ELi128ELi32ELi1ELb1EEvPKcS1_S1_S1_S1_PKiPfP15HIP_vector_typeIfLj2EEffffjfiS5_IjLj3EEiiiiiiiiiiiliiliiiiil
    .private_segment_fixed_size: 0
    .sgpr_count:     52
    .sgpr_spill_count: 0
    .symbol:         _ZL15flash_attn_tileILi128ELi128ELi32ELi1ELb1EEvPKcS1_S1_S1_S1_PKiPfP15HIP_vector_typeIfLj2EEffffjfiS5_IjLj3EEiiiiiiiiiiiliiliiiiil.kd
    .uniform_work_group_size: 1
    .uses_dynamic_stack: false
    .vgpr_count:     130
    .vgpr_spill_count: 0
    .wavefront_size: 32
    .workgroup_processor_mode: 1
  - .args:
      - .address_space:  global
        .offset:         0
        .size:           8
        .value_kind:     global_buffer
      - .address_space:  global
        .offset:         8
        .size:           8
        .value_kind:     global_buffer
      - .address_space:  global
        .offset:         16
        .size:           8
        .value_kind:     global_buffer
      - .address_space:  global
        .offset:         24
        .size:           8
        .value_kind:     global_buffer
      - .address_space:  global
        .offset:         32
        .size:           8
        .value_kind:     global_buffer
      - .address_space:  global
        .offset:         40
        .size:           8
        .value_kind:     global_buffer
      - .address_space:  global
        .offset:         48
        .size:           8
        .value_kind:     global_buffer
      - .address_space:  global
        .offset:         56
        .size:           8
        .value_kind:     global_buffer
      - .offset:         64
        .size:           4
        .value_kind:     by_value
      - .offset:         68
        .size:           4
        .value_kind:     by_value
      - .offset:         72
        .size:           4
        .value_kind:     by_value
      - .offset:         76
        .size:           4
        .value_kind:     by_value
      - .offset:         80
        .size:           4
        .value_kind:     by_value
      - .offset:         84
        .size:           4
        .value_kind:     by_value
      - .offset:         88
        .size:           4
        .value_kind:     by_value
      - .offset:         92
        .size:           12
        .value_kind:     by_value
      - .offset:         104
        .size:           4
        .value_kind:     by_value
      - .offset:         108
        .size:           4
        .value_kind:     by_value
      - .offset:         112
        .size:           4
        .value_kind:     by_value
      - .offset:         116
        .size:           4
        .value_kind:     by_value
      - .offset:         120
        .size:           4
        .value_kind:     by_value
      - .offset:         124
        .size:           4
        .value_kind:     by_value
      - .offset:         128
        .size:           4
        .value_kind:     by_value
      - .offset:         132
        .size:           4
        .value_kind:     by_value
      - .offset:         136
        .size:           4
        .value_kind:     by_value
      - .offset:         140
        .size:           4
        .value_kind:     by_value
      - .offset:         144
        .size:           4
        .value_kind:     by_value
      - .offset:         152
        .size:           8
        .value_kind:     by_value
      - .offset:         160
        .size:           4
        .value_kind:     by_value
      - .offset:         164
        .size:           4
        .value_kind:     by_value
      - .offset:         168
        .size:           8
        .value_kind:     by_value
      - .offset:         176
        .size:           4
        .value_kind:     by_value
      - .offset:         180
        .size:           4
        .value_kind:     by_value
      - .offset:         184
        .size:           4
        .value_kind:     by_value
      - .offset:         188
        .size:           4
        .value_kind:     by_value
      - .offset:         192
        .size:           4
        .value_kind:     by_value
      - .offset:         200
        .size:           8
        .value_kind:     by_value
      - .offset:         208
        .size:           4
        .value_kind:     hidden_block_count_x
      - .offset:         212
        .size:           4
        .value_kind:     hidden_block_count_y
      - .offset:         216
        .size:           4
        .value_kind:     hidden_block_count_z
      - .offset:         220
        .size:           2
        .value_kind:     hidden_group_size_x
      - .offset:         222
        .size:           2
        .value_kind:     hidden_group_size_y
      - .offset:         224
        .size:           2
        .value_kind:     hidden_group_size_z
      - .offset:         226
        .size:           2
        .value_kind:     hidden_remainder_x
      - .offset:         228
        .size:           2
        .value_kind:     hidden_remainder_y
      - .offset:         230
        .size:           2
        .value_kind:     hidden_remainder_z
      - .offset:         248
        .size:           8
        .value_kind:     hidden_global_offset_x
      - .offset:         256
        .size:           8
        .value_kind:     hidden_global_offset_y
      - .offset:         264
        .size:           8
        .value_kind:     hidden_global_offset_z
      - .offset:         272
        .size:           2
        .value_kind:     hidden_grid_dims
    .group_segment_fixed_size: 43008
    .kernarg_segment_align: 8
    .kernarg_segment_size: 464
    .language:       OpenCL C
    .language_version:
      - 2
      - 0
    .max_flat_workgroup_size: 256
    .name:           _ZL15flash_attn_tileILi128ELi128ELi16ELi1ELb1EEvPKcS1_S1_S1_S1_PKiPfP15HIP_vector_typeIfLj2EEffffjfiS5_IjLj3EEiiiiiiiiiiiliiliiiiil
    .private_segment_fixed_size: 32
    .sgpr_count:     49
    .sgpr_spill_count: 0
    .symbol:         _ZL15flash_attn_tileILi128ELi128ELi16ELi1ELb1EEvPKcS1_S1_S1_S1_PKiPfP15HIP_vector_typeIfLj2EEffffjfiS5_IjLj3EEiiiiiiiiiiiliiliiiiil.kd
    .uniform_work_group_size: 1
    .uses_dynamic_stack: false
    .vgpr_count:     141
    .vgpr_spill_count: 0
    .wavefront_size: 32
    .workgroup_processor_mode: 1
  - .args:
      - .address_space:  global
        .offset:         0
        .size:           8
        .value_kind:     global_buffer
      - .address_space:  global
        .offset:         8
        .size:           8
        .value_kind:     global_buffer
      - .address_space:  global
        .offset:         16
        .size:           8
        .value_kind:     global_buffer
      - .address_space:  global
        .offset:         24
        .size:           8
        .value_kind:     global_buffer
      - .address_space:  global
        .offset:         32
        .size:           8
        .value_kind:     global_buffer
      - .address_space:  global
        .offset:         40
        .size:           8
        .value_kind:     global_buffer
      - .address_space:  global
        .offset:         48
        .size:           8
        .value_kind:     global_buffer
      - .address_space:  global
        .offset:         56
        .size:           8
        .value_kind:     global_buffer
      - .offset:         64
        .size:           4
        .value_kind:     by_value
      - .offset:         68
        .size:           4
        .value_kind:     by_value
      - .offset:         72
        .size:           4
        .value_kind:     by_value
      - .offset:         76
        .size:           4
        .value_kind:     by_value
      - .offset:         80
        .size:           4
        .value_kind:     by_value
      - .offset:         84
        .size:           4
        .value_kind:     by_value
      - .offset:         88
        .size:           4
        .value_kind:     by_value
      - .offset:         92
        .size:           12
        .value_kind:     by_value
      - .offset:         104
        .size:           4
        .value_kind:     by_value
      - .offset:         108
        .size:           4
        .value_kind:     by_value
      - .offset:         112
        .size:           4
        .value_kind:     by_value
      - .offset:         116
        .size:           4
        .value_kind:     by_value
      - .offset:         120
        .size:           4
        .value_kind:     by_value
      - .offset:         124
        .size:           4
        .value_kind:     by_value
      - .offset:         128
        .size:           4
        .value_kind:     by_value
      - .offset:         132
        .size:           4
        .value_kind:     by_value
      - .offset:         136
        .size:           4
        .value_kind:     by_value
      - .offset:         140
        .size:           4
        .value_kind:     by_value
      - .offset:         144
        .size:           4
        .value_kind:     by_value
      - .offset:         152
        .size:           8
        .value_kind:     by_value
      - .offset:         160
        .size:           4
        .value_kind:     by_value
      - .offset:         164
        .size:           4
        .value_kind:     by_value
      - .offset:         168
        .size:           8
        .value_kind:     by_value
      - .offset:         176
        .size:           4
        .value_kind:     by_value
      - .offset:         180
        .size:           4
        .value_kind:     by_value
      - .offset:         184
        .size:           4
        .value_kind:     by_value
      - .offset:         188
        .size:           4
        .value_kind:     by_value
      - .offset:         192
        .size:           4
        .value_kind:     by_value
      - .offset:         200
        .size:           8
        .value_kind:     by_value
      - .offset:         208
        .size:           4
        .value_kind:     hidden_block_count_x
      - .offset:         212
        .size:           4
        .value_kind:     hidden_block_count_y
      - .offset:         216
        .size:           4
        .value_kind:     hidden_block_count_z
      - .offset:         220
        .size:           2
        .value_kind:     hidden_group_size_x
      - .offset:         222
        .size:           2
        .value_kind:     hidden_group_size_y
      - .offset:         224
        .size:           2
        .value_kind:     hidden_group_size_z
      - .offset:         226
        .size:           2
        .value_kind:     hidden_remainder_x
      - .offset:         228
        .size:           2
        .value_kind:     hidden_remainder_y
      - .offset:         230
        .size:           2
        .value_kind:     hidden_remainder_z
      - .offset:         248
        .size:           8
        .value_kind:     hidden_global_offset_x
      - .offset:         256
        .size:           8
        .value_kind:     hidden_global_offset_y
      - .offset:         264
        .size:           8
        .value_kind:     hidden_global_offset_z
      - .offset:         272
        .size:           2
        .value_kind:     hidden_grid_dims
    .group_segment_fixed_size: 12288
    .kernarg_segment_align: 8
    .kernarg_segment_size: 464
    .language:       OpenCL C
    .language_version:
      - 2
      - 0
    .max_flat_workgroup_size: 128
    .name:           _ZL15flash_attn_tileILi128ELi128ELi8ELi1ELb1EEvPKcS1_S1_S1_S1_PKiPfP15HIP_vector_typeIfLj2EEffffjfiS5_IjLj3EEiiiiiiiiiiiliiliiiiil
    .private_segment_fixed_size: 32
    .sgpr_count:     50
    .sgpr_spill_count: 0
    .symbol:         _ZL15flash_attn_tileILi128ELi128ELi8ELi1ELb1EEvPKcS1_S1_S1_S1_PKiPfP15HIP_vector_typeIfLj2EEffffjfiS5_IjLj3EEiiiiiiiiiiiliiliiiiil.kd
    .uniform_work_group_size: 1
    .uses_dynamic_stack: false
    .vgpr_count:     183
    .vgpr_spill_count: 0
    .wavefront_size: 32
    .workgroup_processor_mode: 1
  - .args:
      - .address_space:  global
        .offset:         0
        .size:           8
        .value_kind:     global_buffer
      - .address_space:  global
        .offset:         8
        .size:           8
        .value_kind:     global_buffer
      - .address_space:  global
        .offset:         16
        .size:           8
        .value_kind:     global_buffer
      - .address_space:  global
        .offset:         24
        .size:           8
        .value_kind:     global_buffer
      - .address_space:  global
        .offset:         32
        .size:           8
        .value_kind:     global_buffer
      - .address_space:  global
        .offset:         40
        .size:           8
        .value_kind:     global_buffer
      - .address_space:  global
        .offset:         48
        .size:           8
        .value_kind:     global_buffer
      - .address_space:  global
        .offset:         56
        .size:           8
        .value_kind:     global_buffer
      - .offset:         64
        .size:           4
        .value_kind:     by_value
      - .offset:         68
        .size:           4
        .value_kind:     by_value
      - .offset:         72
        .size:           4
        .value_kind:     by_value
      - .offset:         76
        .size:           4
        .value_kind:     by_value
      - .offset:         80
        .size:           4
        .value_kind:     by_value
      - .offset:         84
        .size:           4
        .value_kind:     by_value
      - .offset:         88
        .size:           4
        .value_kind:     by_value
      - .offset:         92
        .size:           12
        .value_kind:     by_value
      - .offset:         104
        .size:           4
        .value_kind:     by_value
      - .offset:         108
        .size:           4
        .value_kind:     by_value
      - .offset:         112
        .size:           4
        .value_kind:     by_value
      - .offset:         116
        .size:           4
        .value_kind:     by_value
      - .offset:         120
        .size:           4
        .value_kind:     by_value
      - .offset:         124
        .size:           4
        .value_kind:     by_value
      - .offset:         128
        .size:           4
        .value_kind:     by_value
      - .offset:         132
        .size:           4
        .value_kind:     by_value
      - .offset:         136
        .size:           4
        .value_kind:     by_value
      - .offset:         140
        .size:           4
        .value_kind:     by_value
      - .offset:         144
        .size:           4
        .value_kind:     by_value
      - .offset:         152
        .size:           8
        .value_kind:     by_value
      - .offset:         160
        .size:           4
        .value_kind:     by_value
      - .offset:         164
        .size:           4
        .value_kind:     by_value
      - .offset:         168
        .size:           8
        .value_kind:     by_value
      - .offset:         176
        .size:           4
        .value_kind:     by_value
      - .offset:         180
        .size:           4
        .value_kind:     by_value
      - .offset:         184
        .size:           4
        .value_kind:     by_value
      - .offset:         188
        .size:           4
        .value_kind:     by_value
      - .offset:         192
        .size:           4
        .value_kind:     by_value
      - .offset:         200
        .size:           8
        .value_kind:     by_value
      - .offset:         208
        .size:           4
        .value_kind:     hidden_block_count_x
      - .offset:         212
        .size:           4
        .value_kind:     hidden_block_count_y
      - .offset:         216
        .size:           4
        .value_kind:     hidden_block_count_z
      - .offset:         220
        .size:           2
        .value_kind:     hidden_group_size_x
      - .offset:         222
        .size:           2
        .value_kind:     hidden_group_size_y
      - .offset:         224
        .size:           2
        .value_kind:     hidden_group_size_z
      - .offset:         226
        .size:           2
        .value_kind:     hidden_remainder_x
      - .offset:         228
        .size:           2
        .value_kind:     hidden_remainder_y
      - .offset:         230
        .size:           2
        .value_kind:     hidden_remainder_z
      - .offset:         248
        .size:           8
        .value_kind:     hidden_global_offset_x
      - .offset:         256
        .size:           8
        .value_kind:     hidden_global_offset_y
      - .offset:         264
        .size:           8
        .value_kind:     hidden_global_offset_z
      - .offset:         272
        .size:           2
        .value_kind:     hidden_grid_dims
    .group_segment_fixed_size: 10752
    .kernarg_segment_align: 8
    .kernarg_segment_size: 464
    .language:       OpenCL C
    .language_version:
      - 2
      - 0
    .max_flat_workgroup_size: 128
    .name:           _ZL15flash_attn_tileILi128ELi128ELi4ELi1ELb1EEvPKcS1_S1_S1_S1_PKiPfP15HIP_vector_typeIfLj2EEffffjfiS5_IjLj3EEiiiiiiiiiiiliiliiiiil
    .private_segment_fixed_size: 32
    .sgpr_count:     54
    .sgpr_spill_count: 0
    .symbol:         _ZL15flash_attn_tileILi128ELi128ELi4ELi1ELb1EEvPKcS1_S1_S1_S1_PKiPfP15HIP_vector_typeIfLj2EEffffjfiS5_IjLj3EEiiiiiiiiiiiliiliiiiil.kd
    .uniform_work_group_size: 1
    .uses_dynamic_stack: false
    .vgpr_count:     154
    .vgpr_spill_count: 0
    .wavefront_size: 32
    .workgroup_processor_mode: 1
  - .args:
      - .address_space:  global
        .offset:         0
        .size:           8
        .value_kind:     global_buffer
      - .address_space:  global
        .offset:         8
        .size:           8
        .value_kind:     global_buffer
      - .address_space:  global
        .offset:         16
        .size:           8
        .value_kind:     global_buffer
      - .address_space:  global
        .offset:         24
        .size:           8
        .value_kind:     global_buffer
      - .address_space:  global
        .offset:         32
        .size:           8
        .value_kind:     global_buffer
      - .address_space:  global
        .offset:         40
        .size:           8
        .value_kind:     global_buffer
      - .address_space:  global
        .offset:         48
        .size:           8
        .value_kind:     global_buffer
      - .address_space:  global
        .offset:         56
        .size:           8
        .value_kind:     global_buffer
      - .offset:         64
        .size:           4
        .value_kind:     by_value
      - .offset:         68
        .size:           4
        .value_kind:     by_value
      - .offset:         72
        .size:           4
        .value_kind:     by_value
      - .offset:         76
        .size:           4
        .value_kind:     by_value
      - .offset:         80
        .size:           4
        .value_kind:     by_value
      - .offset:         84
        .size:           4
        .value_kind:     by_value
      - .offset:         88
        .size:           4
        .value_kind:     by_value
      - .offset:         92
        .size:           12
        .value_kind:     by_value
      - .offset:         104
        .size:           4
        .value_kind:     by_value
      - .offset:         108
        .size:           4
        .value_kind:     by_value
      - .offset:         112
        .size:           4
        .value_kind:     by_value
      - .offset:         116
        .size:           4
        .value_kind:     by_value
      - .offset:         120
        .size:           4
        .value_kind:     by_value
      - .offset:         124
        .size:           4
        .value_kind:     by_value
      - .offset:         128
        .size:           4
        .value_kind:     by_value
      - .offset:         132
        .size:           4
        .value_kind:     by_value
      - .offset:         136
        .size:           4
        .value_kind:     by_value
      - .offset:         140
        .size:           4
        .value_kind:     by_value
      - .offset:         144
        .size:           4
        .value_kind:     by_value
      - .offset:         152
        .size:           8
        .value_kind:     by_value
      - .offset:         160
        .size:           4
        .value_kind:     by_value
      - .offset:         164
        .size:           4
        .value_kind:     by_value
      - .offset:         168
        .size:           8
        .value_kind:     by_value
      - .offset:         176
        .size:           4
        .value_kind:     by_value
      - .offset:         180
        .size:           4
        .value_kind:     by_value
      - .offset:         184
        .size:           4
        .value_kind:     by_value
      - .offset:         188
        .size:           4
        .value_kind:     by_value
      - .offset:         192
        .size:           4
        .value_kind:     by_value
      - .offset:         200
        .size:           8
        .value_kind:     by_value
      - .offset:         208
        .size:           4
        .value_kind:     hidden_block_count_x
      - .offset:         212
        .size:           4
        .value_kind:     hidden_block_count_y
      - .offset:         216
        .size:           4
        .value_kind:     hidden_block_count_z
      - .offset:         220
        .size:           2
        .value_kind:     hidden_group_size_x
      - .offset:         222
        .size:           2
        .value_kind:     hidden_group_size_y
      - .offset:         224
        .size:           2
        .value_kind:     hidden_group_size_z
      - .offset:         226
        .size:           2
        .value_kind:     hidden_remainder_x
      - .offset:         228
        .size:           2
        .value_kind:     hidden_remainder_y
      - .offset:         230
        .size:           2
        .value_kind:     hidden_remainder_z
      - .offset:         248
        .size:           8
        .value_kind:     hidden_global_offset_x
      - .offset:         256
        .size:           8
        .value_kind:     hidden_global_offset_y
      - .offset:         264
        .size:           8
        .value_kind:     hidden_global_offset_z
      - .offset:         272
        .size:           2
        .value_kind:     hidden_grid_dims
    .group_segment_fixed_size: 5248
    .kernarg_segment_align: 8
    .kernarg_segment_size: 464
    .language:       OpenCL C
    .language_version:
      - 2
      - 0
    .max_flat_workgroup_size: 64
    .name:           _ZL15flash_attn_tileILi128ELi128ELi2ELi1ELb1EEvPKcS1_S1_S1_S1_PKiPfP15HIP_vector_typeIfLj2EEffffjfiS5_IjLj3EEiiiiiiiiiiiliiliiiiil
    .private_segment_fixed_size: 32
    .sgpr_count:     54
    .sgpr_spill_count: 0
    .symbol:         _ZL15flash_attn_tileILi128ELi128ELi2ELi1ELb1EEvPKcS1_S1_S1_S1_PKiPfP15HIP_vector_typeIfLj2EEffffjfiS5_IjLj3EEiiiiiiiiiiiliiliiiiil.kd
    .uniform_work_group_size: 1
    .uses_dynamic_stack: false
    .vgpr_count:     112
    .vgpr_spill_count: 0
    .wavefront_size: 32
    .workgroup_processor_mode: 1
amdhsa.target:   amdgcn-amd-amdhsa--gfx1100
amdhsa.version:
  - 1
  - 2
...

	.end_amdgpu_metadata
